;; amdgpu-corpus repo=pytorch/pytorch kind=compiled arch=gfx1030 opt=O3
	.amdgcn_target "amdgcn-amd-amdhsa--gfx1030"
	.amdhsa_code_object_version 6
	.section	.text._ZN2at6native12_GLOBAL__N_133embedding_backward_feature_kernelIddiEEvPKT1_PKT_PS6_ili,"axG",@progbits,_ZN2at6native12_GLOBAL__N_133embedding_backward_feature_kernelIddiEEvPKT1_PKT_PS6_ili,comdat
	.globl	_ZN2at6native12_GLOBAL__N_133embedding_backward_feature_kernelIddiEEvPKT1_PKT_PS6_ili ; -- Begin function _ZN2at6native12_GLOBAL__N_133embedding_backward_feature_kernelIddiEEvPKT1_PKT_PS6_ili
	.p2align	8
	.type	_ZN2at6native12_GLOBAL__N_133embedding_backward_feature_kernelIddiEEvPKT1_PKT_PS6_ili,@function
_ZN2at6native12_GLOBAL__N_133embedding_backward_feature_kernelIddiEEvPKT1_PKT_PS6_ili: ; @_ZN2at6native12_GLOBAL__N_133embedding_backward_feature_kernelIddiEEvPKT1_PKT_PS6_ili
; %bb.0:
	s_load_dword s7, s[4:5], 0x18
	s_waitcnt lgkmcnt(0)
	s_cmp_lt_i32 s7, 1
	s_cbranch_scc1 .LBB0_18
; %bb.1:
	s_clause 0x2
	s_load_dword s0, s[4:5], 0x3c
	s_load_dwordx2 s[12:13], s[4:5], 0x20
	s_load_dwordx4 s[8:11], s[4:5], 0x0
	v_lshl_add_u32 v8, v0, 3, 0
	v_lshlrev_b32_e64 v2, v1, 1
	v_lshl_add_u32 v10, v1, 8, v8
	s_waitcnt lgkmcnt(0)
	s_and_b32 s16, s0, 0xffff
	s_lshr_b32 s14, s0, 16
	v_mad_u64_u32 v[3:4], null, s6, s16, v[0:1]
	s_clause 0x1
	s_load_dwordx2 s[2:3], s[4:5], 0x10
	s_load_dword s6, s[4:5], 0x28
	v_mad_u32_u24 v9, v1, s16, v0
	s_lshl_b32 s0, s14, 8
	s_mov_b32 s5, 0
	s_add_i32 s15, s0, 0
	v_lshl_add_u32 v11, v0, 2, s15
	v_ashrrev_i32_e32 v4, 31, v3
	v_lshl_add_u32 v12, v9, 2, s15
	v_cmp_le_i32_e32 vcc_lo, s12, v3
	v_cmp_gt_i32_e64 s0, s12, v3
	v_lshlrev_b64 v[4:5], 3, v[3:4]
	v_ashrrev_i32_e32 v3, 31, v2
	v_add_co_u32 v13, s1, s10, v4
	v_add_co_ci_u32_e64 v14, null, s11, v5, s1
	s_waitcnt lgkmcnt(0)
	v_add_co_u32 v15, s1, s2, v4
	v_add_co_ci_u32_e64 v16, null, s3, v5, s1
	s_mul_i32 s10, s16, s14
	s_mov_b32 s16, 0
	s_branch .LBB0_3
.LBB0_2:                                ;   in Loop: Header=BB0_3 Depth=1
	s_cmp_lt_i32 s16, s7
	s_cbranch_scc0 .LBB0_18
.LBB0_3:                                ; =>This Loop Header: Depth=1
                                        ;     Child Loop BB0_7 Depth 2
                                        ;       Child Loop BB0_15 Depth 3
	s_mov_b32 s11, s16
	s_mov_b32 s2, exec_lo
	v_add_nc_u32_e32 v4, s11, v9
	v_cmpx_gt_i32_e64 s7, v4
	s_cbranch_execz .LBB0_5
; %bb.4:                                ;   in Loop: Header=BB0_3 Depth=1
	v_ashrrev_i32_e32 v5, 31, v4
	v_lshlrev_b64 v[4:5], 2, v[4:5]
	v_add_co_u32 v4, s1, s8, v4
	v_add_co_ci_u32_e64 v5, null, s9, v5, s1
	global_load_dword v4, v[4:5], off
	s_waitcnt vmcnt(0)
	ds_write_b32 v12, v4
.LBB0_5:                                ;   in Loop: Header=BB0_3 Depth=1
	s_or_b32 exec_lo, exec_lo, s2
	s_add_i32 s16, s11, s10
	s_mov_b32 s18, s11
	s_min_u32 s17, s16, s7
	s_cmp_ge_i32 s11, s17
	s_cbranch_scc0 .LBB0_7
	s_branch .LBB0_2
.LBB0_6:                                ;   in Loop: Header=BB0_7 Depth=2
	s_or_b32 exec_lo, exec_lo, s2
	s_add_i32 s18, s18, s14
	s_cmp_ge_i32 s18, s17
	s_cbranch_scc1 .LBB0_2
.LBB0_7:                                ;   Parent Loop BB0_3 Depth=1
                                        ; =>  This Loop Header: Depth=2
                                        ;       Child Loop BB0_15 Depth 3
	v_add_nc_u32_e32 v4, s18, v1
	s_waitcnt lgkmcnt(0)
	s_barrier
	buffer_gl0_inv
	v_subrev_nc_u32_e32 v5, s11, v4
	v_cmp_le_i32_e64 s1, s7, v4
	v_lshl_add_u32 v5, v5, 2, s15
	s_or_b32 s3, vcc_lo, s1
	ds_read_b32 v17, v5
	s_waitcnt lgkmcnt(0)
	v_cmp_eq_u32_e64 s2, s6, v17
	s_nor_b32 s3, s3, s2
	s_and_saveexec_b32 s4, s3
	s_cbranch_execz .LBB0_9
; %bb.8:                                ;   in Loop: Header=BB0_7 Depth=2
	v_ashrrev_i32_e32 v6, 31, v4
	v_mul_lo_u32 v7, s13, v4
	v_mad_u64_u32 v[4:5], null, s12, v4, 0
	v_mul_lo_u32 v6, s12, v6
	v_add3_u32 v5, v5, v6, v7
	v_lshlrev_b64 v[4:5], 3, v[4:5]
	v_add_co_u32 v4, s3, v13, v4
	v_add_co_ci_u32_e64 v5, null, v14, v5, s3
	global_load_dwordx2 v[4:5], v[4:5], off
	s_waitcnt vmcnt(0)
	ds_write_b64 v10, v[4:5]
.LBB0_9:                                ;   in Loop: Header=BB0_7 Depth=2
	s_or_b32 exec_lo, exec_lo, s4
	s_nor_b32 s1, s1, s2
	s_waitcnt lgkmcnt(0)
	s_barrier
	buffer_gl0_inv
	s_and_saveexec_b32 s2, s1
	s_cbranch_execz .LBB0_6
; %bb.10:                               ;   in Loop: Header=BB0_7 Depth=2
	s_sub_i32 s1, s17, s18
	s_mov_b32 s4, 0
	s_min_u32 s1, s1, s14
	s_mov_b32 s3, exec_lo
	v_cmpx_gt_u32_e64 s1, v0
	s_cbranch_execz .LBB0_12
; %bb.11:                               ;   in Loop: Header=BB0_7 Depth=2
	s_sub_i32 s1, s18, s11
	v_lshl_add_u32 v4, s1, 2, v11
	ds_read_b32 v4, v4
	s_waitcnt lgkmcnt(0)
	v_cmp_eq_u32_e64 s1, v17, v4
	s_and_b32 s4, s1, exec_lo
.LBB0_12:                               ;   in Loop: Header=BB0_7 Depth=2
	s_or_b32 exec_lo, exec_lo, s3
	v_cndmask_b32_e64 v4, 0, 1, s4
	v_cmp_ne_u32_e64 s4, 0, v4
	s_ff1_i32_b64 s1, s[4:5]
	s_cmp_lg_u32 s4, 0
	v_cmp_eq_u32_e64 s1, s1, v1
	s_cselect_b32 s3, -1, 0
	s_and_b32 s1, s3, s1
	s_and_b32 exec_lo, exec_lo, s1
	s_cbranch_execz .LBB0_6
; %bb.13:                               ;   in Loop: Header=BB0_7 Depth=2
	s_mov_b32 s3, exec_lo
	v_cmpx_ne_u64_e64 s[4:5], v[2:3]
	s_cbranch_execz .LBB0_16
; %bb.14:                               ;   in Loop: Header=BB0_7 Depth=2
	ds_read_b64 v[4:5], v10
	v_xor_b32_e32 v6, s4, v2
	v_mov_b32_e32 v7, v3
	s_mov_b32 s4, 0
	.p2align	6
.LBB0_15:                               ;   Parent Loop BB0_3 Depth=1
                                        ;     Parent Loop BB0_7 Depth=2
                                        ; =>    This Inner Loop Header: Depth=3
	v_ffbl_b32_e32 v18, v7
	v_ffbl_b32_e32 v19, v6
	v_add_nc_u32_e32 v18, 32, v18
	v_min_u32_e32 v20, v19, v18
	v_lshl_add_u32 v18, v20, 8, v8
	ds_read_b64 v[18:19], v18
	s_waitcnt lgkmcnt(0)
	v_add_f64 v[4:5], v[18:19], v[4:5]
	v_lshlrev_b32_e64 v18, v20, 1
	v_ashrrev_i32_e32 v19, 31, v18
	v_xor_b32_e32 v20, v6, v18
	v_xor_b32_e32 v21, v7, v19
	v_cmp_eq_u64_e64 s1, v[6:7], v[18:19]
	v_mov_b32_e32 v6, v20
	v_mov_b32_e32 v7, v21
	s_or_b32 s4, s1, s4
	ds_write_b64 v10, v[4:5]
	s_andn2_b32 exec_lo, exec_lo, s4
	s_cbranch_execnz .LBB0_15
.LBB0_16:                               ;   in Loop: Header=BB0_7 Depth=2
	s_or_b32 exec_lo, exec_lo, s3
	s_and_b32 exec_lo, exec_lo, s0
	s_cbranch_execz .LBB0_6
; %bb.17:                               ;   in Loop: Header=BB0_7 Depth=2
	v_ashrrev_i32_e32 v6, 31, v17
	v_mul_lo_u32 v7, s13, v17
	v_mad_u64_u32 v[4:5], null, s12, v17, 0
	ds_read_b64 v[17:18], v10
	v_mul_lo_u32 v6, s12, v6
	v_add3_u32 v5, v5, v6, v7
	v_lshlrev_b64 v[4:5], 3, v[4:5]
	v_add_co_u32 v4, s1, v15, v4
	v_add_co_ci_u32_e64 v5, null, v16, v5, s1
	global_load_dwordx2 v[6:7], v[4:5], off
	s_waitcnt vmcnt(0) lgkmcnt(0)
	v_add_f64 v[6:7], v[17:18], v[6:7]
	global_store_dwordx2 v[4:5], v[6:7], off
	s_branch .LBB0_6
.LBB0_18:
	s_endpgm
	.section	.rodata,"a",@progbits
	.p2align	6, 0x0
	.amdhsa_kernel _ZN2at6native12_GLOBAL__N_133embedding_backward_feature_kernelIddiEEvPKT1_PKT_PS6_ili
		.amdhsa_group_segment_fixed_size 0
		.amdhsa_private_segment_fixed_size 0
		.amdhsa_kernarg_size 304
		.amdhsa_user_sgpr_count 6
		.amdhsa_user_sgpr_private_segment_buffer 1
		.amdhsa_user_sgpr_dispatch_ptr 0
		.amdhsa_user_sgpr_queue_ptr 0
		.amdhsa_user_sgpr_kernarg_segment_ptr 1
		.amdhsa_user_sgpr_dispatch_id 0
		.amdhsa_user_sgpr_flat_scratch_init 0
		.amdhsa_user_sgpr_private_segment_size 0
		.amdhsa_wavefront_size32 1
		.amdhsa_uses_dynamic_stack 0
		.amdhsa_system_sgpr_private_segment_wavefront_offset 0
		.amdhsa_system_sgpr_workgroup_id_x 1
		.amdhsa_system_sgpr_workgroup_id_y 0
		.amdhsa_system_sgpr_workgroup_id_z 0
		.amdhsa_system_sgpr_workgroup_info 0
		.amdhsa_system_vgpr_workitem_id 1
		.amdhsa_next_free_vgpr 22
		.amdhsa_next_free_sgpr 19
		.amdhsa_reserve_vcc 1
		.amdhsa_reserve_flat_scratch 0
		.amdhsa_float_round_mode_32 0
		.amdhsa_float_round_mode_16_64 0
		.amdhsa_float_denorm_mode_32 3
		.amdhsa_float_denorm_mode_16_64 3
		.amdhsa_dx10_clamp 1
		.amdhsa_ieee_mode 1
		.amdhsa_fp16_overflow 0
		.amdhsa_workgroup_processor_mode 1
		.amdhsa_memory_ordered 1
		.amdhsa_forward_progress 1
		.amdhsa_shared_vgpr_count 0
		.amdhsa_exception_fp_ieee_invalid_op 0
		.amdhsa_exception_fp_denorm_src 0
		.amdhsa_exception_fp_ieee_div_zero 0
		.amdhsa_exception_fp_ieee_overflow 0
		.amdhsa_exception_fp_ieee_underflow 0
		.amdhsa_exception_fp_ieee_inexact 0
		.amdhsa_exception_int_div_zero 0
	.end_amdhsa_kernel
	.section	.text._ZN2at6native12_GLOBAL__N_133embedding_backward_feature_kernelIddiEEvPKT1_PKT_PS6_ili,"axG",@progbits,_ZN2at6native12_GLOBAL__N_133embedding_backward_feature_kernelIddiEEvPKT1_PKT_PS6_ili,comdat
.Lfunc_end0:
	.size	_ZN2at6native12_GLOBAL__N_133embedding_backward_feature_kernelIddiEEvPKT1_PKT_PS6_ili, .Lfunc_end0-_ZN2at6native12_GLOBAL__N_133embedding_backward_feature_kernelIddiEEvPKT1_PKT_PS6_ili
                                        ; -- End function
	.set _ZN2at6native12_GLOBAL__N_133embedding_backward_feature_kernelIddiEEvPKT1_PKT_PS6_ili.num_vgpr, 22
	.set _ZN2at6native12_GLOBAL__N_133embedding_backward_feature_kernelIddiEEvPKT1_PKT_PS6_ili.num_agpr, 0
	.set _ZN2at6native12_GLOBAL__N_133embedding_backward_feature_kernelIddiEEvPKT1_PKT_PS6_ili.numbered_sgpr, 19
	.set _ZN2at6native12_GLOBAL__N_133embedding_backward_feature_kernelIddiEEvPKT1_PKT_PS6_ili.num_named_barrier, 0
	.set _ZN2at6native12_GLOBAL__N_133embedding_backward_feature_kernelIddiEEvPKT1_PKT_PS6_ili.private_seg_size, 0
	.set _ZN2at6native12_GLOBAL__N_133embedding_backward_feature_kernelIddiEEvPKT1_PKT_PS6_ili.uses_vcc, 1
	.set _ZN2at6native12_GLOBAL__N_133embedding_backward_feature_kernelIddiEEvPKT1_PKT_PS6_ili.uses_flat_scratch, 0
	.set _ZN2at6native12_GLOBAL__N_133embedding_backward_feature_kernelIddiEEvPKT1_PKT_PS6_ili.has_dyn_sized_stack, 0
	.set _ZN2at6native12_GLOBAL__N_133embedding_backward_feature_kernelIddiEEvPKT1_PKT_PS6_ili.has_recursion, 0
	.set _ZN2at6native12_GLOBAL__N_133embedding_backward_feature_kernelIddiEEvPKT1_PKT_PS6_ili.has_indirect_call, 0
	.section	.AMDGPU.csdata,"",@progbits
; Kernel info:
; codeLenInByte = 920
; TotalNumSgprs: 21
; NumVgprs: 22
; ScratchSize: 0
; MemoryBound: 0
; FloatMode: 240
; IeeeMode: 1
; LDSByteSize: 0 bytes/workgroup (compile time only)
; SGPRBlocks: 0
; VGPRBlocks: 2
; NumSGPRsForWavesPerEU: 21
; NumVGPRsForWavesPerEU: 22
; Occupancy: 16
; WaveLimiterHint : 0
; COMPUTE_PGM_RSRC2:SCRATCH_EN: 0
; COMPUTE_PGM_RSRC2:USER_SGPR: 6
; COMPUTE_PGM_RSRC2:TRAP_HANDLER: 0
; COMPUTE_PGM_RSRC2:TGID_X_EN: 1
; COMPUTE_PGM_RSRC2:TGID_Y_EN: 0
; COMPUTE_PGM_RSRC2:TGID_Z_EN: 0
; COMPUTE_PGM_RSRC2:TIDIG_COMP_CNT: 1
	.section	.text._ZN2at6native12_GLOBAL__N_133embedding_backward_feature_kernelIddlEEvPKT1_PKT_PS6_ili,"axG",@progbits,_ZN2at6native12_GLOBAL__N_133embedding_backward_feature_kernelIddlEEvPKT1_PKT_PS6_ili,comdat
	.globl	_ZN2at6native12_GLOBAL__N_133embedding_backward_feature_kernelIddlEEvPKT1_PKT_PS6_ili ; -- Begin function _ZN2at6native12_GLOBAL__N_133embedding_backward_feature_kernelIddlEEvPKT1_PKT_PS6_ili
	.p2align	8
	.type	_ZN2at6native12_GLOBAL__N_133embedding_backward_feature_kernelIddlEEvPKT1_PKT_PS6_ili,@function
_ZN2at6native12_GLOBAL__N_133embedding_backward_feature_kernelIddlEEvPKT1_PKT_PS6_ili: ; @_ZN2at6native12_GLOBAL__N_133embedding_backward_feature_kernelIddlEEvPKT1_PKT_PS6_ili
; %bb.0:
	s_load_dword s7, s[4:5], 0x18
	s_waitcnt lgkmcnt(0)
	s_cmp_lt_i32 s7, 1
	s_cbranch_scc1 .LBB1_18
; %bb.1:
	s_clause 0x2
	s_load_dword s0, s[4:5], 0x3c
	s_load_dwordx2 s[12:13], s[4:5], 0x20
	s_load_dwordx4 s[8:11], s[4:5], 0x0
	v_lshl_add_u32 v8, v0, 3, 0
	v_lshlrev_b32_e64 v2, v1, 1
	v_lshl_add_u32 v10, v1, 8, v8
	s_waitcnt lgkmcnt(0)
	s_and_b32 s16, s0, 0xffff
	s_lshr_b32 s14, s0, 16
	v_mad_u64_u32 v[3:4], null, s6, s16, v[0:1]
	s_clause 0x1
	s_load_dwordx2 s[2:3], s[4:5], 0x10
	s_load_dword s6, s[4:5], 0x28
	v_mad_u32_u24 v9, v1, s16, v0
	s_lshl_b32 s0, s14, 8
	s_mov_b32 s5, 0
	s_add_i32 s15, s0, 0
	v_lshl_add_u32 v11, v0, 2, s15
	v_ashrrev_i32_e32 v4, 31, v3
	v_lshl_add_u32 v12, v9, 2, s15
	v_cmp_le_i32_e32 vcc_lo, s12, v3
	v_cmp_gt_i32_e64 s0, s12, v3
	v_lshlrev_b64 v[4:5], 3, v[3:4]
	v_ashrrev_i32_e32 v3, 31, v2
	v_add_co_u32 v13, s1, s10, v4
	v_add_co_ci_u32_e64 v14, null, s11, v5, s1
	s_waitcnt lgkmcnt(0)
	v_add_co_u32 v15, s1, s2, v4
	v_add_co_ci_u32_e64 v16, null, s3, v5, s1
	s_mul_i32 s10, s16, s14
	s_mov_b32 s16, 0
	s_branch .LBB1_3
.LBB1_2:                                ;   in Loop: Header=BB1_3 Depth=1
	s_cmp_lt_i32 s16, s7
	s_cbranch_scc0 .LBB1_18
.LBB1_3:                                ; =>This Loop Header: Depth=1
                                        ;     Child Loop BB1_7 Depth 2
                                        ;       Child Loop BB1_15 Depth 3
	s_mov_b32 s11, s16
	s_mov_b32 s2, exec_lo
	v_add_nc_u32_e32 v4, s11, v9
	v_cmpx_gt_i32_e64 s7, v4
	s_cbranch_execz .LBB1_5
; %bb.4:                                ;   in Loop: Header=BB1_3 Depth=1
	v_ashrrev_i32_e32 v5, 31, v4
	v_lshlrev_b64 v[4:5], 3, v[4:5]
	v_add_co_u32 v4, s1, s8, v4
	v_add_co_ci_u32_e64 v5, null, s9, v5, s1
	global_load_dword v4, v[4:5], off
	s_waitcnt vmcnt(0)
	ds_write_b32 v12, v4
.LBB1_5:                                ;   in Loop: Header=BB1_3 Depth=1
	s_or_b32 exec_lo, exec_lo, s2
	s_add_i32 s16, s11, s10
	s_mov_b32 s18, s11
	s_min_u32 s17, s16, s7
	s_cmp_ge_i32 s11, s17
	s_cbranch_scc0 .LBB1_7
	s_branch .LBB1_2
.LBB1_6:                                ;   in Loop: Header=BB1_7 Depth=2
	s_or_b32 exec_lo, exec_lo, s2
	s_add_i32 s18, s18, s14
	s_cmp_ge_i32 s18, s17
	s_cbranch_scc1 .LBB1_2
.LBB1_7:                                ;   Parent Loop BB1_3 Depth=1
                                        ; =>  This Loop Header: Depth=2
                                        ;       Child Loop BB1_15 Depth 3
	v_add_nc_u32_e32 v4, s18, v1
	s_waitcnt lgkmcnt(0)
	s_barrier
	buffer_gl0_inv
	v_subrev_nc_u32_e32 v5, s11, v4
	v_cmp_le_i32_e64 s1, s7, v4
	v_lshl_add_u32 v5, v5, 2, s15
	s_or_b32 s3, vcc_lo, s1
	ds_read_b32 v17, v5
	s_waitcnt lgkmcnt(0)
	v_cmp_eq_u32_e64 s2, s6, v17
	s_nor_b32 s3, s3, s2
	s_and_saveexec_b32 s4, s3
	s_cbranch_execz .LBB1_9
; %bb.8:                                ;   in Loop: Header=BB1_7 Depth=2
	v_ashrrev_i32_e32 v6, 31, v4
	v_mul_lo_u32 v7, s13, v4
	v_mad_u64_u32 v[4:5], null, s12, v4, 0
	v_mul_lo_u32 v6, s12, v6
	v_add3_u32 v5, v5, v6, v7
	v_lshlrev_b64 v[4:5], 3, v[4:5]
	v_add_co_u32 v4, s3, v13, v4
	v_add_co_ci_u32_e64 v5, null, v14, v5, s3
	global_load_dwordx2 v[4:5], v[4:5], off
	s_waitcnt vmcnt(0)
	ds_write_b64 v10, v[4:5]
.LBB1_9:                                ;   in Loop: Header=BB1_7 Depth=2
	s_or_b32 exec_lo, exec_lo, s4
	s_nor_b32 s1, s1, s2
	s_waitcnt lgkmcnt(0)
	s_barrier
	buffer_gl0_inv
	s_and_saveexec_b32 s2, s1
	s_cbranch_execz .LBB1_6
; %bb.10:                               ;   in Loop: Header=BB1_7 Depth=2
	s_sub_i32 s1, s17, s18
	s_mov_b32 s4, 0
	s_min_u32 s1, s1, s14
	s_mov_b32 s3, exec_lo
	v_cmpx_gt_u32_e64 s1, v0
	s_cbranch_execz .LBB1_12
; %bb.11:                               ;   in Loop: Header=BB1_7 Depth=2
	s_sub_i32 s1, s18, s11
	v_lshl_add_u32 v4, s1, 2, v11
	ds_read_b32 v4, v4
	s_waitcnt lgkmcnt(0)
	v_cmp_eq_u32_e64 s1, v17, v4
	s_and_b32 s4, s1, exec_lo
.LBB1_12:                               ;   in Loop: Header=BB1_7 Depth=2
	s_or_b32 exec_lo, exec_lo, s3
	v_cndmask_b32_e64 v4, 0, 1, s4
	v_cmp_ne_u32_e64 s4, 0, v4
	s_ff1_i32_b64 s1, s[4:5]
	s_cmp_lg_u32 s4, 0
	v_cmp_eq_u32_e64 s1, s1, v1
	s_cselect_b32 s3, -1, 0
	s_and_b32 s1, s3, s1
	s_and_b32 exec_lo, exec_lo, s1
	s_cbranch_execz .LBB1_6
; %bb.13:                               ;   in Loop: Header=BB1_7 Depth=2
	s_mov_b32 s3, exec_lo
	v_cmpx_ne_u64_e64 s[4:5], v[2:3]
	s_cbranch_execz .LBB1_16
; %bb.14:                               ;   in Loop: Header=BB1_7 Depth=2
	ds_read_b64 v[4:5], v10
	v_xor_b32_e32 v6, s4, v2
	v_mov_b32_e32 v7, v3
	s_mov_b32 s4, 0
	.p2align	6
.LBB1_15:                               ;   Parent Loop BB1_3 Depth=1
                                        ;     Parent Loop BB1_7 Depth=2
                                        ; =>    This Inner Loop Header: Depth=3
	v_ffbl_b32_e32 v18, v7
	v_ffbl_b32_e32 v19, v6
	v_add_nc_u32_e32 v18, 32, v18
	v_min_u32_e32 v20, v19, v18
	v_lshl_add_u32 v18, v20, 8, v8
	ds_read_b64 v[18:19], v18
	s_waitcnt lgkmcnt(0)
	v_add_f64 v[4:5], v[18:19], v[4:5]
	v_lshlrev_b32_e64 v18, v20, 1
	v_ashrrev_i32_e32 v19, 31, v18
	v_xor_b32_e32 v20, v6, v18
	v_xor_b32_e32 v21, v7, v19
	v_cmp_eq_u64_e64 s1, v[6:7], v[18:19]
	v_mov_b32_e32 v6, v20
	v_mov_b32_e32 v7, v21
	s_or_b32 s4, s1, s4
	ds_write_b64 v10, v[4:5]
	s_andn2_b32 exec_lo, exec_lo, s4
	s_cbranch_execnz .LBB1_15
.LBB1_16:                               ;   in Loop: Header=BB1_7 Depth=2
	s_or_b32 exec_lo, exec_lo, s3
	s_and_b32 exec_lo, exec_lo, s0
	s_cbranch_execz .LBB1_6
; %bb.17:                               ;   in Loop: Header=BB1_7 Depth=2
	v_ashrrev_i32_e32 v6, 31, v17
	v_mul_lo_u32 v7, s13, v17
	v_mad_u64_u32 v[4:5], null, s12, v17, 0
	ds_read_b64 v[17:18], v10
	v_mul_lo_u32 v6, s12, v6
	v_add3_u32 v5, v5, v6, v7
	v_lshlrev_b64 v[4:5], 3, v[4:5]
	v_add_co_u32 v4, s1, v15, v4
	v_add_co_ci_u32_e64 v5, null, v16, v5, s1
	global_load_dwordx2 v[6:7], v[4:5], off
	s_waitcnt vmcnt(0) lgkmcnt(0)
	v_add_f64 v[6:7], v[17:18], v[6:7]
	global_store_dwordx2 v[4:5], v[6:7], off
	s_branch .LBB1_6
.LBB1_18:
	s_endpgm
	.section	.rodata,"a",@progbits
	.p2align	6, 0x0
	.amdhsa_kernel _ZN2at6native12_GLOBAL__N_133embedding_backward_feature_kernelIddlEEvPKT1_PKT_PS6_ili
		.amdhsa_group_segment_fixed_size 0
		.amdhsa_private_segment_fixed_size 0
		.amdhsa_kernarg_size 304
		.amdhsa_user_sgpr_count 6
		.amdhsa_user_sgpr_private_segment_buffer 1
		.amdhsa_user_sgpr_dispatch_ptr 0
		.amdhsa_user_sgpr_queue_ptr 0
		.amdhsa_user_sgpr_kernarg_segment_ptr 1
		.amdhsa_user_sgpr_dispatch_id 0
		.amdhsa_user_sgpr_flat_scratch_init 0
		.amdhsa_user_sgpr_private_segment_size 0
		.amdhsa_wavefront_size32 1
		.amdhsa_uses_dynamic_stack 0
		.amdhsa_system_sgpr_private_segment_wavefront_offset 0
		.amdhsa_system_sgpr_workgroup_id_x 1
		.amdhsa_system_sgpr_workgroup_id_y 0
		.amdhsa_system_sgpr_workgroup_id_z 0
		.amdhsa_system_sgpr_workgroup_info 0
		.amdhsa_system_vgpr_workitem_id 1
		.amdhsa_next_free_vgpr 22
		.amdhsa_next_free_sgpr 19
		.amdhsa_reserve_vcc 1
		.amdhsa_reserve_flat_scratch 0
		.amdhsa_float_round_mode_32 0
		.amdhsa_float_round_mode_16_64 0
		.amdhsa_float_denorm_mode_32 3
		.amdhsa_float_denorm_mode_16_64 3
		.amdhsa_dx10_clamp 1
		.amdhsa_ieee_mode 1
		.amdhsa_fp16_overflow 0
		.amdhsa_workgroup_processor_mode 1
		.amdhsa_memory_ordered 1
		.amdhsa_forward_progress 1
		.amdhsa_shared_vgpr_count 0
		.amdhsa_exception_fp_ieee_invalid_op 0
		.amdhsa_exception_fp_denorm_src 0
		.amdhsa_exception_fp_ieee_div_zero 0
		.amdhsa_exception_fp_ieee_overflow 0
		.amdhsa_exception_fp_ieee_underflow 0
		.amdhsa_exception_fp_ieee_inexact 0
		.amdhsa_exception_int_div_zero 0
	.end_amdhsa_kernel
	.section	.text._ZN2at6native12_GLOBAL__N_133embedding_backward_feature_kernelIddlEEvPKT1_PKT_PS6_ili,"axG",@progbits,_ZN2at6native12_GLOBAL__N_133embedding_backward_feature_kernelIddlEEvPKT1_PKT_PS6_ili,comdat
.Lfunc_end1:
	.size	_ZN2at6native12_GLOBAL__N_133embedding_backward_feature_kernelIddlEEvPKT1_PKT_PS6_ili, .Lfunc_end1-_ZN2at6native12_GLOBAL__N_133embedding_backward_feature_kernelIddlEEvPKT1_PKT_PS6_ili
                                        ; -- End function
	.set _ZN2at6native12_GLOBAL__N_133embedding_backward_feature_kernelIddlEEvPKT1_PKT_PS6_ili.num_vgpr, 22
	.set _ZN2at6native12_GLOBAL__N_133embedding_backward_feature_kernelIddlEEvPKT1_PKT_PS6_ili.num_agpr, 0
	.set _ZN2at6native12_GLOBAL__N_133embedding_backward_feature_kernelIddlEEvPKT1_PKT_PS6_ili.numbered_sgpr, 19
	.set _ZN2at6native12_GLOBAL__N_133embedding_backward_feature_kernelIddlEEvPKT1_PKT_PS6_ili.num_named_barrier, 0
	.set _ZN2at6native12_GLOBAL__N_133embedding_backward_feature_kernelIddlEEvPKT1_PKT_PS6_ili.private_seg_size, 0
	.set _ZN2at6native12_GLOBAL__N_133embedding_backward_feature_kernelIddlEEvPKT1_PKT_PS6_ili.uses_vcc, 1
	.set _ZN2at6native12_GLOBAL__N_133embedding_backward_feature_kernelIddlEEvPKT1_PKT_PS6_ili.uses_flat_scratch, 0
	.set _ZN2at6native12_GLOBAL__N_133embedding_backward_feature_kernelIddlEEvPKT1_PKT_PS6_ili.has_dyn_sized_stack, 0
	.set _ZN2at6native12_GLOBAL__N_133embedding_backward_feature_kernelIddlEEvPKT1_PKT_PS6_ili.has_recursion, 0
	.set _ZN2at6native12_GLOBAL__N_133embedding_backward_feature_kernelIddlEEvPKT1_PKT_PS6_ili.has_indirect_call, 0
	.section	.AMDGPU.csdata,"",@progbits
; Kernel info:
; codeLenInByte = 920
; TotalNumSgprs: 21
; NumVgprs: 22
; ScratchSize: 0
; MemoryBound: 0
; FloatMode: 240
; IeeeMode: 1
; LDSByteSize: 0 bytes/workgroup (compile time only)
; SGPRBlocks: 0
; VGPRBlocks: 2
; NumSGPRsForWavesPerEU: 21
; NumVGPRsForWavesPerEU: 22
; Occupancy: 16
; WaveLimiterHint : 0
; COMPUTE_PGM_RSRC2:SCRATCH_EN: 0
; COMPUTE_PGM_RSRC2:USER_SGPR: 6
; COMPUTE_PGM_RSRC2:TRAP_HANDLER: 0
; COMPUTE_PGM_RSRC2:TGID_X_EN: 1
; COMPUTE_PGM_RSRC2:TGID_Y_EN: 0
; COMPUTE_PGM_RSRC2:TGID_Z_EN: 0
; COMPUTE_PGM_RSRC2:TIDIG_COMP_CNT: 1
	.section	.text._ZN2at6native12_GLOBAL__N_133embedding_backward_feature_kernelIffiEEvPKT1_PKT_PS6_ili,"axG",@progbits,_ZN2at6native12_GLOBAL__N_133embedding_backward_feature_kernelIffiEEvPKT1_PKT_PS6_ili,comdat
	.globl	_ZN2at6native12_GLOBAL__N_133embedding_backward_feature_kernelIffiEEvPKT1_PKT_PS6_ili ; -- Begin function _ZN2at6native12_GLOBAL__N_133embedding_backward_feature_kernelIffiEEvPKT1_PKT_PS6_ili
	.p2align	8
	.type	_ZN2at6native12_GLOBAL__N_133embedding_backward_feature_kernelIffiEEvPKT1_PKT_PS6_ili,@function
_ZN2at6native12_GLOBAL__N_133embedding_backward_feature_kernelIffiEEvPKT1_PKT_PS6_ili: ; @_ZN2at6native12_GLOBAL__N_133embedding_backward_feature_kernelIffiEEvPKT1_PKT_PS6_ili
; %bb.0:
	s_load_dword s7, s[4:5], 0x18
	s_waitcnt lgkmcnt(0)
	s_cmp_lt_i32 s7, 1
	s_cbranch_scc1 .LBB2_18
; %bb.1:
	s_clause 0x2
	s_load_dword s0, s[4:5], 0x3c
	s_load_dwordx2 s[12:13], s[4:5], 0x20
	s_load_dwordx4 s[8:11], s[4:5], 0x0
	v_lshlrev_b32_e32 v9, 2, v0
	v_lshlrev_b32_e64 v2, v1, 1
	v_add_nc_u32_e32 v6, 0, v9
	v_lshl_add_u32 v8, v1, 7, v6
	s_waitcnt lgkmcnt(0)
	s_and_b32 s16, s0, 0xffff
	s_lshr_b32 s14, s0, 16
	v_mad_u64_u32 v[3:4], null, s6, s16, v[0:1]
	s_clause 0x1
	s_load_dwordx2 s[2:3], s[4:5], 0x10
	s_load_dword s6, s[4:5], 0x28
	v_mad_u32_u24 v7, v1, s16, v0
	s_lshl_b32 s0, s14, 7
	s_mov_b32 s5, 0
	s_add_i32 s15, s0, 0
	v_add_nc_u32_e32 v9, s15, v9
	v_ashrrev_i32_e32 v4, 31, v3
	v_lshl_add_u32 v10, v7, 2, s15
	v_cmp_le_i32_e32 vcc_lo, s12, v3
	v_cmp_gt_i32_e64 s0, s12, v3
	v_lshlrev_b64 v[4:5], 2, v[3:4]
	v_ashrrev_i32_e32 v3, 31, v2
	v_add_co_u32 v11, s1, s10, v4
	v_add_co_ci_u32_e64 v12, null, s11, v5, s1
	s_waitcnt lgkmcnt(0)
	v_add_co_u32 v13, s1, s2, v4
	v_add_co_ci_u32_e64 v14, null, s3, v5, s1
	s_mul_i32 s10, s16, s14
	s_mov_b32 s16, 0
	s_branch .LBB2_3
.LBB2_2:                                ;   in Loop: Header=BB2_3 Depth=1
	s_cmp_lt_i32 s16, s7
	s_cbranch_scc0 .LBB2_18
.LBB2_3:                                ; =>This Loop Header: Depth=1
                                        ;     Child Loop BB2_7 Depth 2
                                        ;       Child Loop BB2_15 Depth 3
	s_mov_b32 s11, s16
	s_mov_b32 s2, exec_lo
	v_add_nc_u32_e32 v4, s11, v7
	v_cmpx_gt_i32_e64 s7, v4
	s_cbranch_execz .LBB2_5
; %bb.4:                                ;   in Loop: Header=BB2_3 Depth=1
	v_ashrrev_i32_e32 v5, 31, v4
	v_lshlrev_b64 v[4:5], 2, v[4:5]
	v_add_co_u32 v4, s1, s8, v4
	v_add_co_ci_u32_e64 v5, null, s9, v5, s1
	global_load_dword v4, v[4:5], off
	s_waitcnt vmcnt(0)
	ds_write_b32 v10, v4
.LBB2_5:                                ;   in Loop: Header=BB2_3 Depth=1
	s_or_b32 exec_lo, exec_lo, s2
	s_add_i32 s16, s11, s10
	s_mov_b32 s18, s11
	s_min_u32 s17, s16, s7
	s_cmp_ge_i32 s11, s17
	s_cbranch_scc0 .LBB2_7
	s_branch .LBB2_2
.LBB2_6:                                ;   in Loop: Header=BB2_7 Depth=2
	s_or_b32 exec_lo, exec_lo, s2
	s_add_i32 s18, s18, s14
	s_cmp_ge_i32 s18, s17
	s_cbranch_scc1 .LBB2_2
.LBB2_7:                                ;   Parent Loop BB2_3 Depth=1
                                        ; =>  This Loop Header: Depth=2
                                        ;       Child Loop BB2_15 Depth 3
	v_add_nc_u32_e32 v4, s18, v1
	s_waitcnt lgkmcnt(0)
	s_barrier
	buffer_gl0_inv
	v_subrev_nc_u32_e32 v5, s11, v4
	v_cmp_le_i32_e64 s1, s7, v4
	v_lshl_add_u32 v5, v5, 2, s15
	s_or_b32 s3, vcc_lo, s1
	ds_read_b32 v15, v5
	s_waitcnt lgkmcnt(0)
	v_cmp_eq_u32_e64 s2, s6, v15
	s_nor_b32 s3, s3, s2
	s_and_saveexec_b32 s4, s3
	s_cbranch_execz .LBB2_9
; %bb.8:                                ;   in Loop: Header=BB2_7 Depth=2
	v_ashrrev_i32_e32 v16, 31, v4
	v_mul_lo_u32 v17, s13, v4
	v_mad_u64_u32 v[4:5], null, s12, v4, 0
	v_mul_lo_u32 v16, s12, v16
	v_add3_u32 v5, v5, v16, v17
	v_lshlrev_b64 v[4:5], 2, v[4:5]
	v_add_co_u32 v4, s3, v11, v4
	v_add_co_ci_u32_e64 v5, null, v12, v5, s3
	global_load_dword v4, v[4:5], off
	s_waitcnt vmcnt(0)
	ds_write_b32 v8, v4
.LBB2_9:                                ;   in Loop: Header=BB2_7 Depth=2
	s_or_b32 exec_lo, exec_lo, s4
	s_nor_b32 s1, s1, s2
	s_waitcnt lgkmcnt(0)
	s_barrier
	buffer_gl0_inv
	s_and_saveexec_b32 s2, s1
	s_cbranch_execz .LBB2_6
; %bb.10:                               ;   in Loop: Header=BB2_7 Depth=2
	s_sub_i32 s1, s17, s18
	s_mov_b32 s4, 0
	s_min_u32 s1, s1, s14
	s_mov_b32 s3, exec_lo
	v_cmpx_gt_u32_e64 s1, v0
	s_cbranch_execz .LBB2_12
; %bb.11:                               ;   in Loop: Header=BB2_7 Depth=2
	s_sub_i32 s1, s18, s11
	v_lshl_add_u32 v4, s1, 2, v9
	ds_read_b32 v4, v4
	s_waitcnt lgkmcnt(0)
	v_cmp_eq_u32_e64 s1, v15, v4
	s_and_b32 s4, s1, exec_lo
.LBB2_12:                               ;   in Loop: Header=BB2_7 Depth=2
	s_or_b32 exec_lo, exec_lo, s3
	v_cndmask_b32_e64 v4, 0, 1, s4
	v_cmp_ne_u32_e64 s4, 0, v4
	s_ff1_i32_b64 s1, s[4:5]
	s_cmp_lg_u32 s4, 0
	v_cmp_eq_u32_e64 s1, s1, v1
	s_cselect_b32 s3, -1, 0
	s_and_b32 s1, s3, s1
	s_and_b32 exec_lo, exec_lo, s1
	s_cbranch_execz .LBB2_6
; %bb.13:                               ;   in Loop: Header=BB2_7 Depth=2
	s_mov_b32 s3, exec_lo
	v_cmpx_ne_u64_e64 s[4:5], v[2:3]
	s_cbranch_execz .LBB2_16
; %bb.14:                               ;   in Loop: Header=BB2_7 Depth=2
	ds_read_b32 v16, v8
	v_xor_b32_e32 v4, s4, v2
	v_mov_b32_e32 v5, v3
	s_mov_b32 s4, 0
	.p2align	6
.LBB2_15:                               ;   Parent Loop BB2_3 Depth=1
                                        ;     Parent Loop BB2_7 Depth=2
                                        ; =>    This Inner Loop Header: Depth=3
	v_ffbl_b32_e32 v17, v5
	v_ffbl_b32_e32 v18, v4
	v_add_nc_u32_e32 v17, 32, v17
	v_min_u32_e32 v17, v18, v17
	v_lshl_add_u32 v18, v17, 7, v6
	v_lshlrev_b32_e64 v17, v17, 1
	ds_read_b32 v21, v18
	v_ashrrev_i32_e32 v18, 31, v17
	v_xor_b32_e32 v19, v4, v17
	v_xor_b32_e32 v20, v5, v18
	v_cmp_eq_u64_e64 s1, v[4:5], v[17:18]
	v_mov_b32_e32 v4, v19
	v_mov_b32_e32 v5, v20
	s_or_b32 s4, s1, s4
	s_waitcnt lgkmcnt(0)
	v_add_f32_e32 v16, v21, v16
	ds_write_b32 v8, v16
	s_andn2_b32 exec_lo, exec_lo, s4
	s_cbranch_execnz .LBB2_15
.LBB2_16:                               ;   in Loop: Header=BB2_7 Depth=2
	s_or_b32 exec_lo, exec_lo, s3
	s_and_b32 exec_lo, exec_lo, s0
	s_cbranch_execz .LBB2_6
; %bb.17:                               ;   in Loop: Header=BB2_7 Depth=2
	v_ashrrev_i32_e32 v16, 31, v15
	v_mul_lo_u32 v17, s13, v15
	v_mad_u64_u32 v[4:5], null, s12, v15, 0
	v_mul_lo_u32 v15, s12, v16
	ds_read_b32 v16, v8
	v_add3_u32 v5, v5, v15, v17
	v_lshlrev_b64 v[4:5], 2, v[4:5]
	v_add_co_u32 v4, s1, v13, v4
	v_add_co_ci_u32_e64 v5, null, v14, v5, s1
	global_load_dword v15, v[4:5], off
	s_waitcnt vmcnt(0) lgkmcnt(0)
	v_add_f32_e32 v15, v16, v15
	global_store_dword v[4:5], v15, off
	s_branch .LBB2_6
.LBB2_18:
	s_endpgm
	.section	.rodata,"a",@progbits
	.p2align	6, 0x0
	.amdhsa_kernel _ZN2at6native12_GLOBAL__N_133embedding_backward_feature_kernelIffiEEvPKT1_PKT_PS6_ili
		.amdhsa_group_segment_fixed_size 0
		.amdhsa_private_segment_fixed_size 0
		.amdhsa_kernarg_size 304
		.amdhsa_user_sgpr_count 6
		.amdhsa_user_sgpr_private_segment_buffer 1
		.amdhsa_user_sgpr_dispatch_ptr 0
		.amdhsa_user_sgpr_queue_ptr 0
		.amdhsa_user_sgpr_kernarg_segment_ptr 1
		.amdhsa_user_sgpr_dispatch_id 0
		.amdhsa_user_sgpr_flat_scratch_init 0
		.amdhsa_user_sgpr_private_segment_size 0
		.amdhsa_wavefront_size32 1
		.amdhsa_uses_dynamic_stack 0
		.amdhsa_system_sgpr_private_segment_wavefront_offset 0
		.amdhsa_system_sgpr_workgroup_id_x 1
		.amdhsa_system_sgpr_workgroup_id_y 0
		.amdhsa_system_sgpr_workgroup_id_z 0
		.amdhsa_system_sgpr_workgroup_info 0
		.amdhsa_system_vgpr_workitem_id 1
		.amdhsa_next_free_vgpr 22
		.amdhsa_next_free_sgpr 19
		.amdhsa_reserve_vcc 1
		.amdhsa_reserve_flat_scratch 0
		.amdhsa_float_round_mode_32 0
		.amdhsa_float_round_mode_16_64 0
		.amdhsa_float_denorm_mode_32 3
		.amdhsa_float_denorm_mode_16_64 3
		.amdhsa_dx10_clamp 1
		.amdhsa_ieee_mode 1
		.amdhsa_fp16_overflow 0
		.amdhsa_workgroup_processor_mode 1
		.amdhsa_memory_ordered 1
		.amdhsa_forward_progress 1
		.amdhsa_shared_vgpr_count 0
		.amdhsa_exception_fp_ieee_invalid_op 0
		.amdhsa_exception_fp_denorm_src 0
		.amdhsa_exception_fp_ieee_div_zero 0
		.amdhsa_exception_fp_ieee_overflow 0
		.amdhsa_exception_fp_ieee_underflow 0
		.amdhsa_exception_fp_ieee_inexact 0
		.amdhsa_exception_int_div_zero 0
	.end_amdhsa_kernel
	.section	.text._ZN2at6native12_GLOBAL__N_133embedding_backward_feature_kernelIffiEEvPKT1_PKT_PS6_ili,"axG",@progbits,_ZN2at6native12_GLOBAL__N_133embedding_backward_feature_kernelIffiEEvPKT1_PKT_PS6_ili,comdat
.Lfunc_end2:
	.size	_ZN2at6native12_GLOBAL__N_133embedding_backward_feature_kernelIffiEEvPKT1_PKT_PS6_ili, .Lfunc_end2-_ZN2at6native12_GLOBAL__N_133embedding_backward_feature_kernelIffiEEvPKT1_PKT_PS6_ili
                                        ; -- End function
	.set _ZN2at6native12_GLOBAL__N_133embedding_backward_feature_kernelIffiEEvPKT1_PKT_PS6_ili.num_vgpr, 22
	.set _ZN2at6native12_GLOBAL__N_133embedding_backward_feature_kernelIffiEEvPKT1_PKT_PS6_ili.num_agpr, 0
	.set _ZN2at6native12_GLOBAL__N_133embedding_backward_feature_kernelIffiEEvPKT1_PKT_PS6_ili.numbered_sgpr, 19
	.set _ZN2at6native12_GLOBAL__N_133embedding_backward_feature_kernelIffiEEvPKT1_PKT_PS6_ili.num_named_barrier, 0
	.set _ZN2at6native12_GLOBAL__N_133embedding_backward_feature_kernelIffiEEvPKT1_PKT_PS6_ili.private_seg_size, 0
	.set _ZN2at6native12_GLOBAL__N_133embedding_backward_feature_kernelIffiEEvPKT1_PKT_PS6_ili.uses_vcc, 1
	.set _ZN2at6native12_GLOBAL__N_133embedding_backward_feature_kernelIffiEEvPKT1_PKT_PS6_ili.uses_flat_scratch, 0
	.set _ZN2at6native12_GLOBAL__N_133embedding_backward_feature_kernelIffiEEvPKT1_PKT_PS6_ili.has_dyn_sized_stack, 0
	.set _ZN2at6native12_GLOBAL__N_133embedding_backward_feature_kernelIffiEEvPKT1_PKT_PS6_ili.has_recursion, 0
	.set _ZN2at6native12_GLOBAL__N_133embedding_backward_feature_kernelIffiEEvPKT1_PKT_PS6_ili.has_indirect_call, 0
	.section	.AMDGPU.csdata,"",@progbits
; Kernel info:
; codeLenInByte = 912
; TotalNumSgprs: 21
; NumVgprs: 22
; ScratchSize: 0
; MemoryBound: 0
; FloatMode: 240
; IeeeMode: 1
; LDSByteSize: 0 bytes/workgroup (compile time only)
; SGPRBlocks: 0
; VGPRBlocks: 2
; NumSGPRsForWavesPerEU: 21
; NumVGPRsForWavesPerEU: 22
; Occupancy: 16
; WaveLimiterHint : 0
; COMPUTE_PGM_RSRC2:SCRATCH_EN: 0
; COMPUTE_PGM_RSRC2:USER_SGPR: 6
; COMPUTE_PGM_RSRC2:TRAP_HANDLER: 0
; COMPUTE_PGM_RSRC2:TGID_X_EN: 1
; COMPUTE_PGM_RSRC2:TGID_Y_EN: 0
; COMPUTE_PGM_RSRC2:TGID_Z_EN: 0
; COMPUTE_PGM_RSRC2:TIDIG_COMP_CNT: 1
	.section	.text._ZN2at6native12_GLOBAL__N_133embedding_backward_feature_kernelIfflEEvPKT1_PKT_PS6_ili,"axG",@progbits,_ZN2at6native12_GLOBAL__N_133embedding_backward_feature_kernelIfflEEvPKT1_PKT_PS6_ili,comdat
	.globl	_ZN2at6native12_GLOBAL__N_133embedding_backward_feature_kernelIfflEEvPKT1_PKT_PS6_ili ; -- Begin function _ZN2at6native12_GLOBAL__N_133embedding_backward_feature_kernelIfflEEvPKT1_PKT_PS6_ili
	.p2align	8
	.type	_ZN2at6native12_GLOBAL__N_133embedding_backward_feature_kernelIfflEEvPKT1_PKT_PS6_ili,@function
_ZN2at6native12_GLOBAL__N_133embedding_backward_feature_kernelIfflEEvPKT1_PKT_PS6_ili: ; @_ZN2at6native12_GLOBAL__N_133embedding_backward_feature_kernelIfflEEvPKT1_PKT_PS6_ili
; %bb.0:
	s_load_dword s7, s[4:5], 0x18
	s_waitcnt lgkmcnt(0)
	s_cmp_lt_i32 s7, 1
	s_cbranch_scc1 .LBB3_18
; %bb.1:
	s_clause 0x2
	s_load_dword s0, s[4:5], 0x3c
	s_load_dwordx2 s[12:13], s[4:5], 0x20
	s_load_dwordx4 s[8:11], s[4:5], 0x0
	v_lshlrev_b32_e32 v9, 2, v0
	v_lshlrev_b32_e64 v2, v1, 1
	v_add_nc_u32_e32 v6, 0, v9
	v_lshl_add_u32 v8, v1, 7, v6
	s_waitcnt lgkmcnt(0)
	s_and_b32 s16, s0, 0xffff
	s_lshr_b32 s14, s0, 16
	v_mad_u64_u32 v[3:4], null, s6, s16, v[0:1]
	s_clause 0x1
	s_load_dwordx2 s[2:3], s[4:5], 0x10
	s_load_dword s6, s[4:5], 0x28
	v_mad_u32_u24 v7, v1, s16, v0
	s_lshl_b32 s0, s14, 7
	s_mov_b32 s5, 0
	s_add_i32 s15, s0, 0
	v_add_nc_u32_e32 v9, s15, v9
	v_ashrrev_i32_e32 v4, 31, v3
	v_lshl_add_u32 v10, v7, 2, s15
	v_cmp_le_i32_e32 vcc_lo, s12, v3
	v_cmp_gt_i32_e64 s0, s12, v3
	v_lshlrev_b64 v[4:5], 2, v[3:4]
	v_ashrrev_i32_e32 v3, 31, v2
	v_add_co_u32 v11, s1, s10, v4
	v_add_co_ci_u32_e64 v12, null, s11, v5, s1
	s_waitcnt lgkmcnt(0)
	v_add_co_u32 v13, s1, s2, v4
	v_add_co_ci_u32_e64 v14, null, s3, v5, s1
	s_mul_i32 s10, s16, s14
	s_mov_b32 s16, 0
	s_branch .LBB3_3
.LBB3_2:                                ;   in Loop: Header=BB3_3 Depth=1
	s_cmp_lt_i32 s16, s7
	s_cbranch_scc0 .LBB3_18
.LBB3_3:                                ; =>This Loop Header: Depth=1
                                        ;     Child Loop BB3_7 Depth 2
                                        ;       Child Loop BB3_15 Depth 3
	s_mov_b32 s11, s16
	s_mov_b32 s2, exec_lo
	v_add_nc_u32_e32 v4, s11, v7
	v_cmpx_gt_i32_e64 s7, v4
	s_cbranch_execz .LBB3_5
; %bb.4:                                ;   in Loop: Header=BB3_3 Depth=1
	v_ashrrev_i32_e32 v5, 31, v4
	v_lshlrev_b64 v[4:5], 3, v[4:5]
	v_add_co_u32 v4, s1, s8, v4
	v_add_co_ci_u32_e64 v5, null, s9, v5, s1
	global_load_dword v4, v[4:5], off
	s_waitcnt vmcnt(0)
	ds_write_b32 v10, v4
.LBB3_5:                                ;   in Loop: Header=BB3_3 Depth=1
	s_or_b32 exec_lo, exec_lo, s2
	s_add_i32 s16, s11, s10
	s_mov_b32 s18, s11
	s_min_u32 s17, s16, s7
	s_cmp_ge_i32 s11, s17
	s_cbranch_scc0 .LBB3_7
	s_branch .LBB3_2
.LBB3_6:                                ;   in Loop: Header=BB3_7 Depth=2
	s_or_b32 exec_lo, exec_lo, s2
	s_add_i32 s18, s18, s14
	s_cmp_ge_i32 s18, s17
	s_cbranch_scc1 .LBB3_2
.LBB3_7:                                ;   Parent Loop BB3_3 Depth=1
                                        ; =>  This Loop Header: Depth=2
                                        ;       Child Loop BB3_15 Depth 3
	v_add_nc_u32_e32 v4, s18, v1
	s_waitcnt lgkmcnt(0)
	s_barrier
	buffer_gl0_inv
	v_subrev_nc_u32_e32 v5, s11, v4
	v_cmp_le_i32_e64 s1, s7, v4
	v_lshl_add_u32 v5, v5, 2, s15
	s_or_b32 s3, vcc_lo, s1
	ds_read_b32 v15, v5
	s_waitcnt lgkmcnt(0)
	v_cmp_eq_u32_e64 s2, s6, v15
	s_nor_b32 s3, s3, s2
	s_and_saveexec_b32 s4, s3
	s_cbranch_execz .LBB3_9
; %bb.8:                                ;   in Loop: Header=BB3_7 Depth=2
	v_ashrrev_i32_e32 v16, 31, v4
	v_mul_lo_u32 v17, s13, v4
	v_mad_u64_u32 v[4:5], null, s12, v4, 0
	v_mul_lo_u32 v16, s12, v16
	v_add3_u32 v5, v5, v16, v17
	v_lshlrev_b64 v[4:5], 2, v[4:5]
	v_add_co_u32 v4, s3, v11, v4
	v_add_co_ci_u32_e64 v5, null, v12, v5, s3
	global_load_dword v4, v[4:5], off
	s_waitcnt vmcnt(0)
	ds_write_b32 v8, v4
.LBB3_9:                                ;   in Loop: Header=BB3_7 Depth=2
	s_or_b32 exec_lo, exec_lo, s4
	s_nor_b32 s1, s1, s2
	s_waitcnt lgkmcnt(0)
	s_barrier
	buffer_gl0_inv
	s_and_saveexec_b32 s2, s1
	s_cbranch_execz .LBB3_6
; %bb.10:                               ;   in Loop: Header=BB3_7 Depth=2
	s_sub_i32 s1, s17, s18
	s_mov_b32 s4, 0
	s_min_u32 s1, s1, s14
	s_mov_b32 s3, exec_lo
	v_cmpx_gt_u32_e64 s1, v0
	s_cbranch_execz .LBB3_12
; %bb.11:                               ;   in Loop: Header=BB3_7 Depth=2
	s_sub_i32 s1, s18, s11
	v_lshl_add_u32 v4, s1, 2, v9
	ds_read_b32 v4, v4
	s_waitcnt lgkmcnt(0)
	v_cmp_eq_u32_e64 s1, v15, v4
	s_and_b32 s4, s1, exec_lo
.LBB3_12:                               ;   in Loop: Header=BB3_7 Depth=2
	s_or_b32 exec_lo, exec_lo, s3
	v_cndmask_b32_e64 v4, 0, 1, s4
	v_cmp_ne_u32_e64 s4, 0, v4
	s_ff1_i32_b64 s1, s[4:5]
	s_cmp_lg_u32 s4, 0
	v_cmp_eq_u32_e64 s1, s1, v1
	s_cselect_b32 s3, -1, 0
	s_and_b32 s1, s3, s1
	s_and_b32 exec_lo, exec_lo, s1
	s_cbranch_execz .LBB3_6
; %bb.13:                               ;   in Loop: Header=BB3_7 Depth=2
	s_mov_b32 s3, exec_lo
	v_cmpx_ne_u64_e64 s[4:5], v[2:3]
	s_cbranch_execz .LBB3_16
; %bb.14:                               ;   in Loop: Header=BB3_7 Depth=2
	ds_read_b32 v16, v8
	v_xor_b32_e32 v4, s4, v2
	v_mov_b32_e32 v5, v3
	s_mov_b32 s4, 0
	.p2align	6
.LBB3_15:                               ;   Parent Loop BB3_3 Depth=1
                                        ;     Parent Loop BB3_7 Depth=2
                                        ; =>    This Inner Loop Header: Depth=3
	v_ffbl_b32_e32 v17, v5
	v_ffbl_b32_e32 v18, v4
	v_add_nc_u32_e32 v17, 32, v17
	v_min_u32_e32 v17, v18, v17
	v_lshl_add_u32 v18, v17, 7, v6
	v_lshlrev_b32_e64 v17, v17, 1
	ds_read_b32 v21, v18
	v_ashrrev_i32_e32 v18, 31, v17
	v_xor_b32_e32 v19, v4, v17
	v_xor_b32_e32 v20, v5, v18
	v_cmp_eq_u64_e64 s1, v[4:5], v[17:18]
	v_mov_b32_e32 v4, v19
	v_mov_b32_e32 v5, v20
	s_or_b32 s4, s1, s4
	s_waitcnt lgkmcnt(0)
	v_add_f32_e32 v16, v21, v16
	ds_write_b32 v8, v16
	s_andn2_b32 exec_lo, exec_lo, s4
	s_cbranch_execnz .LBB3_15
.LBB3_16:                               ;   in Loop: Header=BB3_7 Depth=2
	s_or_b32 exec_lo, exec_lo, s3
	s_and_b32 exec_lo, exec_lo, s0
	s_cbranch_execz .LBB3_6
; %bb.17:                               ;   in Loop: Header=BB3_7 Depth=2
	v_ashrrev_i32_e32 v16, 31, v15
	v_mul_lo_u32 v17, s13, v15
	v_mad_u64_u32 v[4:5], null, s12, v15, 0
	v_mul_lo_u32 v15, s12, v16
	ds_read_b32 v16, v8
	v_add3_u32 v5, v5, v15, v17
	v_lshlrev_b64 v[4:5], 2, v[4:5]
	v_add_co_u32 v4, s1, v13, v4
	v_add_co_ci_u32_e64 v5, null, v14, v5, s1
	global_load_dword v15, v[4:5], off
	s_waitcnt vmcnt(0) lgkmcnt(0)
	v_add_f32_e32 v15, v16, v15
	global_store_dword v[4:5], v15, off
	s_branch .LBB3_6
.LBB3_18:
	s_endpgm
	.section	.rodata,"a",@progbits
	.p2align	6, 0x0
	.amdhsa_kernel _ZN2at6native12_GLOBAL__N_133embedding_backward_feature_kernelIfflEEvPKT1_PKT_PS6_ili
		.amdhsa_group_segment_fixed_size 0
		.amdhsa_private_segment_fixed_size 0
		.amdhsa_kernarg_size 304
		.amdhsa_user_sgpr_count 6
		.amdhsa_user_sgpr_private_segment_buffer 1
		.amdhsa_user_sgpr_dispatch_ptr 0
		.amdhsa_user_sgpr_queue_ptr 0
		.amdhsa_user_sgpr_kernarg_segment_ptr 1
		.amdhsa_user_sgpr_dispatch_id 0
		.amdhsa_user_sgpr_flat_scratch_init 0
		.amdhsa_user_sgpr_private_segment_size 0
		.amdhsa_wavefront_size32 1
		.amdhsa_uses_dynamic_stack 0
		.amdhsa_system_sgpr_private_segment_wavefront_offset 0
		.amdhsa_system_sgpr_workgroup_id_x 1
		.amdhsa_system_sgpr_workgroup_id_y 0
		.amdhsa_system_sgpr_workgroup_id_z 0
		.amdhsa_system_sgpr_workgroup_info 0
		.amdhsa_system_vgpr_workitem_id 1
		.amdhsa_next_free_vgpr 22
		.amdhsa_next_free_sgpr 19
		.amdhsa_reserve_vcc 1
		.amdhsa_reserve_flat_scratch 0
		.amdhsa_float_round_mode_32 0
		.amdhsa_float_round_mode_16_64 0
		.amdhsa_float_denorm_mode_32 3
		.amdhsa_float_denorm_mode_16_64 3
		.amdhsa_dx10_clamp 1
		.amdhsa_ieee_mode 1
		.amdhsa_fp16_overflow 0
		.amdhsa_workgroup_processor_mode 1
		.amdhsa_memory_ordered 1
		.amdhsa_forward_progress 1
		.amdhsa_shared_vgpr_count 0
		.amdhsa_exception_fp_ieee_invalid_op 0
		.amdhsa_exception_fp_denorm_src 0
		.amdhsa_exception_fp_ieee_div_zero 0
		.amdhsa_exception_fp_ieee_overflow 0
		.amdhsa_exception_fp_ieee_underflow 0
		.amdhsa_exception_fp_ieee_inexact 0
		.amdhsa_exception_int_div_zero 0
	.end_amdhsa_kernel
	.section	.text._ZN2at6native12_GLOBAL__N_133embedding_backward_feature_kernelIfflEEvPKT1_PKT_PS6_ili,"axG",@progbits,_ZN2at6native12_GLOBAL__N_133embedding_backward_feature_kernelIfflEEvPKT1_PKT_PS6_ili,comdat
.Lfunc_end3:
	.size	_ZN2at6native12_GLOBAL__N_133embedding_backward_feature_kernelIfflEEvPKT1_PKT_PS6_ili, .Lfunc_end3-_ZN2at6native12_GLOBAL__N_133embedding_backward_feature_kernelIfflEEvPKT1_PKT_PS6_ili
                                        ; -- End function
	.set _ZN2at6native12_GLOBAL__N_133embedding_backward_feature_kernelIfflEEvPKT1_PKT_PS6_ili.num_vgpr, 22
	.set _ZN2at6native12_GLOBAL__N_133embedding_backward_feature_kernelIfflEEvPKT1_PKT_PS6_ili.num_agpr, 0
	.set _ZN2at6native12_GLOBAL__N_133embedding_backward_feature_kernelIfflEEvPKT1_PKT_PS6_ili.numbered_sgpr, 19
	.set _ZN2at6native12_GLOBAL__N_133embedding_backward_feature_kernelIfflEEvPKT1_PKT_PS6_ili.num_named_barrier, 0
	.set _ZN2at6native12_GLOBAL__N_133embedding_backward_feature_kernelIfflEEvPKT1_PKT_PS6_ili.private_seg_size, 0
	.set _ZN2at6native12_GLOBAL__N_133embedding_backward_feature_kernelIfflEEvPKT1_PKT_PS6_ili.uses_vcc, 1
	.set _ZN2at6native12_GLOBAL__N_133embedding_backward_feature_kernelIfflEEvPKT1_PKT_PS6_ili.uses_flat_scratch, 0
	.set _ZN2at6native12_GLOBAL__N_133embedding_backward_feature_kernelIfflEEvPKT1_PKT_PS6_ili.has_dyn_sized_stack, 0
	.set _ZN2at6native12_GLOBAL__N_133embedding_backward_feature_kernelIfflEEvPKT1_PKT_PS6_ili.has_recursion, 0
	.set _ZN2at6native12_GLOBAL__N_133embedding_backward_feature_kernelIfflEEvPKT1_PKT_PS6_ili.has_indirect_call, 0
	.section	.AMDGPU.csdata,"",@progbits
; Kernel info:
; codeLenInByte = 912
; TotalNumSgprs: 21
; NumVgprs: 22
; ScratchSize: 0
; MemoryBound: 0
; FloatMode: 240
; IeeeMode: 1
; LDSByteSize: 0 bytes/workgroup (compile time only)
; SGPRBlocks: 0
; VGPRBlocks: 2
; NumSGPRsForWavesPerEU: 21
; NumVGPRsForWavesPerEU: 22
; Occupancy: 16
; WaveLimiterHint : 0
; COMPUTE_PGM_RSRC2:SCRATCH_EN: 0
; COMPUTE_PGM_RSRC2:USER_SGPR: 6
; COMPUTE_PGM_RSRC2:TRAP_HANDLER: 0
; COMPUTE_PGM_RSRC2:TGID_X_EN: 1
; COMPUTE_PGM_RSRC2:TGID_Y_EN: 0
; COMPUTE_PGM_RSRC2:TGID_Z_EN: 0
; COMPUTE_PGM_RSRC2:TIDIG_COMP_CNT: 1
	.section	.text._ZN2at6native12_GLOBAL__N_133embedding_backward_feature_kernelIN3c104HalfEfiEEvPKT1_PKT_PS8_ili,"axG",@progbits,_ZN2at6native12_GLOBAL__N_133embedding_backward_feature_kernelIN3c104HalfEfiEEvPKT1_PKT_PS8_ili,comdat
	.globl	_ZN2at6native12_GLOBAL__N_133embedding_backward_feature_kernelIN3c104HalfEfiEEvPKT1_PKT_PS8_ili ; -- Begin function _ZN2at6native12_GLOBAL__N_133embedding_backward_feature_kernelIN3c104HalfEfiEEvPKT1_PKT_PS8_ili
	.p2align	8
	.type	_ZN2at6native12_GLOBAL__N_133embedding_backward_feature_kernelIN3c104HalfEfiEEvPKT1_PKT_PS8_ili,@function
_ZN2at6native12_GLOBAL__N_133embedding_backward_feature_kernelIN3c104HalfEfiEEvPKT1_PKT_PS8_ili: ; @_ZN2at6native12_GLOBAL__N_133embedding_backward_feature_kernelIN3c104HalfEfiEEvPKT1_PKT_PS8_ili
; %bb.0:
	s_load_dword s7, s[4:5], 0x18
	s_waitcnt lgkmcnt(0)
	s_cmp_lt_i32 s7, 1
	s_cbranch_scc1 .LBB4_18
; %bb.1:
	s_clause 0x2
	s_load_dword s0, s[4:5], 0x3c
	s_load_dwordx2 s[12:13], s[4:5], 0x20
	s_load_dwordx4 s[8:11], s[4:5], 0x0
	v_lshlrev_b32_e32 v9, 2, v0
	v_lshlrev_b32_e64 v2, v1, 1
	v_add_nc_u32_e32 v6, 0, v9
	v_lshl_add_u32 v8, v1, 7, v6
	s_waitcnt lgkmcnt(0)
	s_and_b32 s16, s0, 0xffff
	s_lshr_b32 s14, s0, 16
	v_mad_u64_u32 v[3:4], null, s6, s16, v[0:1]
	s_clause 0x1
	s_load_dwordx2 s[2:3], s[4:5], 0x10
	s_load_dword s6, s[4:5], 0x28
	v_mad_u32_u24 v7, v1, s16, v0
	s_lshl_b32 s0, s14, 7
	s_mov_b32 s5, 0
	s_add_i32 s15, s0, 0
	v_add_nc_u32_e32 v9, s15, v9
	v_ashrrev_i32_e32 v4, 31, v3
	v_lshl_add_u32 v10, v7, 2, s15
	v_cmp_le_i32_e32 vcc_lo, s12, v3
	v_cmp_gt_i32_e64 s0, s12, v3
	v_lshlrev_b64 v[4:5], 1, v[3:4]
	v_ashrrev_i32_e32 v3, 31, v2
	v_add_co_u32 v11, s1, s10, v4
	v_add_co_ci_u32_e64 v12, null, s11, v5, s1
	s_waitcnt lgkmcnt(0)
	v_add_co_u32 v13, s1, s2, v4
	v_add_co_ci_u32_e64 v14, null, s3, v5, s1
	s_mul_i32 s10, s16, s14
	s_mov_b32 s16, 0
	s_branch .LBB4_3
.LBB4_2:                                ;   in Loop: Header=BB4_3 Depth=1
	s_cmp_lt_i32 s16, s7
	s_cbranch_scc0 .LBB4_18
.LBB4_3:                                ; =>This Loop Header: Depth=1
                                        ;     Child Loop BB4_7 Depth 2
                                        ;       Child Loop BB4_15 Depth 3
	s_mov_b32 s11, s16
	s_mov_b32 s2, exec_lo
	v_add_nc_u32_e32 v4, s11, v7
	v_cmpx_gt_i32_e64 s7, v4
	s_cbranch_execz .LBB4_5
; %bb.4:                                ;   in Loop: Header=BB4_3 Depth=1
	v_ashrrev_i32_e32 v5, 31, v4
	v_lshlrev_b64 v[4:5], 2, v[4:5]
	v_add_co_u32 v4, s1, s8, v4
	v_add_co_ci_u32_e64 v5, null, s9, v5, s1
	global_load_dword v4, v[4:5], off
	s_waitcnt vmcnt(0)
	ds_write_b32 v10, v4
.LBB4_5:                                ;   in Loop: Header=BB4_3 Depth=1
	s_or_b32 exec_lo, exec_lo, s2
	s_add_i32 s16, s11, s10
	s_mov_b32 s18, s11
	s_min_u32 s17, s16, s7
	s_cmp_ge_i32 s11, s17
	s_cbranch_scc0 .LBB4_7
	s_branch .LBB4_2
.LBB4_6:                                ;   in Loop: Header=BB4_7 Depth=2
	s_or_b32 exec_lo, exec_lo, s2
	s_add_i32 s18, s18, s14
	s_cmp_ge_i32 s18, s17
	s_cbranch_scc1 .LBB4_2
.LBB4_7:                                ;   Parent Loop BB4_3 Depth=1
                                        ; =>  This Loop Header: Depth=2
                                        ;       Child Loop BB4_15 Depth 3
	v_add_nc_u32_e32 v4, s18, v1
	s_waitcnt lgkmcnt(0)
	s_barrier
	buffer_gl0_inv
	v_subrev_nc_u32_e32 v5, s11, v4
	v_cmp_le_i32_e64 s1, s7, v4
	v_lshl_add_u32 v5, v5, 2, s15
	s_or_b32 s3, vcc_lo, s1
	ds_read_b32 v15, v5
	s_waitcnt lgkmcnt(0)
	v_cmp_eq_u32_e64 s2, s6, v15
	s_nor_b32 s3, s3, s2
	s_and_saveexec_b32 s4, s3
	s_cbranch_execz .LBB4_9
; %bb.8:                                ;   in Loop: Header=BB4_7 Depth=2
	v_ashrrev_i32_e32 v16, 31, v4
	v_mul_lo_u32 v17, s13, v4
	v_mad_u64_u32 v[4:5], null, s12, v4, 0
	v_mul_lo_u32 v16, s12, v16
	v_add3_u32 v5, v5, v16, v17
	v_lshlrev_b64 v[4:5], 1, v[4:5]
	v_add_co_u32 v4, s3, v11, v4
	v_add_co_ci_u32_e64 v5, null, v12, v5, s3
	global_load_ushort v4, v[4:5], off
	s_waitcnt vmcnt(0)
	v_cvt_f32_f16_e32 v4, v4
	ds_write_b32 v8, v4
.LBB4_9:                                ;   in Loop: Header=BB4_7 Depth=2
	s_or_b32 exec_lo, exec_lo, s4
	s_nor_b32 s1, s1, s2
	s_waitcnt lgkmcnt(0)
	s_barrier
	buffer_gl0_inv
	s_and_saveexec_b32 s2, s1
	s_cbranch_execz .LBB4_6
; %bb.10:                               ;   in Loop: Header=BB4_7 Depth=2
	s_sub_i32 s1, s17, s18
	s_mov_b32 s4, 0
	s_min_u32 s1, s1, s14
	s_mov_b32 s3, exec_lo
	v_cmpx_gt_u32_e64 s1, v0
	s_cbranch_execz .LBB4_12
; %bb.11:                               ;   in Loop: Header=BB4_7 Depth=2
	s_sub_i32 s1, s18, s11
	v_lshl_add_u32 v4, s1, 2, v9
	ds_read_b32 v4, v4
	s_waitcnt lgkmcnt(0)
	v_cmp_eq_u32_e64 s1, v15, v4
	s_and_b32 s4, s1, exec_lo
.LBB4_12:                               ;   in Loop: Header=BB4_7 Depth=2
	s_or_b32 exec_lo, exec_lo, s3
	v_cndmask_b32_e64 v4, 0, 1, s4
	v_cmp_ne_u32_e64 s4, 0, v4
	s_ff1_i32_b64 s1, s[4:5]
	s_cmp_lg_u32 s4, 0
	v_cmp_eq_u32_e64 s1, s1, v1
	s_cselect_b32 s3, -1, 0
	s_and_b32 s1, s3, s1
	s_and_b32 exec_lo, exec_lo, s1
	s_cbranch_execz .LBB4_6
; %bb.13:                               ;   in Loop: Header=BB4_7 Depth=2
	s_mov_b32 s3, exec_lo
	v_cmpx_ne_u64_e64 s[4:5], v[2:3]
	s_cbranch_execz .LBB4_16
; %bb.14:                               ;   in Loop: Header=BB4_7 Depth=2
	ds_read_b32 v16, v8
	v_xor_b32_e32 v4, s4, v2
	v_mov_b32_e32 v5, v3
	s_mov_b32 s4, 0
	.p2align	6
.LBB4_15:                               ;   Parent Loop BB4_3 Depth=1
                                        ;     Parent Loop BB4_7 Depth=2
                                        ; =>    This Inner Loop Header: Depth=3
	v_ffbl_b32_e32 v17, v5
	v_ffbl_b32_e32 v18, v4
	v_add_nc_u32_e32 v17, 32, v17
	v_min_u32_e32 v17, v18, v17
	v_lshl_add_u32 v18, v17, 7, v6
	v_lshlrev_b32_e64 v17, v17, 1
	ds_read_b32 v21, v18
	v_ashrrev_i32_e32 v18, 31, v17
	v_xor_b32_e32 v19, v4, v17
	v_xor_b32_e32 v20, v5, v18
	v_cmp_eq_u64_e64 s1, v[4:5], v[17:18]
	v_mov_b32_e32 v4, v19
	v_mov_b32_e32 v5, v20
	s_or_b32 s4, s1, s4
	s_waitcnt lgkmcnt(0)
	v_add_f32_e32 v16, v21, v16
	ds_write_b32 v8, v16
	s_andn2_b32 exec_lo, exec_lo, s4
	s_cbranch_execnz .LBB4_15
.LBB4_16:                               ;   in Loop: Header=BB4_7 Depth=2
	s_or_b32 exec_lo, exec_lo, s3
	s_and_b32 exec_lo, exec_lo, s0
	s_cbranch_execz .LBB4_6
; %bb.17:                               ;   in Loop: Header=BB4_7 Depth=2
	v_ashrrev_i32_e32 v16, 31, v15
	v_mul_lo_u32 v17, s13, v15
	v_mad_u64_u32 v[4:5], null, s12, v15, 0
	v_mul_lo_u32 v15, s12, v16
	ds_read_b32 v16, v8
	v_add3_u32 v5, v5, v15, v17
	v_lshlrev_b64 v[4:5], 1, v[4:5]
	v_add_co_u32 v4, s1, v13, v4
	v_add_co_ci_u32_e64 v5, null, v14, v5, s1
	s_waitcnt lgkmcnt(0)
	v_cvt_f16_f32_e32 v16, v16
	global_load_ushort v15, v[4:5], off
	s_waitcnt vmcnt(0)
	v_add_f16_e32 v15, v15, v16
	global_store_short v[4:5], v15, off
	s_branch .LBB4_6
.LBB4_18:
	s_endpgm
	.section	.rodata,"a",@progbits
	.p2align	6, 0x0
	.amdhsa_kernel _ZN2at6native12_GLOBAL__N_133embedding_backward_feature_kernelIN3c104HalfEfiEEvPKT1_PKT_PS8_ili
		.amdhsa_group_segment_fixed_size 0
		.amdhsa_private_segment_fixed_size 0
		.amdhsa_kernarg_size 304
		.amdhsa_user_sgpr_count 6
		.amdhsa_user_sgpr_private_segment_buffer 1
		.amdhsa_user_sgpr_dispatch_ptr 0
		.amdhsa_user_sgpr_queue_ptr 0
		.amdhsa_user_sgpr_kernarg_segment_ptr 1
		.amdhsa_user_sgpr_dispatch_id 0
		.amdhsa_user_sgpr_flat_scratch_init 0
		.amdhsa_user_sgpr_private_segment_size 0
		.amdhsa_wavefront_size32 1
		.amdhsa_uses_dynamic_stack 0
		.amdhsa_system_sgpr_private_segment_wavefront_offset 0
		.amdhsa_system_sgpr_workgroup_id_x 1
		.amdhsa_system_sgpr_workgroup_id_y 0
		.amdhsa_system_sgpr_workgroup_id_z 0
		.amdhsa_system_sgpr_workgroup_info 0
		.amdhsa_system_vgpr_workitem_id 1
		.amdhsa_next_free_vgpr 22
		.amdhsa_next_free_sgpr 19
		.amdhsa_reserve_vcc 1
		.amdhsa_reserve_flat_scratch 0
		.amdhsa_float_round_mode_32 0
		.amdhsa_float_round_mode_16_64 0
		.amdhsa_float_denorm_mode_32 3
		.amdhsa_float_denorm_mode_16_64 3
		.amdhsa_dx10_clamp 1
		.amdhsa_ieee_mode 1
		.amdhsa_fp16_overflow 0
		.amdhsa_workgroup_processor_mode 1
		.amdhsa_memory_ordered 1
		.amdhsa_forward_progress 1
		.amdhsa_shared_vgpr_count 0
		.amdhsa_exception_fp_ieee_invalid_op 0
		.amdhsa_exception_fp_denorm_src 0
		.amdhsa_exception_fp_ieee_div_zero 0
		.amdhsa_exception_fp_ieee_overflow 0
		.amdhsa_exception_fp_ieee_underflow 0
		.amdhsa_exception_fp_ieee_inexact 0
		.amdhsa_exception_int_div_zero 0
	.end_amdhsa_kernel
	.section	.text._ZN2at6native12_GLOBAL__N_133embedding_backward_feature_kernelIN3c104HalfEfiEEvPKT1_PKT_PS8_ili,"axG",@progbits,_ZN2at6native12_GLOBAL__N_133embedding_backward_feature_kernelIN3c104HalfEfiEEvPKT1_PKT_PS8_ili,comdat
.Lfunc_end4:
	.size	_ZN2at6native12_GLOBAL__N_133embedding_backward_feature_kernelIN3c104HalfEfiEEvPKT1_PKT_PS8_ili, .Lfunc_end4-_ZN2at6native12_GLOBAL__N_133embedding_backward_feature_kernelIN3c104HalfEfiEEvPKT1_PKT_PS8_ili
                                        ; -- End function
	.set _ZN2at6native12_GLOBAL__N_133embedding_backward_feature_kernelIN3c104HalfEfiEEvPKT1_PKT_PS8_ili.num_vgpr, 22
	.set _ZN2at6native12_GLOBAL__N_133embedding_backward_feature_kernelIN3c104HalfEfiEEvPKT1_PKT_PS8_ili.num_agpr, 0
	.set _ZN2at6native12_GLOBAL__N_133embedding_backward_feature_kernelIN3c104HalfEfiEEvPKT1_PKT_PS8_ili.numbered_sgpr, 19
	.set _ZN2at6native12_GLOBAL__N_133embedding_backward_feature_kernelIN3c104HalfEfiEEvPKT1_PKT_PS8_ili.num_named_barrier, 0
	.set _ZN2at6native12_GLOBAL__N_133embedding_backward_feature_kernelIN3c104HalfEfiEEvPKT1_PKT_PS8_ili.private_seg_size, 0
	.set _ZN2at6native12_GLOBAL__N_133embedding_backward_feature_kernelIN3c104HalfEfiEEvPKT1_PKT_PS8_ili.uses_vcc, 1
	.set _ZN2at6native12_GLOBAL__N_133embedding_backward_feature_kernelIN3c104HalfEfiEEvPKT1_PKT_PS8_ili.uses_flat_scratch, 0
	.set _ZN2at6native12_GLOBAL__N_133embedding_backward_feature_kernelIN3c104HalfEfiEEvPKT1_PKT_PS8_ili.has_dyn_sized_stack, 0
	.set _ZN2at6native12_GLOBAL__N_133embedding_backward_feature_kernelIN3c104HalfEfiEEvPKT1_PKT_PS8_ili.has_recursion, 0
	.set _ZN2at6native12_GLOBAL__N_133embedding_backward_feature_kernelIN3c104HalfEfiEEvPKT1_PKT_PS8_ili.has_indirect_call, 0
	.section	.AMDGPU.csdata,"",@progbits
; Kernel info:
; codeLenInByte = 920
; TotalNumSgprs: 21
; NumVgprs: 22
; ScratchSize: 0
; MemoryBound: 0
; FloatMode: 240
; IeeeMode: 1
; LDSByteSize: 0 bytes/workgroup (compile time only)
; SGPRBlocks: 0
; VGPRBlocks: 2
; NumSGPRsForWavesPerEU: 21
; NumVGPRsForWavesPerEU: 22
; Occupancy: 16
; WaveLimiterHint : 0
; COMPUTE_PGM_RSRC2:SCRATCH_EN: 0
; COMPUTE_PGM_RSRC2:USER_SGPR: 6
; COMPUTE_PGM_RSRC2:TRAP_HANDLER: 0
; COMPUTE_PGM_RSRC2:TGID_X_EN: 1
; COMPUTE_PGM_RSRC2:TGID_Y_EN: 0
; COMPUTE_PGM_RSRC2:TGID_Z_EN: 0
; COMPUTE_PGM_RSRC2:TIDIG_COMP_CNT: 1
	.section	.text._ZN2at6native12_GLOBAL__N_133embedding_backward_feature_kernelIN3c104HalfEflEEvPKT1_PKT_PS8_ili,"axG",@progbits,_ZN2at6native12_GLOBAL__N_133embedding_backward_feature_kernelIN3c104HalfEflEEvPKT1_PKT_PS8_ili,comdat
	.globl	_ZN2at6native12_GLOBAL__N_133embedding_backward_feature_kernelIN3c104HalfEflEEvPKT1_PKT_PS8_ili ; -- Begin function _ZN2at6native12_GLOBAL__N_133embedding_backward_feature_kernelIN3c104HalfEflEEvPKT1_PKT_PS8_ili
	.p2align	8
	.type	_ZN2at6native12_GLOBAL__N_133embedding_backward_feature_kernelIN3c104HalfEflEEvPKT1_PKT_PS8_ili,@function
_ZN2at6native12_GLOBAL__N_133embedding_backward_feature_kernelIN3c104HalfEflEEvPKT1_PKT_PS8_ili: ; @_ZN2at6native12_GLOBAL__N_133embedding_backward_feature_kernelIN3c104HalfEflEEvPKT1_PKT_PS8_ili
; %bb.0:
	s_load_dword s7, s[4:5], 0x18
	s_waitcnt lgkmcnt(0)
	s_cmp_lt_i32 s7, 1
	s_cbranch_scc1 .LBB5_18
; %bb.1:
	s_clause 0x2
	s_load_dword s0, s[4:5], 0x3c
	s_load_dwordx2 s[12:13], s[4:5], 0x20
	s_load_dwordx4 s[8:11], s[4:5], 0x0
	v_lshlrev_b32_e32 v9, 2, v0
	v_lshlrev_b32_e64 v2, v1, 1
	v_add_nc_u32_e32 v6, 0, v9
	v_lshl_add_u32 v8, v1, 7, v6
	s_waitcnt lgkmcnt(0)
	s_and_b32 s16, s0, 0xffff
	s_lshr_b32 s14, s0, 16
	v_mad_u64_u32 v[3:4], null, s6, s16, v[0:1]
	s_clause 0x1
	s_load_dwordx2 s[2:3], s[4:5], 0x10
	s_load_dword s6, s[4:5], 0x28
	v_mad_u32_u24 v7, v1, s16, v0
	s_lshl_b32 s0, s14, 7
	s_mov_b32 s5, 0
	s_add_i32 s15, s0, 0
	v_add_nc_u32_e32 v9, s15, v9
	v_ashrrev_i32_e32 v4, 31, v3
	v_lshl_add_u32 v10, v7, 2, s15
	v_cmp_le_i32_e32 vcc_lo, s12, v3
	v_cmp_gt_i32_e64 s0, s12, v3
	v_lshlrev_b64 v[4:5], 1, v[3:4]
	v_ashrrev_i32_e32 v3, 31, v2
	v_add_co_u32 v11, s1, s10, v4
	v_add_co_ci_u32_e64 v12, null, s11, v5, s1
	s_waitcnt lgkmcnt(0)
	v_add_co_u32 v13, s1, s2, v4
	v_add_co_ci_u32_e64 v14, null, s3, v5, s1
	s_mul_i32 s10, s16, s14
	s_mov_b32 s16, 0
	s_branch .LBB5_3
.LBB5_2:                                ;   in Loop: Header=BB5_3 Depth=1
	s_cmp_lt_i32 s16, s7
	s_cbranch_scc0 .LBB5_18
.LBB5_3:                                ; =>This Loop Header: Depth=1
                                        ;     Child Loop BB5_7 Depth 2
                                        ;       Child Loop BB5_15 Depth 3
	s_mov_b32 s11, s16
	s_mov_b32 s2, exec_lo
	v_add_nc_u32_e32 v4, s11, v7
	v_cmpx_gt_i32_e64 s7, v4
	s_cbranch_execz .LBB5_5
; %bb.4:                                ;   in Loop: Header=BB5_3 Depth=1
	v_ashrrev_i32_e32 v5, 31, v4
	v_lshlrev_b64 v[4:5], 3, v[4:5]
	v_add_co_u32 v4, s1, s8, v4
	v_add_co_ci_u32_e64 v5, null, s9, v5, s1
	global_load_dword v4, v[4:5], off
	s_waitcnt vmcnt(0)
	ds_write_b32 v10, v4
.LBB5_5:                                ;   in Loop: Header=BB5_3 Depth=1
	s_or_b32 exec_lo, exec_lo, s2
	s_add_i32 s16, s11, s10
	s_mov_b32 s18, s11
	s_min_u32 s17, s16, s7
	s_cmp_ge_i32 s11, s17
	s_cbranch_scc0 .LBB5_7
	s_branch .LBB5_2
.LBB5_6:                                ;   in Loop: Header=BB5_7 Depth=2
	s_or_b32 exec_lo, exec_lo, s2
	s_add_i32 s18, s18, s14
	s_cmp_ge_i32 s18, s17
	s_cbranch_scc1 .LBB5_2
.LBB5_7:                                ;   Parent Loop BB5_3 Depth=1
                                        ; =>  This Loop Header: Depth=2
                                        ;       Child Loop BB5_15 Depth 3
	v_add_nc_u32_e32 v4, s18, v1
	s_waitcnt lgkmcnt(0)
	s_barrier
	buffer_gl0_inv
	v_subrev_nc_u32_e32 v5, s11, v4
	v_cmp_le_i32_e64 s1, s7, v4
	v_lshl_add_u32 v5, v5, 2, s15
	s_or_b32 s3, vcc_lo, s1
	ds_read_b32 v15, v5
	s_waitcnt lgkmcnt(0)
	v_cmp_eq_u32_e64 s2, s6, v15
	s_nor_b32 s3, s3, s2
	s_and_saveexec_b32 s4, s3
	s_cbranch_execz .LBB5_9
; %bb.8:                                ;   in Loop: Header=BB5_7 Depth=2
	v_ashrrev_i32_e32 v16, 31, v4
	v_mul_lo_u32 v17, s13, v4
	v_mad_u64_u32 v[4:5], null, s12, v4, 0
	v_mul_lo_u32 v16, s12, v16
	v_add3_u32 v5, v5, v16, v17
	v_lshlrev_b64 v[4:5], 1, v[4:5]
	v_add_co_u32 v4, s3, v11, v4
	v_add_co_ci_u32_e64 v5, null, v12, v5, s3
	global_load_ushort v4, v[4:5], off
	s_waitcnt vmcnt(0)
	v_cvt_f32_f16_e32 v4, v4
	ds_write_b32 v8, v4
.LBB5_9:                                ;   in Loop: Header=BB5_7 Depth=2
	s_or_b32 exec_lo, exec_lo, s4
	s_nor_b32 s1, s1, s2
	s_waitcnt lgkmcnt(0)
	s_barrier
	buffer_gl0_inv
	s_and_saveexec_b32 s2, s1
	s_cbranch_execz .LBB5_6
; %bb.10:                               ;   in Loop: Header=BB5_7 Depth=2
	s_sub_i32 s1, s17, s18
	s_mov_b32 s4, 0
	s_min_u32 s1, s1, s14
	s_mov_b32 s3, exec_lo
	v_cmpx_gt_u32_e64 s1, v0
	s_cbranch_execz .LBB5_12
; %bb.11:                               ;   in Loop: Header=BB5_7 Depth=2
	s_sub_i32 s1, s18, s11
	v_lshl_add_u32 v4, s1, 2, v9
	ds_read_b32 v4, v4
	s_waitcnt lgkmcnt(0)
	v_cmp_eq_u32_e64 s1, v15, v4
	s_and_b32 s4, s1, exec_lo
.LBB5_12:                               ;   in Loop: Header=BB5_7 Depth=2
	s_or_b32 exec_lo, exec_lo, s3
	v_cndmask_b32_e64 v4, 0, 1, s4
	v_cmp_ne_u32_e64 s4, 0, v4
	s_ff1_i32_b64 s1, s[4:5]
	s_cmp_lg_u32 s4, 0
	v_cmp_eq_u32_e64 s1, s1, v1
	s_cselect_b32 s3, -1, 0
	s_and_b32 s1, s3, s1
	s_and_b32 exec_lo, exec_lo, s1
	s_cbranch_execz .LBB5_6
; %bb.13:                               ;   in Loop: Header=BB5_7 Depth=2
	s_mov_b32 s3, exec_lo
	v_cmpx_ne_u64_e64 s[4:5], v[2:3]
	s_cbranch_execz .LBB5_16
; %bb.14:                               ;   in Loop: Header=BB5_7 Depth=2
	ds_read_b32 v16, v8
	v_xor_b32_e32 v4, s4, v2
	v_mov_b32_e32 v5, v3
	s_mov_b32 s4, 0
	.p2align	6
.LBB5_15:                               ;   Parent Loop BB5_3 Depth=1
                                        ;     Parent Loop BB5_7 Depth=2
                                        ; =>    This Inner Loop Header: Depth=3
	v_ffbl_b32_e32 v17, v5
	v_ffbl_b32_e32 v18, v4
	v_add_nc_u32_e32 v17, 32, v17
	v_min_u32_e32 v17, v18, v17
	v_lshl_add_u32 v18, v17, 7, v6
	v_lshlrev_b32_e64 v17, v17, 1
	ds_read_b32 v21, v18
	v_ashrrev_i32_e32 v18, 31, v17
	v_xor_b32_e32 v19, v4, v17
	v_xor_b32_e32 v20, v5, v18
	v_cmp_eq_u64_e64 s1, v[4:5], v[17:18]
	v_mov_b32_e32 v4, v19
	v_mov_b32_e32 v5, v20
	s_or_b32 s4, s1, s4
	s_waitcnt lgkmcnt(0)
	v_add_f32_e32 v16, v21, v16
	ds_write_b32 v8, v16
	s_andn2_b32 exec_lo, exec_lo, s4
	s_cbranch_execnz .LBB5_15
.LBB5_16:                               ;   in Loop: Header=BB5_7 Depth=2
	s_or_b32 exec_lo, exec_lo, s3
	s_and_b32 exec_lo, exec_lo, s0
	s_cbranch_execz .LBB5_6
; %bb.17:                               ;   in Loop: Header=BB5_7 Depth=2
	v_ashrrev_i32_e32 v16, 31, v15
	v_mul_lo_u32 v17, s13, v15
	v_mad_u64_u32 v[4:5], null, s12, v15, 0
	v_mul_lo_u32 v15, s12, v16
	ds_read_b32 v16, v8
	v_add3_u32 v5, v5, v15, v17
	v_lshlrev_b64 v[4:5], 1, v[4:5]
	v_add_co_u32 v4, s1, v13, v4
	v_add_co_ci_u32_e64 v5, null, v14, v5, s1
	s_waitcnt lgkmcnt(0)
	v_cvt_f16_f32_e32 v16, v16
	global_load_ushort v15, v[4:5], off
	s_waitcnt vmcnt(0)
	v_add_f16_e32 v15, v15, v16
	global_store_short v[4:5], v15, off
	s_branch .LBB5_6
.LBB5_18:
	s_endpgm
	.section	.rodata,"a",@progbits
	.p2align	6, 0x0
	.amdhsa_kernel _ZN2at6native12_GLOBAL__N_133embedding_backward_feature_kernelIN3c104HalfEflEEvPKT1_PKT_PS8_ili
		.amdhsa_group_segment_fixed_size 0
		.amdhsa_private_segment_fixed_size 0
		.amdhsa_kernarg_size 304
		.amdhsa_user_sgpr_count 6
		.amdhsa_user_sgpr_private_segment_buffer 1
		.amdhsa_user_sgpr_dispatch_ptr 0
		.amdhsa_user_sgpr_queue_ptr 0
		.amdhsa_user_sgpr_kernarg_segment_ptr 1
		.amdhsa_user_sgpr_dispatch_id 0
		.amdhsa_user_sgpr_flat_scratch_init 0
		.amdhsa_user_sgpr_private_segment_size 0
		.amdhsa_wavefront_size32 1
		.amdhsa_uses_dynamic_stack 0
		.amdhsa_system_sgpr_private_segment_wavefront_offset 0
		.amdhsa_system_sgpr_workgroup_id_x 1
		.amdhsa_system_sgpr_workgroup_id_y 0
		.amdhsa_system_sgpr_workgroup_id_z 0
		.amdhsa_system_sgpr_workgroup_info 0
		.amdhsa_system_vgpr_workitem_id 1
		.amdhsa_next_free_vgpr 22
		.amdhsa_next_free_sgpr 19
		.amdhsa_reserve_vcc 1
		.amdhsa_reserve_flat_scratch 0
		.amdhsa_float_round_mode_32 0
		.amdhsa_float_round_mode_16_64 0
		.amdhsa_float_denorm_mode_32 3
		.amdhsa_float_denorm_mode_16_64 3
		.amdhsa_dx10_clamp 1
		.amdhsa_ieee_mode 1
		.amdhsa_fp16_overflow 0
		.amdhsa_workgroup_processor_mode 1
		.amdhsa_memory_ordered 1
		.amdhsa_forward_progress 1
		.amdhsa_shared_vgpr_count 0
		.amdhsa_exception_fp_ieee_invalid_op 0
		.amdhsa_exception_fp_denorm_src 0
		.amdhsa_exception_fp_ieee_div_zero 0
		.amdhsa_exception_fp_ieee_overflow 0
		.amdhsa_exception_fp_ieee_underflow 0
		.amdhsa_exception_fp_ieee_inexact 0
		.amdhsa_exception_int_div_zero 0
	.end_amdhsa_kernel
	.section	.text._ZN2at6native12_GLOBAL__N_133embedding_backward_feature_kernelIN3c104HalfEflEEvPKT1_PKT_PS8_ili,"axG",@progbits,_ZN2at6native12_GLOBAL__N_133embedding_backward_feature_kernelIN3c104HalfEflEEvPKT1_PKT_PS8_ili,comdat
.Lfunc_end5:
	.size	_ZN2at6native12_GLOBAL__N_133embedding_backward_feature_kernelIN3c104HalfEflEEvPKT1_PKT_PS8_ili, .Lfunc_end5-_ZN2at6native12_GLOBAL__N_133embedding_backward_feature_kernelIN3c104HalfEflEEvPKT1_PKT_PS8_ili
                                        ; -- End function
	.set _ZN2at6native12_GLOBAL__N_133embedding_backward_feature_kernelIN3c104HalfEflEEvPKT1_PKT_PS8_ili.num_vgpr, 22
	.set _ZN2at6native12_GLOBAL__N_133embedding_backward_feature_kernelIN3c104HalfEflEEvPKT1_PKT_PS8_ili.num_agpr, 0
	.set _ZN2at6native12_GLOBAL__N_133embedding_backward_feature_kernelIN3c104HalfEflEEvPKT1_PKT_PS8_ili.numbered_sgpr, 19
	.set _ZN2at6native12_GLOBAL__N_133embedding_backward_feature_kernelIN3c104HalfEflEEvPKT1_PKT_PS8_ili.num_named_barrier, 0
	.set _ZN2at6native12_GLOBAL__N_133embedding_backward_feature_kernelIN3c104HalfEflEEvPKT1_PKT_PS8_ili.private_seg_size, 0
	.set _ZN2at6native12_GLOBAL__N_133embedding_backward_feature_kernelIN3c104HalfEflEEvPKT1_PKT_PS8_ili.uses_vcc, 1
	.set _ZN2at6native12_GLOBAL__N_133embedding_backward_feature_kernelIN3c104HalfEflEEvPKT1_PKT_PS8_ili.uses_flat_scratch, 0
	.set _ZN2at6native12_GLOBAL__N_133embedding_backward_feature_kernelIN3c104HalfEflEEvPKT1_PKT_PS8_ili.has_dyn_sized_stack, 0
	.set _ZN2at6native12_GLOBAL__N_133embedding_backward_feature_kernelIN3c104HalfEflEEvPKT1_PKT_PS8_ili.has_recursion, 0
	.set _ZN2at6native12_GLOBAL__N_133embedding_backward_feature_kernelIN3c104HalfEflEEvPKT1_PKT_PS8_ili.has_indirect_call, 0
	.section	.AMDGPU.csdata,"",@progbits
; Kernel info:
; codeLenInByte = 920
; TotalNumSgprs: 21
; NumVgprs: 22
; ScratchSize: 0
; MemoryBound: 0
; FloatMode: 240
; IeeeMode: 1
; LDSByteSize: 0 bytes/workgroup (compile time only)
; SGPRBlocks: 0
; VGPRBlocks: 2
; NumSGPRsForWavesPerEU: 21
; NumVGPRsForWavesPerEU: 22
; Occupancy: 16
; WaveLimiterHint : 0
; COMPUTE_PGM_RSRC2:SCRATCH_EN: 0
; COMPUTE_PGM_RSRC2:USER_SGPR: 6
; COMPUTE_PGM_RSRC2:TRAP_HANDLER: 0
; COMPUTE_PGM_RSRC2:TGID_X_EN: 1
; COMPUTE_PGM_RSRC2:TGID_Y_EN: 0
; COMPUTE_PGM_RSRC2:TGID_Z_EN: 0
; COMPUTE_PGM_RSRC2:TIDIG_COMP_CNT: 1
	.section	.text._ZN2at6native12_GLOBAL__N_133embedding_backward_feature_kernelIN3c108BFloat16EfiEEvPKT1_PKT_PS8_ili,"axG",@progbits,_ZN2at6native12_GLOBAL__N_133embedding_backward_feature_kernelIN3c108BFloat16EfiEEvPKT1_PKT_PS8_ili,comdat
	.globl	_ZN2at6native12_GLOBAL__N_133embedding_backward_feature_kernelIN3c108BFloat16EfiEEvPKT1_PKT_PS8_ili ; -- Begin function _ZN2at6native12_GLOBAL__N_133embedding_backward_feature_kernelIN3c108BFloat16EfiEEvPKT1_PKT_PS8_ili
	.p2align	8
	.type	_ZN2at6native12_GLOBAL__N_133embedding_backward_feature_kernelIN3c108BFloat16EfiEEvPKT1_PKT_PS8_ili,@function
_ZN2at6native12_GLOBAL__N_133embedding_backward_feature_kernelIN3c108BFloat16EfiEEvPKT1_PKT_PS8_ili: ; @_ZN2at6native12_GLOBAL__N_133embedding_backward_feature_kernelIN3c108BFloat16EfiEEvPKT1_PKT_PS8_ili
; %bb.0:
	s_load_dword s7, s[4:5], 0x18
	s_waitcnt lgkmcnt(0)
	s_cmp_lt_i32 s7, 1
	s_cbranch_scc1 .LBB6_18
; %bb.1:
	s_clause 0x2
	s_load_dword s0, s[4:5], 0x3c
	s_load_dwordx4 s[8:11], s[4:5], 0x0
	s_load_dwordx2 s[12:13], s[4:5], 0x20
	v_lshlrev_b32_e32 v9, 2, v0
	v_lshlrev_b32_e64 v2, v1, 1
	v_mov_b32_e32 v15, 0x7fc0
	v_add_nc_u32_e32 v6, 0, v9
	v_ashrrev_i32_e32 v3, 31, v2
	v_lshl_add_u32 v8, v1, 7, v6
	s_waitcnt lgkmcnt(0)
	s_and_b32 s16, s0, 0xffff
	s_lshr_b32 s14, s0, 16
	v_mad_u64_u32 v[4:5], null, s6, s16, v[0:1]
	s_clause 0x1
	s_load_dwordx2 s[2:3], s[4:5], 0x10
	s_load_dword s6, s[4:5], 0x28
	v_mad_u32_u24 v7, v1, s16, v0
	s_lshl_b32 s0, s14, 7
	s_mov_b32 s5, 0
	s_add_i32 s15, s0, 0
	v_add_nc_u32_e32 v9, s15, v9
	v_ashrrev_i32_e32 v5, 31, v4
	v_lshl_add_u32 v10, v7, 2, s15
	v_cmp_le_i32_e64 s0, s12, v4
	v_cmp_gt_i32_e64 s1, s12, v4
	v_lshlrev_b64 v[13:14], 1, v[4:5]
	v_add_co_u32 v11, vcc_lo, s10, v13
	v_add_co_ci_u32_e64 v12, null, s11, v14, vcc_lo
	s_waitcnt lgkmcnt(0)
	v_add_co_u32 v13, vcc_lo, s2, v13
	v_add_co_ci_u32_e64 v14, null, s3, v14, vcc_lo
	s_mul_i32 s10, s16, s14
	s_mov_b32 s16, 0
	s_branch .LBB6_3
.LBB6_2:                                ;   in Loop: Header=BB6_3 Depth=1
	s_cmp_lt_i32 s16, s7
	s_cbranch_scc0 .LBB6_18
.LBB6_3:                                ; =>This Loop Header: Depth=1
                                        ;     Child Loop BB6_7 Depth 2
                                        ;       Child Loop BB6_15 Depth 3
	s_mov_b32 s11, s16
	s_mov_b32 s2, exec_lo
	v_add_nc_u32_e32 v4, s11, v7
	v_cmpx_gt_i32_e64 s7, v4
	s_cbranch_execz .LBB6_5
; %bb.4:                                ;   in Loop: Header=BB6_3 Depth=1
	v_ashrrev_i32_e32 v5, 31, v4
	v_lshlrev_b64 v[4:5], 2, v[4:5]
	v_add_co_u32 v4, vcc_lo, s8, v4
	v_add_co_ci_u32_e64 v5, null, s9, v5, vcc_lo
	global_load_dword v4, v[4:5], off
	s_waitcnt vmcnt(0)
	ds_write_b32 v10, v4
.LBB6_5:                                ;   in Loop: Header=BB6_3 Depth=1
	s_or_b32 exec_lo, exec_lo, s2
	s_add_i32 s16, s11, s10
	s_mov_b32 s18, s11
	s_min_u32 s17, s16, s7
	s_cmp_ge_i32 s11, s17
	s_cbranch_scc0 .LBB6_7
	s_branch .LBB6_2
.LBB6_6:                                ;   in Loop: Header=BB6_7 Depth=2
	s_or_b32 exec_lo, exec_lo, s2
	s_add_i32 s18, s18, s14
	s_cmp_ge_i32 s18, s17
	s_cbranch_scc1 .LBB6_2
.LBB6_7:                                ;   Parent Loop BB6_3 Depth=1
                                        ; =>  This Loop Header: Depth=2
                                        ;       Child Loop BB6_15 Depth 3
	v_add_nc_u32_e32 v4, s18, v1
	s_waitcnt lgkmcnt(0)
	s_barrier
	buffer_gl0_inv
	v_subrev_nc_u32_e32 v5, s11, v4
	v_cmp_le_i32_e32 vcc_lo, s7, v4
	v_lshl_add_u32 v5, v5, 2, s15
	s_or_b32 s3, s0, vcc_lo
	ds_read_b32 v16, v5
	s_waitcnt lgkmcnt(0)
	v_cmp_eq_u32_e64 s2, s6, v16
	s_nor_b32 s3, s3, s2
	s_and_saveexec_b32 s4, s3
	s_cbranch_execz .LBB6_9
; %bb.8:                                ;   in Loop: Header=BB6_7 Depth=2
	v_ashrrev_i32_e32 v17, 31, v4
	v_mul_lo_u32 v18, s13, v4
	v_mad_u64_u32 v[4:5], null, s12, v4, 0
	v_mul_lo_u32 v17, s12, v17
	v_add3_u32 v5, v5, v17, v18
	v_lshlrev_b64 v[4:5], 1, v[4:5]
	v_add_co_u32 v4, s3, v11, v4
	v_add_co_ci_u32_e64 v5, null, v12, v5, s3
	global_load_ushort v4, v[4:5], off
	s_waitcnt vmcnt(0)
	v_lshlrev_b32_e32 v4, 16, v4
	ds_write_b32 v8, v4
.LBB6_9:                                ;   in Loop: Header=BB6_7 Depth=2
	s_or_b32 exec_lo, exec_lo, s4
	s_nor_b32 s3, vcc_lo, s2
	s_waitcnt lgkmcnt(0)
	s_barrier
	buffer_gl0_inv
	s_and_saveexec_b32 s2, s3
	s_cbranch_execz .LBB6_6
; %bb.10:                               ;   in Loop: Header=BB6_7 Depth=2
	s_sub_i32 s3, s17, s18
	s_mov_b32 s4, 0
	s_min_u32 s3, s3, s14
	v_cmp_gt_u32_e32 vcc_lo, s3, v0
	s_and_saveexec_b32 s3, vcc_lo
	s_cbranch_execz .LBB6_12
; %bb.11:                               ;   in Loop: Header=BB6_7 Depth=2
	s_sub_i32 s4, s18, s11
	v_lshl_add_u32 v4, s4, 2, v9
	ds_read_b32 v4, v4
	s_waitcnt lgkmcnt(0)
	v_cmp_eq_u32_e32 vcc_lo, v16, v4
	s_and_b32 s4, vcc_lo, exec_lo
.LBB6_12:                               ;   in Loop: Header=BB6_7 Depth=2
	s_or_b32 exec_lo, exec_lo, s3
	v_cndmask_b32_e64 v4, 0, 1, s4
	v_cmp_ne_u32_e64 s4, 0, v4
	s_ff1_i32_b64 s3, s[4:5]
	s_cmp_lg_u32 s4, 0
	v_cmp_eq_u32_e32 vcc_lo, s3, v1
	s_cselect_b32 s3, -1, 0
	s_and_b32 s3, s3, vcc_lo
	s_and_b32 exec_lo, exec_lo, s3
	s_cbranch_execz .LBB6_6
; %bb.13:                               ;   in Loop: Header=BB6_7 Depth=2
	s_mov_b32 s3, exec_lo
	v_cmpx_ne_u64_e64 s[4:5], v[2:3]
	s_cbranch_execz .LBB6_16
; %bb.14:                               ;   in Loop: Header=BB6_7 Depth=2
	ds_read_b32 v17, v8
	v_xor_b32_e32 v4, s4, v2
	v_mov_b32_e32 v5, v3
	s_mov_b32 s4, 0
	.p2align	6
.LBB6_15:                               ;   Parent Loop BB6_3 Depth=1
                                        ;     Parent Loop BB6_7 Depth=2
                                        ; =>    This Inner Loop Header: Depth=3
	v_ffbl_b32_e32 v18, v5
	v_ffbl_b32_e32 v19, v4
	v_add_nc_u32_e32 v18, 32, v18
	v_min_u32_e32 v18, v19, v18
	v_lshl_add_u32 v19, v18, 7, v6
	v_lshlrev_b32_e64 v18, v18, 1
	ds_read_b32 v22, v19
	v_ashrrev_i32_e32 v19, 31, v18
	v_xor_b32_e32 v20, v4, v18
	v_xor_b32_e32 v21, v5, v19
	v_cmp_eq_u64_e32 vcc_lo, v[4:5], v[18:19]
	v_mov_b32_e32 v4, v20
	v_mov_b32_e32 v5, v21
	s_or_b32 s4, vcc_lo, s4
	s_waitcnt lgkmcnt(0)
	v_add_f32_e32 v17, v22, v17
	ds_write_b32 v8, v17
	s_andn2_b32 exec_lo, exec_lo, s4
	s_cbranch_execnz .LBB6_15
.LBB6_16:                               ;   in Loop: Header=BB6_7 Depth=2
	s_or_b32 exec_lo, exec_lo, s3
	s_and_b32 exec_lo, exec_lo, s1
	s_cbranch_execz .LBB6_6
; %bb.17:                               ;   in Loop: Header=BB6_7 Depth=2
	v_ashrrev_i32_e32 v17, 31, v16
	v_mul_lo_u32 v18, s13, v16
	v_mad_u64_u32 v[4:5], null, s12, v16, 0
	v_mul_lo_u32 v16, s12, v17
	ds_read_b32 v17, v8
	v_add3_u32 v5, v5, v16, v18
	v_lshlrev_b64 v[4:5], 1, v[4:5]
	v_add_co_u32 v4, vcc_lo, v13, v4
	v_add_co_ci_u32_e64 v5, null, v14, v5, vcc_lo
	s_waitcnt lgkmcnt(0)
	v_bfe_u32 v18, v17, 16, 1
	v_cmp_o_f32_e32 vcc_lo, v17, v17
	global_load_ushort v16, v[4:5], off
	v_add3_u32 v18, v17, v18, 0x7fff
	v_and_b32_e32 v18, 0xffff0000, v18
	v_cndmask_b32_e32 v17, 0x7fc00000, v18, vcc_lo
	s_waitcnt vmcnt(0)
	v_lshlrev_b32_e32 v16, 16, v16
	v_add_f32_e32 v16, v17, v16
	v_bfe_u32 v17, v16, 16, 1
	v_cmp_o_f32_e32 vcc_lo, v16, v16
	v_add3_u32 v16, v16, v17, 0x7fff
	v_cndmask_b32_sdwa v16, v15, v16, vcc_lo dst_sel:DWORD dst_unused:UNUSED_PAD src0_sel:DWORD src1_sel:WORD_1
	global_store_short v[4:5], v16, off
	s_branch .LBB6_6
.LBB6_18:
	s_endpgm
	.section	.rodata,"a",@progbits
	.p2align	6, 0x0
	.amdhsa_kernel _ZN2at6native12_GLOBAL__N_133embedding_backward_feature_kernelIN3c108BFloat16EfiEEvPKT1_PKT_PS8_ili
		.amdhsa_group_segment_fixed_size 0
		.amdhsa_private_segment_fixed_size 0
		.amdhsa_kernarg_size 304
		.amdhsa_user_sgpr_count 6
		.amdhsa_user_sgpr_private_segment_buffer 1
		.amdhsa_user_sgpr_dispatch_ptr 0
		.amdhsa_user_sgpr_queue_ptr 0
		.amdhsa_user_sgpr_kernarg_segment_ptr 1
		.amdhsa_user_sgpr_dispatch_id 0
		.amdhsa_user_sgpr_flat_scratch_init 0
		.amdhsa_user_sgpr_private_segment_size 0
		.amdhsa_wavefront_size32 1
		.amdhsa_uses_dynamic_stack 0
		.amdhsa_system_sgpr_private_segment_wavefront_offset 0
		.amdhsa_system_sgpr_workgroup_id_x 1
		.amdhsa_system_sgpr_workgroup_id_y 0
		.amdhsa_system_sgpr_workgroup_id_z 0
		.amdhsa_system_sgpr_workgroup_info 0
		.amdhsa_system_vgpr_workitem_id 1
		.amdhsa_next_free_vgpr 23
		.amdhsa_next_free_sgpr 19
		.amdhsa_reserve_vcc 1
		.amdhsa_reserve_flat_scratch 0
		.amdhsa_float_round_mode_32 0
		.amdhsa_float_round_mode_16_64 0
		.amdhsa_float_denorm_mode_32 3
		.amdhsa_float_denorm_mode_16_64 3
		.amdhsa_dx10_clamp 1
		.amdhsa_ieee_mode 1
		.amdhsa_fp16_overflow 0
		.amdhsa_workgroup_processor_mode 1
		.amdhsa_memory_ordered 1
		.amdhsa_forward_progress 1
		.amdhsa_shared_vgpr_count 0
		.amdhsa_exception_fp_ieee_invalid_op 0
		.amdhsa_exception_fp_denorm_src 0
		.amdhsa_exception_fp_ieee_div_zero 0
		.amdhsa_exception_fp_ieee_overflow 0
		.amdhsa_exception_fp_ieee_underflow 0
		.amdhsa_exception_fp_ieee_inexact 0
		.amdhsa_exception_int_div_zero 0
	.end_amdhsa_kernel
	.section	.text._ZN2at6native12_GLOBAL__N_133embedding_backward_feature_kernelIN3c108BFloat16EfiEEvPKT1_PKT_PS8_ili,"axG",@progbits,_ZN2at6native12_GLOBAL__N_133embedding_backward_feature_kernelIN3c108BFloat16EfiEEvPKT1_PKT_PS8_ili,comdat
.Lfunc_end6:
	.size	_ZN2at6native12_GLOBAL__N_133embedding_backward_feature_kernelIN3c108BFloat16EfiEEvPKT1_PKT_PS8_ili, .Lfunc_end6-_ZN2at6native12_GLOBAL__N_133embedding_backward_feature_kernelIN3c108BFloat16EfiEEvPKT1_PKT_PS8_ili
                                        ; -- End function
	.set _ZN2at6native12_GLOBAL__N_133embedding_backward_feature_kernelIN3c108BFloat16EfiEEvPKT1_PKT_PS8_ili.num_vgpr, 23
	.set _ZN2at6native12_GLOBAL__N_133embedding_backward_feature_kernelIN3c108BFloat16EfiEEvPKT1_PKT_PS8_ili.num_agpr, 0
	.set _ZN2at6native12_GLOBAL__N_133embedding_backward_feature_kernelIN3c108BFloat16EfiEEvPKT1_PKT_PS8_ili.numbered_sgpr, 19
	.set _ZN2at6native12_GLOBAL__N_133embedding_backward_feature_kernelIN3c108BFloat16EfiEEvPKT1_PKT_PS8_ili.num_named_barrier, 0
	.set _ZN2at6native12_GLOBAL__N_133embedding_backward_feature_kernelIN3c108BFloat16EfiEEvPKT1_PKT_PS8_ili.private_seg_size, 0
	.set _ZN2at6native12_GLOBAL__N_133embedding_backward_feature_kernelIN3c108BFloat16EfiEEvPKT1_PKT_PS8_ili.uses_vcc, 1
	.set _ZN2at6native12_GLOBAL__N_133embedding_backward_feature_kernelIN3c108BFloat16EfiEEvPKT1_PKT_PS8_ili.uses_flat_scratch, 0
	.set _ZN2at6native12_GLOBAL__N_133embedding_backward_feature_kernelIN3c108BFloat16EfiEEvPKT1_PKT_PS8_ili.has_dyn_sized_stack, 0
	.set _ZN2at6native12_GLOBAL__N_133embedding_backward_feature_kernelIN3c108BFloat16EfiEEvPKT1_PKT_PS8_ili.has_recursion, 0
	.set _ZN2at6native12_GLOBAL__N_133embedding_backward_feature_kernelIN3c108BFloat16EfiEEvPKT1_PKT_PS8_ili.has_indirect_call, 0
	.section	.AMDGPU.csdata,"",@progbits
; Kernel info:
; codeLenInByte = 988
; TotalNumSgprs: 21
; NumVgprs: 23
; ScratchSize: 0
; MemoryBound: 0
; FloatMode: 240
; IeeeMode: 1
; LDSByteSize: 0 bytes/workgroup (compile time only)
; SGPRBlocks: 0
; VGPRBlocks: 2
; NumSGPRsForWavesPerEU: 21
; NumVGPRsForWavesPerEU: 23
; Occupancy: 16
; WaveLimiterHint : 0
; COMPUTE_PGM_RSRC2:SCRATCH_EN: 0
; COMPUTE_PGM_RSRC2:USER_SGPR: 6
; COMPUTE_PGM_RSRC2:TRAP_HANDLER: 0
; COMPUTE_PGM_RSRC2:TGID_X_EN: 1
; COMPUTE_PGM_RSRC2:TGID_Y_EN: 0
; COMPUTE_PGM_RSRC2:TGID_Z_EN: 0
; COMPUTE_PGM_RSRC2:TIDIG_COMP_CNT: 1
	.section	.text._ZN2at6native12_GLOBAL__N_133embedding_backward_feature_kernelIN3c108BFloat16EflEEvPKT1_PKT_PS8_ili,"axG",@progbits,_ZN2at6native12_GLOBAL__N_133embedding_backward_feature_kernelIN3c108BFloat16EflEEvPKT1_PKT_PS8_ili,comdat
	.globl	_ZN2at6native12_GLOBAL__N_133embedding_backward_feature_kernelIN3c108BFloat16EflEEvPKT1_PKT_PS8_ili ; -- Begin function _ZN2at6native12_GLOBAL__N_133embedding_backward_feature_kernelIN3c108BFloat16EflEEvPKT1_PKT_PS8_ili
	.p2align	8
	.type	_ZN2at6native12_GLOBAL__N_133embedding_backward_feature_kernelIN3c108BFloat16EflEEvPKT1_PKT_PS8_ili,@function
_ZN2at6native12_GLOBAL__N_133embedding_backward_feature_kernelIN3c108BFloat16EflEEvPKT1_PKT_PS8_ili: ; @_ZN2at6native12_GLOBAL__N_133embedding_backward_feature_kernelIN3c108BFloat16EflEEvPKT1_PKT_PS8_ili
; %bb.0:
	s_load_dword s7, s[4:5], 0x18
	s_waitcnt lgkmcnt(0)
	s_cmp_lt_i32 s7, 1
	s_cbranch_scc1 .LBB7_18
; %bb.1:
	s_clause 0x2
	s_load_dword s0, s[4:5], 0x3c
	s_load_dwordx4 s[8:11], s[4:5], 0x0
	s_load_dwordx2 s[12:13], s[4:5], 0x20
	v_lshlrev_b32_e32 v9, 2, v0
	v_lshlrev_b32_e64 v2, v1, 1
	v_mov_b32_e32 v15, 0x7fc0
	v_add_nc_u32_e32 v6, 0, v9
	v_ashrrev_i32_e32 v3, 31, v2
	v_lshl_add_u32 v8, v1, 7, v6
	s_waitcnt lgkmcnt(0)
	s_and_b32 s16, s0, 0xffff
	s_lshr_b32 s14, s0, 16
	v_mad_u64_u32 v[4:5], null, s6, s16, v[0:1]
	s_clause 0x1
	s_load_dwordx2 s[2:3], s[4:5], 0x10
	s_load_dword s6, s[4:5], 0x28
	v_mad_u32_u24 v7, v1, s16, v0
	s_lshl_b32 s0, s14, 7
	s_mov_b32 s5, 0
	s_add_i32 s15, s0, 0
	v_add_nc_u32_e32 v9, s15, v9
	v_ashrrev_i32_e32 v5, 31, v4
	v_lshl_add_u32 v10, v7, 2, s15
	v_cmp_le_i32_e64 s0, s12, v4
	v_cmp_gt_i32_e64 s1, s12, v4
	v_lshlrev_b64 v[13:14], 1, v[4:5]
	v_add_co_u32 v11, vcc_lo, s10, v13
	v_add_co_ci_u32_e64 v12, null, s11, v14, vcc_lo
	s_waitcnt lgkmcnt(0)
	v_add_co_u32 v13, vcc_lo, s2, v13
	v_add_co_ci_u32_e64 v14, null, s3, v14, vcc_lo
	s_mul_i32 s10, s16, s14
	s_mov_b32 s16, 0
	s_branch .LBB7_3
.LBB7_2:                                ;   in Loop: Header=BB7_3 Depth=1
	s_cmp_lt_i32 s16, s7
	s_cbranch_scc0 .LBB7_18
.LBB7_3:                                ; =>This Loop Header: Depth=1
                                        ;     Child Loop BB7_7 Depth 2
                                        ;       Child Loop BB7_15 Depth 3
	s_mov_b32 s11, s16
	s_mov_b32 s2, exec_lo
	v_add_nc_u32_e32 v4, s11, v7
	v_cmpx_gt_i32_e64 s7, v4
	s_cbranch_execz .LBB7_5
; %bb.4:                                ;   in Loop: Header=BB7_3 Depth=1
	v_ashrrev_i32_e32 v5, 31, v4
	v_lshlrev_b64 v[4:5], 3, v[4:5]
	v_add_co_u32 v4, vcc_lo, s8, v4
	v_add_co_ci_u32_e64 v5, null, s9, v5, vcc_lo
	global_load_dword v4, v[4:5], off
	s_waitcnt vmcnt(0)
	ds_write_b32 v10, v4
.LBB7_5:                                ;   in Loop: Header=BB7_3 Depth=1
	s_or_b32 exec_lo, exec_lo, s2
	s_add_i32 s16, s11, s10
	s_mov_b32 s18, s11
	s_min_u32 s17, s16, s7
	s_cmp_ge_i32 s11, s17
	s_cbranch_scc0 .LBB7_7
	s_branch .LBB7_2
.LBB7_6:                                ;   in Loop: Header=BB7_7 Depth=2
	s_or_b32 exec_lo, exec_lo, s2
	s_add_i32 s18, s18, s14
	s_cmp_ge_i32 s18, s17
	s_cbranch_scc1 .LBB7_2
.LBB7_7:                                ;   Parent Loop BB7_3 Depth=1
                                        ; =>  This Loop Header: Depth=2
                                        ;       Child Loop BB7_15 Depth 3
	v_add_nc_u32_e32 v4, s18, v1
	s_waitcnt lgkmcnt(0)
	s_barrier
	buffer_gl0_inv
	v_subrev_nc_u32_e32 v5, s11, v4
	v_cmp_le_i32_e32 vcc_lo, s7, v4
	v_lshl_add_u32 v5, v5, 2, s15
	s_or_b32 s3, s0, vcc_lo
	ds_read_b32 v16, v5
	s_waitcnt lgkmcnt(0)
	v_cmp_eq_u32_e64 s2, s6, v16
	s_nor_b32 s3, s3, s2
	s_and_saveexec_b32 s4, s3
	s_cbranch_execz .LBB7_9
; %bb.8:                                ;   in Loop: Header=BB7_7 Depth=2
	v_ashrrev_i32_e32 v17, 31, v4
	v_mul_lo_u32 v18, s13, v4
	v_mad_u64_u32 v[4:5], null, s12, v4, 0
	v_mul_lo_u32 v17, s12, v17
	v_add3_u32 v5, v5, v17, v18
	v_lshlrev_b64 v[4:5], 1, v[4:5]
	v_add_co_u32 v4, s3, v11, v4
	v_add_co_ci_u32_e64 v5, null, v12, v5, s3
	global_load_ushort v4, v[4:5], off
	s_waitcnt vmcnt(0)
	v_lshlrev_b32_e32 v4, 16, v4
	ds_write_b32 v8, v4
.LBB7_9:                                ;   in Loop: Header=BB7_7 Depth=2
	s_or_b32 exec_lo, exec_lo, s4
	s_nor_b32 s3, vcc_lo, s2
	s_waitcnt lgkmcnt(0)
	s_barrier
	buffer_gl0_inv
	s_and_saveexec_b32 s2, s3
	s_cbranch_execz .LBB7_6
; %bb.10:                               ;   in Loop: Header=BB7_7 Depth=2
	s_sub_i32 s3, s17, s18
	s_mov_b32 s4, 0
	s_min_u32 s3, s3, s14
	v_cmp_gt_u32_e32 vcc_lo, s3, v0
	s_and_saveexec_b32 s3, vcc_lo
	s_cbranch_execz .LBB7_12
; %bb.11:                               ;   in Loop: Header=BB7_7 Depth=2
	s_sub_i32 s4, s18, s11
	v_lshl_add_u32 v4, s4, 2, v9
	ds_read_b32 v4, v4
	s_waitcnt lgkmcnt(0)
	v_cmp_eq_u32_e32 vcc_lo, v16, v4
	s_and_b32 s4, vcc_lo, exec_lo
.LBB7_12:                               ;   in Loop: Header=BB7_7 Depth=2
	s_or_b32 exec_lo, exec_lo, s3
	v_cndmask_b32_e64 v4, 0, 1, s4
	v_cmp_ne_u32_e64 s4, 0, v4
	s_ff1_i32_b64 s3, s[4:5]
	s_cmp_lg_u32 s4, 0
	v_cmp_eq_u32_e32 vcc_lo, s3, v1
	s_cselect_b32 s3, -1, 0
	s_and_b32 s3, s3, vcc_lo
	s_and_b32 exec_lo, exec_lo, s3
	s_cbranch_execz .LBB7_6
; %bb.13:                               ;   in Loop: Header=BB7_7 Depth=2
	s_mov_b32 s3, exec_lo
	v_cmpx_ne_u64_e64 s[4:5], v[2:3]
	s_cbranch_execz .LBB7_16
; %bb.14:                               ;   in Loop: Header=BB7_7 Depth=2
	ds_read_b32 v17, v8
	v_xor_b32_e32 v4, s4, v2
	v_mov_b32_e32 v5, v3
	s_mov_b32 s4, 0
	.p2align	6
.LBB7_15:                               ;   Parent Loop BB7_3 Depth=1
                                        ;     Parent Loop BB7_7 Depth=2
                                        ; =>    This Inner Loop Header: Depth=3
	v_ffbl_b32_e32 v18, v5
	v_ffbl_b32_e32 v19, v4
	v_add_nc_u32_e32 v18, 32, v18
	v_min_u32_e32 v18, v19, v18
	v_lshl_add_u32 v19, v18, 7, v6
	v_lshlrev_b32_e64 v18, v18, 1
	ds_read_b32 v22, v19
	v_ashrrev_i32_e32 v19, 31, v18
	v_xor_b32_e32 v20, v4, v18
	v_xor_b32_e32 v21, v5, v19
	v_cmp_eq_u64_e32 vcc_lo, v[4:5], v[18:19]
	v_mov_b32_e32 v4, v20
	v_mov_b32_e32 v5, v21
	s_or_b32 s4, vcc_lo, s4
	s_waitcnt lgkmcnt(0)
	v_add_f32_e32 v17, v22, v17
	ds_write_b32 v8, v17
	s_andn2_b32 exec_lo, exec_lo, s4
	s_cbranch_execnz .LBB7_15
.LBB7_16:                               ;   in Loop: Header=BB7_7 Depth=2
	s_or_b32 exec_lo, exec_lo, s3
	s_and_b32 exec_lo, exec_lo, s1
	s_cbranch_execz .LBB7_6
; %bb.17:                               ;   in Loop: Header=BB7_7 Depth=2
	v_ashrrev_i32_e32 v17, 31, v16
	v_mul_lo_u32 v18, s13, v16
	v_mad_u64_u32 v[4:5], null, s12, v16, 0
	v_mul_lo_u32 v16, s12, v17
	ds_read_b32 v17, v8
	v_add3_u32 v5, v5, v16, v18
	v_lshlrev_b64 v[4:5], 1, v[4:5]
	v_add_co_u32 v4, vcc_lo, v13, v4
	v_add_co_ci_u32_e64 v5, null, v14, v5, vcc_lo
	s_waitcnt lgkmcnt(0)
	v_bfe_u32 v18, v17, 16, 1
	v_cmp_o_f32_e32 vcc_lo, v17, v17
	global_load_ushort v16, v[4:5], off
	v_add3_u32 v18, v17, v18, 0x7fff
	v_and_b32_e32 v18, 0xffff0000, v18
	v_cndmask_b32_e32 v17, 0x7fc00000, v18, vcc_lo
	s_waitcnt vmcnt(0)
	v_lshlrev_b32_e32 v16, 16, v16
	v_add_f32_e32 v16, v17, v16
	v_bfe_u32 v17, v16, 16, 1
	v_cmp_o_f32_e32 vcc_lo, v16, v16
	v_add3_u32 v16, v16, v17, 0x7fff
	v_cndmask_b32_sdwa v16, v15, v16, vcc_lo dst_sel:DWORD dst_unused:UNUSED_PAD src0_sel:DWORD src1_sel:WORD_1
	global_store_short v[4:5], v16, off
	s_branch .LBB7_6
.LBB7_18:
	s_endpgm
	.section	.rodata,"a",@progbits
	.p2align	6, 0x0
	.amdhsa_kernel _ZN2at6native12_GLOBAL__N_133embedding_backward_feature_kernelIN3c108BFloat16EflEEvPKT1_PKT_PS8_ili
		.amdhsa_group_segment_fixed_size 0
		.amdhsa_private_segment_fixed_size 0
		.amdhsa_kernarg_size 304
		.amdhsa_user_sgpr_count 6
		.amdhsa_user_sgpr_private_segment_buffer 1
		.amdhsa_user_sgpr_dispatch_ptr 0
		.amdhsa_user_sgpr_queue_ptr 0
		.amdhsa_user_sgpr_kernarg_segment_ptr 1
		.amdhsa_user_sgpr_dispatch_id 0
		.amdhsa_user_sgpr_flat_scratch_init 0
		.amdhsa_user_sgpr_private_segment_size 0
		.amdhsa_wavefront_size32 1
		.amdhsa_uses_dynamic_stack 0
		.amdhsa_system_sgpr_private_segment_wavefront_offset 0
		.amdhsa_system_sgpr_workgroup_id_x 1
		.amdhsa_system_sgpr_workgroup_id_y 0
		.amdhsa_system_sgpr_workgroup_id_z 0
		.amdhsa_system_sgpr_workgroup_info 0
		.amdhsa_system_vgpr_workitem_id 1
		.amdhsa_next_free_vgpr 23
		.amdhsa_next_free_sgpr 19
		.amdhsa_reserve_vcc 1
		.amdhsa_reserve_flat_scratch 0
		.amdhsa_float_round_mode_32 0
		.amdhsa_float_round_mode_16_64 0
		.amdhsa_float_denorm_mode_32 3
		.amdhsa_float_denorm_mode_16_64 3
		.amdhsa_dx10_clamp 1
		.amdhsa_ieee_mode 1
		.amdhsa_fp16_overflow 0
		.amdhsa_workgroup_processor_mode 1
		.amdhsa_memory_ordered 1
		.amdhsa_forward_progress 1
		.amdhsa_shared_vgpr_count 0
		.amdhsa_exception_fp_ieee_invalid_op 0
		.amdhsa_exception_fp_denorm_src 0
		.amdhsa_exception_fp_ieee_div_zero 0
		.amdhsa_exception_fp_ieee_overflow 0
		.amdhsa_exception_fp_ieee_underflow 0
		.amdhsa_exception_fp_ieee_inexact 0
		.amdhsa_exception_int_div_zero 0
	.end_amdhsa_kernel
	.section	.text._ZN2at6native12_GLOBAL__N_133embedding_backward_feature_kernelIN3c108BFloat16EflEEvPKT1_PKT_PS8_ili,"axG",@progbits,_ZN2at6native12_GLOBAL__N_133embedding_backward_feature_kernelIN3c108BFloat16EflEEvPKT1_PKT_PS8_ili,comdat
.Lfunc_end7:
	.size	_ZN2at6native12_GLOBAL__N_133embedding_backward_feature_kernelIN3c108BFloat16EflEEvPKT1_PKT_PS8_ili, .Lfunc_end7-_ZN2at6native12_GLOBAL__N_133embedding_backward_feature_kernelIN3c108BFloat16EflEEvPKT1_PKT_PS8_ili
                                        ; -- End function
	.set _ZN2at6native12_GLOBAL__N_133embedding_backward_feature_kernelIN3c108BFloat16EflEEvPKT1_PKT_PS8_ili.num_vgpr, 23
	.set _ZN2at6native12_GLOBAL__N_133embedding_backward_feature_kernelIN3c108BFloat16EflEEvPKT1_PKT_PS8_ili.num_agpr, 0
	.set _ZN2at6native12_GLOBAL__N_133embedding_backward_feature_kernelIN3c108BFloat16EflEEvPKT1_PKT_PS8_ili.numbered_sgpr, 19
	.set _ZN2at6native12_GLOBAL__N_133embedding_backward_feature_kernelIN3c108BFloat16EflEEvPKT1_PKT_PS8_ili.num_named_barrier, 0
	.set _ZN2at6native12_GLOBAL__N_133embedding_backward_feature_kernelIN3c108BFloat16EflEEvPKT1_PKT_PS8_ili.private_seg_size, 0
	.set _ZN2at6native12_GLOBAL__N_133embedding_backward_feature_kernelIN3c108BFloat16EflEEvPKT1_PKT_PS8_ili.uses_vcc, 1
	.set _ZN2at6native12_GLOBAL__N_133embedding_backward_feature_kernelIN3c108BFloat16EflEEvPKT1_PKT_PS8_ili.uses_flat_scratch, 0
	.set _ZN2at6native12_GLOBAL__N_133embedding_backward_feature_kernelIN3c108BFloat16EflEEvPKT1_PKT_PS8_ili.has_dyn_sized_stack, 0
	.set _ZN2at6native12_GLOBAL__N_133embedding_backward_feature_kernelIN3c108BFloat16EflEEvPKT1_PKT_PS8_ili.has_recursion, 0
	.set _ZN2at6native12_GLOBAL__N_133embedding_backward_feature_kernelIN3c108BFloat16EflEEvPKT1_PKT_PS8_ili.has_indirect_call, 0
	.section	.AMDGPU.csdata,"",@progbits
; Kernel info:
; codeLenInByte = 988
; TotalNumSgprs: 21
; NumVgprs: 23
; ScratchSize: 0
; MemoryBound: 0
; FloatMode: 240
; IeeeMode: 1
; LDSByteSize: 0 bytes/workgroup (compile time only)
; SGPRBlocks: 0
; VGPRBlocks: 2
; NumSGPRsForWavesPerEU: 21
; NumVGPRsForWavesPerEU: 23
; Occupancy: 16
; WaveLimiterHint : 0
; COMPUTE_PGM_RSRC2:SCRATCH_EN: 0
; COMPUTE_PGM_RSRC2:USER_SGPR: 6
; COMPUTE_PGM_RSRC2:TRAP_HANDLER: 0
; COMPUTE_PGM_RSRC2:TGID_X_EN: 1
; COMPUTE_PGM_RSRC2:TGID_Y_EN: 0
; COMPUTE_PGM_RSRC2:TGID_Z_EN: 0
; COMPUTE_PGM_RSRC2:TIDIG_COMP_CNT: 1
	.section	.text._ZN7rocprim17ROCPRIM_400000_NS6detail30init_device_scan_by_key_kernelINS1_19lookback_scan_stateINS0_5tupleIJibEEELb0ELb1EEEPKijNS1_16block_id_wrapperIjLb0EEEEEvT_jjPNSB_10value_typeET0_PNSt15iterator_traitsISE_E10value_typeEmT1_T2_,"axG",@progbits,_ZN7rocprim17ROCPRIM_400000_NS6detail30init_device_scan_by_key_kernelINS1_19lookback_scan_stateINS0_5tupleIJibEEELb0ELb1EEEPKijNS1_16block_id_wrapperIjLb0EEEEEvT_jjPNSB_10value_typeET0_PNSt15iterator_traitsISE_E10value_typeEmT1_T2_,comdat
	.protected	_ZN7rocprim17ROCPRIM_400000_NS6detail30init_device_scan_by_key_kernelINS1_19lookback_scan_stateINS0_5tupleIJibEEELb0ELb1EEEPKijNS1_16block_id_wrapperIjLb0EEEEEvT_jjPNSB_10value_typeET0_PNSt15iterator_traitsISE_E10value_typeEmT1_T2_ ; -- Begin function _ZN7rocprim17ROCPRIM_400000_NS6detail30init_device_scan_by_key_kernelINS1_19lookback_scan_stateINS0_5tupleIJibEEELb0ELb1EEEPKijNS1_16block_id_wrapperIjLb0EEEEEvT_jjPNSB_10value_typeET0_PNSt15iterator_traitsISE_E10value_typeEmT1_T2_
	.globl	_ZN7rocprim17ROCPRIM_400000_NS6detail30init_device_scan_by_key_kernelINS1_19lookback_scan_stateINS0_5tupleIJibEEELb0ELb1EEEPKijNS1_16block_id_wrapperIjLb0EEEEEvT_jjPNSB_10value_typeET0_PNSt15iterator_traitsISE_E10value_typeEmT1_T2_
	.p2align	8
	.type	_ZN7rocprim17ROCPRIM_400000_NS6detail30init_device_scan_by_key_kernelINS1_19lookback_scan_stateINS0_5tupleIJibEEELb0ELb1EEEPKijNS1_16block_id_wrapperIjLb0EEEEEvT_jjPNSB_10value_typeET0_PNSt15iterator_traitsISE_E10value_typeEmT1_T2_,@function
_ZN7rocprim17ROCPRIM_400000_NS6detail30init_device_scan_by_key_kernelINS1_19lookback_scan_stateINS0_5tupleIJibEEELb0ELb1EEEPKijNS1_16block_id_wrapperIjLb0EEEEEvT_jjPNSB_10value_typeET0_PNSt15iterator_traitsISE_E10value_typeEmT1_T2_: ; @_ZN7rocprim17ROCPRIM_400000_NS6detail30init_device_scan_by_key_kernelINS1_19lookback_scan_stateINS0_5tupleIJibEEELb0ELb1EEEPKijNS1_16block_id_wrapperIjLb0EEEEEvT_jjPNSB_10value_typeET0_PNSt15iterator_traitsISE_E10value_typeEmT1_T2_
; %bb.0:
	s_clause 0x2
	s_load_dword s0, s[4:5], 0x44
	s_load_dwordx8 s[8:15], s[4:5], 0x0
	s_load_dword s7, s[4:5], 0x38
	s_waitcnt lgkmcnt(0)
	s_and_b32 s16, s0, 0xffff
	s_cmp_eq_u64 s[12:13], 0
	v_mad_u64_u32 v[4:5], null, s6, s16, v[0:1]
	s_cbranch_scc1 .LBB8_8
; %bb.1:
	s_cmp_lt_u32 s11, s10
	s_mov_b32 s1, 0
	s_cselect_b32 s0, s11, 0
	s_mov_b32 s2, exec_lo
	v_cmpx_eq_u32_e64 s0, v4
	s_cbranch_execz .LBB8_7
; %bb.2:
	s_add_i32 s0, s11, 32
	v_mov_b32_e32 v6, 0
	s_lshl_b64 s[0:1], s[0:1], 4
	s_mov_b32 s3, exec_lo
	s_add_u32 s0, s8, s0
	s_addc_u32 s1, s9, s1
	v_mov_b32_e32 v0, s0
	v_mov_b32_e32 v1, s1
	;;#ASMSTART
	global_load_dwordx4 v[0:3], v[0:1] off glc dlc	
s_waitcnt vmcnt(0)
	;;#ASMEND
	v_and_b32_e32 v5, 0xff, v2
	v_cmpx_eq_u64_e32 0, v[5:6]
	s_cbranch_execz .LBB8_6
; %bb.3:
	v_mov_b32_e32 v8, s1
	v_mov_b32_e32 v7, s0
	s_mov_b32 s0, 0
.LBB8_4:                                ; =>This Inner Loop Header: Depth=1
	;;#ASMSTART
	global_load_dwordx4 v[0:3], v[7:8] off glc dlc	
s_waitcnt vmcnt(0)
	;;#ASMEND
	v_and_b32_e32 v5, 0xff, v2
	v_cmp_ne_u64_e32 vcc_lo, 0, v[5:6]
	s_or_b32 s0, vcc_lo, s0
	s_andn2_b32 exec_lo, exec_lo, s0
	s_cbranch_execnz .LBB8_4
; %bb.5:
	s_or_b32 exec_lo, exec_lo, s0
.LBB8_6:
	s_or_b32 exec_lo, exec_lo, s3
	v_mov_b32_e32 v2, 0
	global_store_dword v2, v0, s[12:13]
	global_store_byte v2, v1, s[12:13] offset:4
.LBB8_7:
	s_or_b32 exec_lo, exec_lo, s2
.LBB8_8:
	s_mov_b32 s0, exec_lo
	v_cmpx_gt_u32_e64 s10, v4
	s_cbranch_execz .LBB8_10
; %bb.9:
	v_add_nc_u32_e32 v0, 32, v4
	v_mov_b32_e32 v1, 0
	v_lshlrev_b64 v[5:6], 4, v[0:1]
	v_mov_b32_e32 v0, v1
	v_mov_b32_e32 v2, v1
	;; [unrolled: 1-line block ×3, first 2 shown]
	v_add_co_u32 v5, vcc_lo, s8, v5
	v_add_co_ci_u32_e64 v6, null, s9, v6, vcc_lo
	global_store_dwordx4 v[5:6], v[0:3], off
.LBB8_10:
	s_or_b32 exec_lo, exec_lo, s0
	v_mov_b32_e32 v5, 0
	s_mov_b32 s0, exec_lo
	v_cmpx_gt_u32_e32 32, v4
	s_cbranch_execz .LBB8_12
; %bb.11:
	v_lshlrev_b64 v[6:7], 4, v[4:5]
	v_mov_b32_e32 v2, 0xff
	v_mov_b32_e32 v0, v5
	;; [unrolled: 1-line block ×4, first 2 shown]
	v_add_co_u32 v6, vcc_lo, s8, v6
	v_add_co_ci_u32_e64 v7, null, s9, v7, vcc_lo
	global_store_dwordx4 v[6:7], v[0:3], off
.LBB8_12:
	s_or_b32 exec_lo, exec_lo, s0
	s_load_dwordx2 s[2:3], s[4:5], 0x28
	s_mov_b32 s0, exec_lo
	s_waitcnt lgkmcnt(0)
	v_cmpx_gt_u64_e64 s[2:3], v[4:5]
	s_cbranch_execz .LBB8_15
; %bb.13:
	s_clause 0x1
	s_load_dword s6, s[4:5], 0x30
	s_load_dwordx2 s[8:9], s[4:5], 0x20
	s_mov_b32 s1, 0
	v_lshlrev_b64 v[2:3], 2, v[4:5]
	s_mul_i32 s4, s7, s16
	s_waitcnt lgkmcnt(0)
	v_mad_u64_u32 v[0:1], null, s6, v4, 0
	s_add_i32 s0, s6, -1
	s_mul_hi_u32 s7, s6, s4
	s_lshl_b64 s[10:11], s[0:1], 2
	s_mul_i32 s6, s6, s4
	s_add_u32 s0, s14, s10
	s_addc_u32 s5, s15, s11
	v_lshlrev_b64 v[0:1], 2, v[0:1]
	s_lshl_b64 s[6:7], s[6:7], 2
	v_add_co_u32 v0, vcc_lo, s0, v0
	v_add_co_ci_u32_e64 v1, null, s5, v1, vcc_lo
	v_add_co_u32 v2, vcc_lo, s8, v2
	v_add_co_ci_u32_e64 v3, null, s9, v3, vcc_lo
	s_mov_b32 s5, s1
	s_lshl_b64 s[8:9], s[4:5], 2
	.p2align	6
.LBB8_14:                               ; =>This Inner Loop Header: Depth=1
	global_load_dword v6, v[0:1], off
	v_add_co_u32 v4, vcc_lo, v4, s4
	v_add_co_ci_u32_e64 v5, null, 0, v5, vcc_lo
	v_add_co_u32 v0, vcc_lo, v0, s6
	v_add_co_ci_u32_e64 v1, null, s7, v1, vcc_lo
	v_cmp_le_u64_e32 vcc_lo, s[2:3], v[4:5]
	s_or_b32 s1, vcc_lo, s1
	s_waitcnt vmcnt(0)
	global_store_dword v[2:3], v6, off
	v_add_co_u32 v2, s0, v2, s8
	v_add_co_ci_u32_e64 v3, null, s9, v3, s0
	s_andn2_b32 exec_lo, exec_lo, s1
	s_cbranch_execnz .LBB8_14
.LBB8_15:
	s_endpgm
	.section	.rodata,"a",@progbits
	.p2align	6, 0x0
	.amdhsa_kernel _ZN7rocprim17ROCPRIM_400000_NS6detail30init_device_scan_by_key_kernelINS1_19lookback_scan_stateINS0_5tupleIJibEEELb0ELb1EEEPKijNS1_16block_id_wrapperIjLb0EEEEEvT_jjPNSB_10value_typeET0_PNSt15iterator_traitsISE_E10value_typeEmT1_T2_
		.amdhsa_group_segment_fixed_size 0
		.amdhsa_private_segment_fixed_size 0
		.amdhsa_kernarg_size 312
		.amdhsa_user_sgpr_count 6
		.amdhsa_user_sgpr_private_segment_buffer 1
		.amdhsa_user_sgpr_dispatch_ptr 0
		.amdhsa_user_sgpr_queue_ptr 0
		.amdhsa_user_sgpr_kernarg_segment_ptr 1
		.amdhsa_user_sgpr_dispatch_id 0
		.amdhsa_user_sgpr_flat_scratch_init 0
		.amdhsa_user_sgpr_private_segment_size 0
		.amdhsa_wavefront_size32 1
		.amdhsa_uses_dynamic_stack 0
		.amdhsa_system_sgpr_private_segment_wavefront_offset 0
		.amdhsa_system_sgpr_workgroup_id_x 1
		.amdhsa_system_sgpr_workgroup_id_y 0
		.amdhsa_system_sgpr_workgroup_id_z 0
		.amdhsa_system_sgpr_workgroup_info 0
		.amdhsa_system_vgpr_workitem_id 0
		.amdhsa_next_free_vgpr 9
		.amdhsa_next_free_sgpr 17
		.amdhsa_reserve_vcc 1
		.amdhsa_reserve_flat_scratch 0
		.amdhsa_float_round_mode_32 0
		.amdhsa_float_round_mode_16_64 0
		.amdhsa_float_denorm_mode_32 3
		.amdhsa_float_denorm_mode_16_64 3
		.amdhsa_dx10_clamp 1
		.amdhsa_ieee_mode 1
		.amdhsa_fp16_overflow 0
		.amdhsa_workgroup_processor_mode 1
		.amdhsa_memory_ordered 1
		.amdhsa_forward_progress 1
		.amdhsa_shared_vgpr_count 0
		.amdhsa_exception_fp_ieee_invalid_op 0
		.amdhsa_exception_fp_denorm_src 0
		.amdhsa_exception_fp_ieee_div_zero 0
		.amdhsa_exception_fp_ieee_overflow 0
		.amdhsa_exception_fp_ieee_underflow 0
		.amdhsa_exception_fp_ieee_inexact 0
		.amdhsa_exception_int_div_zero 0
	.end_amdhsa_kernel
	.section	.text._ZN7rocprim17ROCPRIM_400000_NS6detail30init_device_scan_by_key_kernelINS1_19lookback_scan_stateINS0_5tupleIJibEEELb0ELb1EEEPKijNS1_16block_id_wrapperIjLb0EEEEEvT_jjPNSB_10value_typeET0_PNSt15iterator_traitsISE_E10value_typeEmT1_T2_,"axG",@progbits,_ZN7rocprim17ROCPRIM_400000_NS6detail30init_device_scan_by_key_kernelINS1_19lookback_scan_stateINS0_5tupleIJibEEELb0ELb1EEEPKijNS1_16block_id_wrapperIjLb0EEEEEvT_jjPNSB_10value_typeET0_PNSt15iterator_traitsISE_E10value_typeEmT1_T2_,comdat
.Lfunc_end8:
	.size	_ZN7rocprim17ROCPRIM_400000_NS6detail30init_device_scan_by_key_kernelINS1_19lookback_scan_stateINS0_5tupleIJibEEELb0ELb1EEEPKijNS1_16block_id_wrapperIjLb0EEEEEvT_jjPNSB_10value_typeET0_PNSt15iterator_traitsISE_E10value_typeEmT1_T2_, .Lfunc_end8-_ZN7rocprim17ROCPRIM_400000_NS6detail30init_device_scan_by_key_kernelINS1_19lookback_scan_stateINS0_5tupleIJibEEELb0ELb1EEEPKijNS1_16block_id_wrapperIjLb0EEEEEvT_jjPNSB_10value_typeET0_PNSt15iterator_traitsISE_E10value_typeEmT1_T2_
                                        ; -- End function
	.set _ZN7rocprim17ROCPRIM_400000_NS6detail30init_device_scan_by_key_kernelINS1_19lookback_scan_stateINS0_5tupleIJibEEELb0ELb1EEEPKijNS1_16block_id_wrapperIjLb0EEEEEvT_jjPNSB_10value_typeET0_PNSt15iterator_traitsISE_E10value_typeEmT1_T2_.num_vgpr, 9
	.set _ZN7rocprim17ROCPRIM_400000_NS6detail30init_device_scan_by_key_kernelINS1_19lookback_scan_stateINS0_5tupleIJibEEELb0ELb1EEEPKijNS1_16block_id_wrapperIjLb0EEEEEvT_jjPNSB_10value_typeET0_PNSt15iterator_traitsISE_E10value_typeEmT1_T2_.num_agpr, 0
	.set _ZN7rocprim17ROCPRIM_400000_NS6detail30init_device_scan_by_key_kernelINS1_19lookback_scan_stateINS0_5tupleIJibEEELb0ELb1EEEPKijNS1_16block_id_wrapperIjLb0EEEEEvT_jjPNSB_10value_typeET0_PNSt15iterator_traitsISE_E10value_typeEmT1_T2_.numbered_sgpr, 17
	.set _ZN7rocprim17ROCPRIM_400000_NS6detail30init_device_scan_by_key_kernelINS1_19lookback_scan_stateINS0_5tupleIJibEEELb0ELb1EEEPKijNS1_16block_id_wrapperIjLb0EEEEEvT_jjPNSB_10value_typeET0_PNSt15iterator_traitsISE_E10value_typeEmT1_T2_.num_named_barrier, 0
	.set _ZN7rocprim17ROCPRIM_400000_NS6detail30init_device_scan_by_key_kernelINS1_19lookback_scan_stateINS0_5tupleIJibEEELb0ELb1EEEPKijNS1_16block_id_wrapperIjLb0EEEEEvT_jjPNSB_10value_typeET0_PNSt15iterator_traitsISE_E10value_typeEmT1_T2_.private_seg_size, 0
	.set _ZN7rocprim17ROCPRIM_400000_NS6detail30init_device_scan_by_key_kernelINS1_19lookback_scan_stateINS0_5tupleIJibEEELb0ELb1EEEPKijNS1_16block_id_wrapperIjLb0EEEEEvT_jjPNSB_10value_typeET0_PNSt15iterator_traitsISE_E10value_typeEmT1_T2_.uses_vcc, 1
	.set _ZN7rocprim17ROCPRIM_400000_NS6detail30init_device_scan_by_key_kernelINS1_19lookback_scan_stateINS0_5tupleIJibEEELb0ELb1EEEPKijNS1_16block_id_wrapperIjLb0EEEEEvT_jjPNSB_10value_typeET0_PNSt15iterator_traitsISE_E10value_typeEmT1_T2_.uses_flat_scratch, 0
	.set _ZN7rocprim17ROCPRIM_400000_NS6detail30init_device_scan_by_key_kernelINS1_19lookback_scan_stateINS0_5tupleIJibEEELb0ELb1EEEPKijNS1_16block_id_wrapperIjLb0EEEEEvT_jjPNSB_10value_typeET0_PNSt15iterator_traitsISE_E10value_typeEmT1_T2_.has_dyn_sized_stack, 0
	.set _ZN7rocprim17ROCPRIM_400000_NS6detail30init_device_scan_by_key_kernelINS1_19lookback_scan_stateINS0_5tupleIJibEEELb0ELb1EEEPKijNS1_16block_id_wrapperIjLb0EEEEEvT_jjPNSB_10value_typeET0_PNSt15iterator_traitsISE_E10value_typeEmT1_T2_.has_recursion, 0
	.set _ZN7rocprim17ROCPRIM_400000_NS6detail30init_device_scan_by_key_kernelINS1_19lookback_scan_stateINS0_5tupleIJibEEELb0ELb1EEEPKijNS1_16block_id_wrapperIjLb0EEEEEvT_jjPNSB_10value_typeET0_PNSt15iterator_traitsISE_E10value_typeEmT1_T2_.has_indirect_call, 0
	.section	.AMDGPU.csdata,"",@progbits
; Kernel info:
; codeLenInByte = 664
; TotalNumSgprs: 19
; NumVgprs: 9
; ScratchSize: 0
; MemoryBound: 0
; FloatMode: 240
; IeeeMode: 1
; LDSByteSize: 0 bytes/workgroup (compile time only)
; SGPRBlocks: 0
; VGPRBlocks: 1
; NumSGPRsForWavesPerEU: 19
; NumVGPRsForWavesPerEU: 9
; Occupancy: 16
; WaveLimiterHint : 0
; COMPUTE_PGM_RSRC2:SCRATCH_EN: 0
; COMPUTE_PGM_RSRC2:USER_SGPR: 6
; COMPUTE_PGM_RSRC2:TRAP_HANDLER: 0
; COMPUTE_PGM_RSRC2:TGID_X_EN: 1
; COMPUTE_PGM_RSRC2:TGID_Y_EN: 0
; COMPUTE_PGM_RSRC2:TGID_Z_EN: 0
; COMPUTE_PGM_RSRC2:TIDIG_COMP_CNT: 0
	.section	.text._ZN7rocprim17ROCPRIM_400000_NS6detail30init_device_scan_by_key_kernelINS1_19lookback_scan_stateINS0_5tupleIJibEEELb0ELb1EEENS1_16block_id_wrapperIjLb0EEEEEvT_jjPNS9_10value_typeET0_,"axG",@progbits,_ZN7rocprim17ROCPRIM_400000_NS6detail30init_device_scan_by_key_kernelINS1_19lookback_scan_stateINS0_5tupleIJibEEELb0ELb1EEENS1_16block_id_wrapperIjLb0EEEEEvT_jjPNS9_10value_typeET0_,comdat
	.protected	_ZN7rocprim17ROCPRIM_400000_NS6detail30init_device_scan_by_key_kernelINS1_19lookback_scan_stateINS0_5tupleIJibEEELb0ELb1EEENS1_16block_id_wrapperIjLb0EEEEEvT_jjPNS9_10value_typeET0_ ; -- Begin function _ZN7rocprim17ROCPRIM_400000_NS6detail30init_device_scan_by_key_kernelINS1_19lookback_scan_stateINS0_5tupleIJibEEELb0ELb1EEENS1_16block_id_wrapperIjLb0EEEEEvT_jjPNS9_10value_typeET0_
	.globl	_ZN7rocprim17ROCPRIM_400000_NS6detail30init_device_scan_by_key_kernelINS1_19lookback_scan_stateINS0_5tupleIJibEEELb0ELb1EEENS1_16block_id_wrapperIjLb0EEEEEvT_jjPNS9_10value_typeET0_
	.p2align	8
	.type	_ZN7rocprim17ROCPRIM_400000_NS6detail30init_device_scan_by_key_kernelINS1_19lookback_scan_stateINS0_5tupleIJibEEELb0ELb1EEENS1_16block_id_wrapperIjLb0EEEEEvT_jjPNS9_10value_typeET0_,@function
_ZN7rocprim17ROCPRIM_400000_NS6detail30init_device_scan_by_key_kernelINS1_19lookback_scan_stateINS0_5tupleIJibEEELb0ELb1EEENS1_16block_id_wrapperIjLb0EEEEEvT_jjPNS9_10value_typeET0_: ; @_ZN7rocprim17ROCPRIM_400000_NS6detail30init_device_scan_by_key_kernelINS1_19lookback_scan_stateINS0_5tupleIJibEEELb0ELb1EEENS1_16block_id_wrapperIjLb0EEEEEvT_jjPNS9_10value_typeET0_
; %bb.0:
	s_clause 0x2
	s_load_dword s7, s[4:5], 0x2c
	s_load_dwordx2 s[8:9], s[4:5], 0x10
	s_load_dwordx4 s[0:3], s[4:5], 0x0
	s_waitcnt lgkmcnt(0)
	s_and_b32 s4, s7, 0xffff
	s_cmp_eq_u64 s[8:9], 0
	v_mad_u64_u32 v[0:1], null, s6, s4, v[0:1]
	s_cbranch_scc1 .LBB9_8
; %bb.1:
	s_cmp_lt_u32 s3, s2
	s_mov_b32 s5, 0
	s_cselect_b32 s4, s3, 0
	s_mov_b32 s6, exec_lo
	v_cmpx_eq_u32_e64 s4, v0
	s_cbranch_execz .LBB9_7
; %bb.2:
	s_add_i32 s4, s3, 32
	v_mov_b32_e32 v5, 0
	s_lshl_b64 s[4:5], s[4:5], 4
	s_mov_b32 s3, exec_lo
	s_add_u32 s4, s0, s4
	s_addc_u32 s5, s1, s5
	v_mov_b32_e32 v1, s4
	v_mov_b32_e32 v2, s5
	;;#ASMSTART
	global_load_dwordx4 v[1:4], v[1:2] off glc dlc	
s_waitcnt vmcnt(0)
	;;#ASMEND
	v_and_b32_e32 v4, 0xff, v3
	v_cmpx_eq_u64_e32 0, v[4:5]
	s_cbranch_execz .LBB9_6
; %bb.3:
	v_mov_b32_e32 v7, s5
	v_mov_b32_e32 v6, s4
	s_mov_b32 s4, 0
.LBB9_4:                                ; =>This Inner Loop Header: Depth=1
	;;#ASMSTART
	global_load_dwordx4 v[1:4], v[6:7] off glc dlc	
s_waitcnt vmcnt(0)
	;;#ASMEND
	v_and_b32_e32 v4, 0xff, v3
	v_cmp_ne_u64_e32 vcc_lo, 0, v[4:5]
	s_or_b32 s4, vcc_lo, s4
	s_andn2_b32 exec_lo, exec_lo, s4
	s_cbranch_execnz .LBB9_4
; %bb.5:
	s_or_b32 exec_lo, exec_lo, s4
.LBB9_6:
	s_or_b32 exec_lo, exec_lo, s3
	v_mov_b32_e32 v3, 0
	global_store_dword v3, v1, s[8:9]
	global_store_byte v3, v2, s[8:9] offset:4
.LBB9_7:
	s_or_b32 exec_lo, exec_lo, s6
.LBB9_8:
	v_cmp_gt_u32_e32 vcc_lo, s2, v0
	s_and_saveexec_b32 s2, vcc_lo
	s_cbranch_execz .LBB9_10
; %bb.9:
	v_add_nc_u32_e32 v1, 32, v0
	v_mov_b32_e32 v2, 0
	v_lshlrev_b64 v[4:5], 4, v[1:2]
	v_mov_b32_e32 v1, v2
	v_mov_b32_e32 v3, v2
	v_add_co_u32 v6, vcc_lo, s0, v4
	v_add_co_ci_u32_e64 v7, null, s1, v5, vcc_lo
	v_mov_b32_e32 v4, v2
	global_store_dwordx4 v[6:7], v[1:4], off
.LBB9_10:
	s_or_b32 exec_lo, exec_lo, s2
	s_mov_b32 s2, exec_lo
	v_cmpx_gt_u32_e32 32, v0
	s_cbranch_execz .LBB9_12
; %bb.11:
	v_mov_b32_e32 v1, 0
	v_mov_b32_e32 v2, 0xff
	v_lshlrev_b64 v[3:4], 4, v[0:1]
	v_mov_b32_e32 v0, v1
	v_add_co_u32 v5, vcc_lo, s0, v3
	v_add_co_ci_u32_e64 v6, null, s1, v4, vcc_lo
	v_mov_b32_e32 v3, v1
	global_store_dwordx4 v[5:6], v[0:3], off
.LBB9_12:
	s_endpgm
	.section	.rodata,"a",@progbits
	.p2align	6, 0x0
	.amdhsa_kernel _ZN7rocprim17ROCPRIM_400000_NS6detail30init_device_scan_by_key_kernelINS1_19lookback_scan_stateINS0_5tupleIJibEEELb0ELb1EEENS1_16block_id_wrapperIjLb0EEEEEvT_jjPNS9_10value_typeET0_
		.amdhsa_group_segment_fixed_size 0
		.amdhsa_private_segment_fixed_size 0
		.amdhsa_kernarg_size 288
		.amdhsa_user_sgpr_count 6
		.amdhsa_user_sgpr_private_segment_buffer 1
		.amdhsa_user_sgpr_dispatch_ptr 0
		.amdhsa_user_sgpr_queue_ptr 0
		.amdhsa_user_sgpr_kernarg_segment_ptr 1
		.amdhsa_user_sgpr_dispatch_id 0
		.amdhsa_user_sgpr_flat_scratch_init 0
		.amdhsa_user_sgpr_private_segment_size 0
		.amdhsa_wavefront_size32 1
		.amdhsa_uses_dynamic_stack 0
		.amdhsa_system_sgpr_private_segment_wavefront_offset 0
		.amdhsa_system_sgpr_workgroup_id_x 1
		.amdhsa_system_sgpr_workgroup_id_y 0
		.amdhsa_system_sgpr_workgroup_id_z 0
		.amdhsa_system_sgpr_workgroup_info 0
		.amdhsa_system_vgpr_workitem_id 0
		.amdhsa_next_free_vgpr 8
		.amdhsa_next_free_sgpr 10
		.amdhsa_reserve_vcc 1
		.amdhsa_reserve_flat_scratch 0
		.amdhsa_float_round_mode_32 0
		.amdhsa_float_round_mode_16_64 0
		.amdhsa_float_denorm_mode_32 3
		.amdhsa_float_denorm_mode_16_64 3
		.amdhsa_dx10_clamp 1
		.amdhsa_ieee_mode 1
		.amdhsa_fp16_overflow 0
		.amdhsa_workgroup_processor_mode 1
		.amdhsa_memory_ordered 1
		.amdhsa_forward_progress 1
		.amdhsa_shared_vgpr_count 0
		.amdhsa_exception_fp_ieee_invalid_op 0
		.amdhsa_exception_fp_denorm_src 0
		.amdhsa_exception_fp_ieee_div_zero 0
		.amdhsa_exception_fp_ieee_overflow 0
		.amdhsa_exception_fp_ieee_underflow 0
		.amdhsa_exception_fp_ieee_inexact 0
		.amdhsa_exception_int_div_zero 0
	.end_amdhsa_kernel
	.section	.text._ZN7rocprim17ROCPRIM_400000_NS6detail30init_device_scan_by_key_kernelINS1_19lookback_scan_stateINS0_5tupleIJibEEELb0ELb1EEENS1_16block_id_wrapperIjLb0EEEEEvT_jjPNS9_10value_typeET0_,"axG",@progbits,_ZN7rocprim17ROCPRIM_400000_NS6detail30init_device_scan_by_key_kernelINS1_19lookback_scan_stateINS0_5tupleIJibEEELb0ELb1EEENS1_16block_id_wrapperIjLb0EEEEEvT_jjPNS9_10value_typeET0_,comdat
.Lfunc_end9:
	.size	_ZN7rocprim17ROCPRIM_400000_NS6detail30init_device_scan_by_key_kernelINS1_19lookback_scan_stateINS0_5tupleIJibEEELb0ELb1EEENS1_16block_id_wrapperIjLb0EEEEEvT_jjPNS9_10value_typeET0_, .Lfunc_end9-_ZN7rocprim17ROCPRIM_400000_NS6detail30init_device_scan_by_key_kernelINS1_19lookback_scan_stateINS0_5tupleIJibEEELb0ELb1EEENS1_16block_id_wrapperIjLb0EEEEEvT_jjPNS9_10value_typeET0_
                                        ; -- End function
	.set _ZN7rocprim17ROCPRIM_400000_NS6detail30init_device_scan_by_key_kernelINS1_19lookback_scan_stateINS0_5tupleIJibEEELb0ELb1EEENS1_16block_id_wrapperIjLb0EEEEEvT_jjPNS9_10value_typeET0_.num_vgpr, 8
	.set _ZN7rocprim17ROCPRIM_400000_NS6detail30init_device_scan_by_key_kernelINS1_19lookback_scan_stateINS0_5tupleIJibEEELb0ELb1EEENS1_16block_id_wrapperIjLb0EEEEEvT_jjPNS9_10value_typeET0_.num_agpr, 0
	.set _ZN7rocprim17ROCPRIM_400000_NS6detail30init_device_scan_by_key_kernelINS1_19lookback_scan_stateINS0_5tupleIJibEEELb0ELb1EEENS1_16block_id_wrapperIjLb0EEEEEvT_jjPNS9_10value_typeET0_.numbered_sgpr, 10
	.set _ZN7rocprim17ROCPRIM_400000_NS6detail30init_device_scan_by_key_kernelINS1_19lookback_scan_stateINS0_5tupleIJibEEELb0ELb1EEENS1_16block_id_wrapperIjLb0EEEEEvT_jjPNS9_10value_typeET0_.num_named_barrier, 0
	.set _ZN7rocprim17ROCPRIM_400000_NS6detail30init_device_scan_by_key_kernelINS1_19lookback_scan_stateINS0_5tupleIJibEEELb0ELb1EEENS1_16block_id_wrapperIjLb0EEEEEvT_jjPNS9_10value_typeET0_.private_seg_size, 0
	.set _ZN7rocprim17ROCPRIM_400000_NS6detail30init_device_scan_by_key_kernelINS1_19lookback_scan_stateINS0_5tupleIJibEEELb0ELb1EEENS1_16block_id_wrapperIjLb0EEEEEvT_jjPNS9_10value_typeET0_.uses_vcc, 1
	.set _ZN7rocprim17ROCPRIM_400000_NS6detail30init_device_scan_by_key_kernelINS1_19lookback_scan_stateINS0_5tupleIJibEEELb0ELb1EEENS1_16block_id_wrapperIjLb0EEEEEvT_jjPNS9_10value_typeET0_.uses_flat_scratch, 0
	.set _ZN7rocprim17ROCPRIM_400000_NS6detail30init_device_scan_by_key_kernelINS1_19lookback_scan_stateINS0_5tupleIJibEEELb0ELb1EEENS1_16block_id_wrapperIjLb0EEEEEvT_jjPNS9_10value_typeET0_.has_dyn_sized_stack, 0
	.set _ZN7rocprim17ROCPRIM_400000_NS6detail30init_device_scan_by_key_kernelINS1_19lookback_scan_stateINS0_5tupleIJibEEELb0ELb1EEENS1_16block_id_wrapperIjLb0EEEEEvT_jjPNS9_10value_typeET0_.has_recursion, 0
	.set _ZN7rocprim17ROCPRIM_400000_NS6detail30init_device_scan_by_key_kernelINS1_19lookback_scan_stateINS0_5tupleIJibEEELb0ELb1EEENS1_16block_id_wrapperIjLb0EEEEEvT_jjPNS9_10value_typeET0_.has_indirect_call, 0
	.section	.AMDGPU.csdata,"",@progbits
; Kernel info:
; codeLenInByte = 416
; TotalNumSgprs: 12
; NumVgprs: 8
; ScratchSize: 0
; MemoryBound: 0
; FloatMode: 240
; IeeeMode: 1
; LDSByteSize: 0 bytes/workgroup (compile time only)
; SGPRBlocks: 0
; VGPRBlocks: 0
; NumSGPRsForWavesPerEU: 12
; NumVGPRsForWavesPerEU: 8
; Occupancy: 16
; WaveLimiterHint : 0
; COMPUTE_PGM_RSRC2:SCRATCH_EN: 0
; COMPUTE_PGM_RSRC2:USER_SGPR: 6
; COMPUTE_PGM_RSRC2:TRAP_HANDLER: 0
; COMPUTE_PGM_RSRC2:TGID_X_EN: 1
; COMPUTE_PGM_RSRC2:TGID_Y_EN: 0
; COMPUTE_PGM_RSRC2:TGID_Z_EN: 0
; COMPUTE_PGM_RSRC2:TIDIG_COMP_CNT: 0
	.section	.text._ZN7rocprim17ROCPRIM_400000_NS6detail17trampoline_kernelINS0_14default_configENS1_27scan_by_key_config_selectorIiiEEZZNS1_16scan_by_key_implILNS1_25lookback_scan_determinismE0ELb0ES3_PKiN6hipcub16HIPCUB_304000_NS21ConstantInputIteratorIilEEPiiNSB_3SumENSB_8EqualityEiEE10hipError_tPvRmT2_T3_T4_T5_mT6_T7_P12ihipStream_tbENKUlT_T0_E_clISt17integral_constantIbLb0EESX_EEDaSS_ST_EUlSS_E_NS1_11comp_targetILNS1_3genE0ELNS1_11target_archE4294967295ELNS1_3gpuE0ELNS1_3repE0EEENS1_30default_config_static_selectorELNS0_4arch9wavefront6targetE0EEEvT1_,"axG",@progbits,_ZN7rocprim17ROCPRIM_400000_NS6detail17trampoline_kernelINS0_14default_configENS1_27scan_by_key_config_selectorIiiEEZZNS1_16scan_by_key_implILNS1_25lookback_scan_determinismE0ELb0ES3_PKiN6hipcub16HIPCUB_304000_NS21ConstantInputIteratorIilEEPiiNSB_3SumENSB_8EqualityEiEE10hipError_tPvRmT2_T3_T4_T5_mT6_T7_P12ihipStream_tbENKUlT_T0_E_clISt17integral_constantIbLb0EESX_EEDaSS_ST_EUlSS_E_NS1_11comp_targetILNS1_3genE0ELNS1_11target_archE4294967295ELNS1_3gpuE0ELNS1_3repE0EEENS1_30default_config_static_selectorELNS0_4arch9wavefront6targetE0EEEvT1_,comdat
	.protected	_ZN7rocprim17ROCPRIM_400000_NS6detail17trampoline_kernelINS0_14default_configENS1_27scan_by_key_config_selectorIiiEEZZNS1_16scan_by_key_implILNS1_25lookback_scan_determinismE0ELb0ES3_PKiN6hipcub16HIPCUB_304000_NS21ConstantInputIteratorIilEEPiiNSB_3SumENSB_8EqualityEiEE10hipError_tPvRmT2_T3_T4_T5_mT6_T7_P12ihipStream_tbENKUlT_T0_E_clISt17integral_constantIbLb0EESX_EEDaSS_ST_EUlSS_E_NS1_11comp_targetILNS1_3genE0ELNS1_11target_archE4294967295ELNS1_3gpuE0ELNS1_3repE0EEENS1_30default_config_static_selectorELNS0_4arch9wavefront6targetE0EEEvT1_ ; -- Begin function _ZN7rocprim17ROCPRIM_400000_NS6detail17trampoline_kernelINS0_14default_configENS1_27scan_by_key_config_selectorIiiEEZZNS1_16scan_by_key_implILNS1_25lookback_scan_determinismE0ELb0ES3_PKiN6hipcub16HIPCUB_304000_NS21ConstantInputIteratorIilEEPiiNSB_3SumENSB_8EqualityEiEE10hipError_tPvRmT2_T3_T4_T5_mT6_T7_P12ihipStream_tbENKUlT_T0_E_clISt17integral_constantIbLb0EESX_EEDaSS_ST_EUlSS_E_NS1_11comp_targetILNS1_3genE0ELNS1_11target_archE4294967295ELNS1_3gpuE0ELNS1_3repE0EEENS1_30default_config_static_selectorELNS0_4arch9wavefront6targetE0EEEvT1_
	.globl	_ZN7rocprim17ROCPRIM_400000_NS6detail17trampoline_kernelINS0_14default_configENS1_27scan_by_key_config_selectorIiiEEZZNS1_16scan_by_key_implILNS1_25lookback_scan_determinismE0ELb0ES3_PKiN6hipcub16HIPCUB_304000_NS21ConstantInputIteratorIilEEPiiNSB_3SumENSB_8EqualityEiEE10hipError_tPvRmT2_T3_T4_T5_mT6_T7_P12ihipStream_tbENKUlT_T0_E_clISt17integral_constantIbLb0EESX_EEDaSS_ST_EUlSS_E_NS1_11comp_targetILNS1_3genE0ELNS1_11target_archE4294967295ELNS1_3gpuE0ELNS1_3repE0EEENS1_30default_config_static_selectorELNS0_4arch9wavefront6targetE0EEEvT1_
	.p2align	8
	.type	_ZN7rocprim17ROCPRIM_400000_NS6detail17trampoline_kernelINS0_14default_configENS1_27scan_by_key_config_selectorIiiEEZZNS1_16scan_by_key_implILNS1_25lookback_scan_determinismE0ELb0ES3_PKiN6hipcub16HIPCUB_304000_NS21ConstantInputIteratorIilEEPiiNSB_3SumENSB_8EqualityEiEE10hipError_tPvRmT2_T3_T4_T5_mT6_T7_P12ihipStream_tbENKUlT_T0_E_clISt17integral_constantIbLb0EESX_EEDaSS_ST_EUlSS_E_NS1_11comp_targetILNS1_3genE0ELNS1_11target_archE4294967295ELNS1_3gpuE0ELNS1_3repE0EEENS1_30default_config_static_selectorELNS0_4arch9wavefront6targetE0EEEvT1_,@function
_ZN7rocprim17ROCPRIM_400000_NS6detail17trampoline_kernelINS0_14default_configENS1_27scan_by_key_config_selectorIiiEEZZNS1_16scan_by_key_implILNS1_25lookback_scan_determinismE0ELb0ES3_PKiN6hipcub16HIPCUB_304000_NS21ConstantInputIteratorIilEEPiiNSB_3SumENSB_8EqualityEiEE10hipError_tPvRmT2_T3_T4_T5_mT6_T7_P12ihipStream_tbENKUlT_T0_E_clISt17integral_constantIbLb0EESX_EEDaSS_ST_EUlSS_E_NS1_11comp_targetILNS1_3genE0ELNS1_11target_archE4294967295ELNS1_3gpuE0ELNS1_3repE0EEENS1_30default_config_static_selectorELNS0_4arch9wavefront6targetE0EEEvT1_: ; @_ZN7rocprim17ROCPRIM_400000_NS6detail17trampoline_kernelINS0_14default_configENS1_27scan_by_key_config_selectorIiiEEZZNS1_16scan_by_key_implILNS1_25lookback_scan_determinismE0ELb0ES3_PKiN6hipcub16HIPCUB_304000_NS21ConstantInputIteratorIilEEPiiNSB_3SumENSB_8EqualityEiEE10hipError_tPvRmT2_T3_T4_T5_mT6_T7_P12ihipStream_tbENKUlT_T0_E_clISt17integral_constantIbLb0EESX_EEDaSS_ST_EUlSS_E_NS1_11comp_targetILNS1_3genE0ELNS1_11target_archE4294967295ELNS1_3gpuE0ELNS1_3repE0EEENS1_30default_config_static_selectorELNS0_4arch9wavefront6targetE0EEEvT1_
; %bb.0:
	.section	.rodata,"a",@progbits
	.p2align	6, 0x0
	.amdhsa_kernel _ZN7rocprim17ROCPRIM_400000_NS6detail17trampoline_kernelINS0_14default_configENS1_27scan_by_key_config_selectorIiiEEZZNS1_16scan_by_key_implILNS1_25lookback_scan_determinismE0ELb0ES3_PKiN6hipcub16HIPCUB_304000_NS21ConstantInputIteratorIilEEPiiNSB_3SumENSB_8EqualityEiEE10hipError_tPvRmT2_T3_T4_T5_mT6_T7_P12ihipStream_tbENKUlT_T0_E_clISt17integral_constantIbLb0EESX_EEDaSS_ST_EUlSS_E_NS1_11comp_targetILNS1_3genE0ELNS1_11target_archE4294967295ELNS1_3gpuE0ELNS1_3repE0EEENS1_30default_config_static_selectorELNS0_4arch9wavefront6targetE0EEEvT1_
		.amdhsa_group_segment_fixed_size 0
		.amdhsa_private_segment_fixed_size 0
		.amdhsa_kernarg_size 120
		.amdhsa_user_sgpr_count 6
		.amdhsa_user_sgpr_private_segment_buffer 1
		.amdhsa_user_sgpr_dispatch_ptr 0
		.amdhsa_user_sgpr_queue_ptr 0
		.amdhsa_user_sgpr_kernarg_segment_ptr 1
		.amdhsa_user_sgpr_dispatch_id 0
		.amdhsa_user_sgpr_flat_scratch_init 0
		.amdhsa_user_sgpr_private_segment_size 0
		.amdhsa_wavefront_size32 1
		.amdhsa_uses_dynamic_stack 0
		.amdhsa_system_sgpr_private_segment_wavefront_offset 0
		.amdhsa_system_sgpr_workgroup_id_x 1
		.amdhsa_system_sgpr_workgroup_id_y 0
		.amdhsa_system_sgpr_workgroup_id_z 0
		.amdhsa_system_sgpr_workgroup_info 0
		.amdhsa_system_vgpr_workitem_id 0
		.amdhsa_next_free_vgpr 1
		.amdhsa_next_free_sgpr 1
		.amdhsa_reserve_vcc 0
		.amdhsa_reserve_flat_scratch 0
		.amdhsa_float_round_mode_32 0
		.amdhsa_float_round_mode_16_64 0
		.amdhsa_float_denorm_mode_32 3
		.amdhsa_float_denorm_mode_16_64 3
		.amdhsa_dx10_clamp 1
		.amdhsa_ieee_mode 1
		.amdhsa_fp16_overflow 0
		.amdhsa_workgroup_processor_mode 1
		.amdhsa_memory_ordered 1
		.amdhsa_forward_progress 1
		.amdhsa_shared_vgpr_count 0
		.amdhsa_exception_fp_ieee_invalid_op 0
		.amdhsa_exception_fp_denorm_src 0
		.amdhsa_exception_fp_ieee_div_zero 0
		.amdhsa_exception_fp_ieee_overflow 0
		.amdhsa_exception_fp_ieee_underflow 0
		.amdhsa_exception_fp_ieee_inexact 0
		.amdhsa_exception_int_div_zero 0
	.end_amdhsa_kernel
	.section	.text._ZN7rocprim17ROCPRIM_400000_NS6detail17trampoline_kernelINS0_14default_configENS1_27scan_by_key_config_selectorIiiEEZZNS1_16scan_by_key_implILNS1_25lookback_scan_determinismE0ELb0ES3_PKiN6hipcub16HIPCUB_304000_NS21ConstantInputIteratorIilEEPiiNSB_3SumENSB_8EqualityEiEE10hipError_tPvRmT2_T3_T4_T5_mT6_T7_P12ihipStream_tbENKUlT_T0_E_clISt17integral_constantIbLb0EESX_EEDaSS_ST_EUlSS_E_NS1_11comp_targetILNS1_3genE0ELNS1_11target_archE4294967295ELNS1_3gpuE0ELNS1_3repE0EEENS1_30default_config_static_selectorELNS0_4arch9wavefront6targetE0EEEvT1_,"axG",@progbits,_ZN7rocprim17ROCPRIM_400000_NS6detail17trampoline_kernelINS0_14default_configENS1_27scan_by_key_config_selectorIiiEEZZNS1_16scan_by_key_implILNS1_25lookback_scan_determinismE0ELb0ES3_PKiN6hipcub16HIPCUB_304000_NS21ConstantInputIteratorIilEEPiiNSB_3SumENSB_8EqualityEiEE10hipError_tPvRmT2_T3_T4_T5_mT6_T7_P12ihipStream_tbENKUlT_T0_E_clISt17integral_constantIbLb0EESX_EEDaSS_ST_EUlSS_E_NS1_11comp_targetILNS1_3genE0ELNS1_11target_archE4294967295ELNS1_3gpuE0ELNS1_3repE0EEENS1_30default_config_static_selectorELNS0_4arch9wavefront6targetE0EEEvT1_,comdat
.Lfunc_end10:
	.size	_ZN7rocprim17ROCPRIM_400000_NS6detail17trampoline_kernelINS0_14default_configENS1_27scan_by_key_config_selectorIiiEEZZNS1_16scan_by_key_implILNS1_25lookback_scan_determinismE0ELb0ES3_PKiN6hipcub16HIPCUB_304000_NS21ConstantInputIteratorIilEEPiiNSB_3SumENSB_8EqualityEiEE10hipError_tPvRmT2_T3_T4_T5_mT6_T7_P12ihipStream_tbENKUlT_T0_E_clISt17integral_constantIbLb0EESX_EEDaSS_ST_EUlSS_E_NS1_11comp_targetILNS1_3genE0ELNS1_11target_archE4294967295ELNS1_3gpuE0ELNS1_3repE0EEENS1_30default_config_static_selectorELNS0_4arch9wavefront6targetE0EEEvT1_, .Lfunc_end10-_ZN7rocprim17ROCPRIM_400000_NS6detail17trampoline_kernelINS0_14default_configENS1_27scan_by_key_config_selectorIiiEEZZNS1_16scan_by_key_implILNS1_25lookback_scan_determinismE0ELb0ES3_PKiN6hipcub16HIPCUB_304000_NS21ConstantInputIteratorIilEEPiiNSB_3SumENSB_8EqualityEiEE10hipError_tPvRmT2_T3_T4_T5_mT6_T7_P12ihipStream_tbENKUlT_T0_E_clISt17integral_constantIbLb0EESX_EEDaSS_ST_EUlSS_E_NS1_11comp_targetILNS1_3genE0ELNS1_11target_archE4294967295ELNS1_3gpuE0ELNS1_3repE0EEENS1_30default_config_static_selectorELNS0_4arch9wavefront6targetE0EEEvT1_
                                        ; -- End function
	.set _ZN7rocprim17ROCPRIM_400000_NS6detail17trampoline_kernelINS0_14default_configENS1_27scan_by_key_config_selectorIiiEEZZNS1_16scan_by_key_implILNS1_25lookback_scan_determinismE0ELb0ES3_PKiN6hipcub16HIPCUB_304000_NS21ConstantInputIteratorIilEEPiiNSB_3SumENSB_8EqualityEiEE10hipError_tPvRmT2_T3_T4_T5_mT6_T7_P12ihipStream_tbENKUlT_T0_E_clISt17integral_constantIbLb0EESX_EEDaSS_ST_EUlSS_E_NS1_11comp_targetILNS1_3genE0ELNS1_11target_archE4294967295ELNS1_3gpuE0ELNS1_3repE0EEENS1_30default_config_static_selectorELNS0_4arch9wavefront6targetE0EEEvT1_.num_vgpr, 0
	.set _ZN7rocprim17ROCPRIM_400000_NS6detail17trampoline_kernelINS0_14default_configENS1_27scan_by_key_config_selectorIiiEEZZNS1_16scan_by_key_implILNS1_25lookback_scan_determinismE0ELb0ES3_PKiN6hipcub16HIPCUB_304000_NS21ConstantInputIteratorIilEEPiiNSB_3SumENSB_8EqualityEiEE10hipError_tPvRmT2_T3_T4_T5_mT6_T7_P12ihipStream_tbENKUlT_T0_E_clISt17integral_constantIbLb0EESX_EEDaSS_ST_EUlSS_E_NS1_11comp_targetILNS1_3genE0ELNS1_11target_archE4294967295ELNS1_3gpuE0ELNS1_3repE0EEENS1_30default_config_static_selectorELNS0_4arch9wavefront6targetE0EEEvT1_.num_agpr, 0
	.set _ZN7rocprim17ROCPRIM_400000_NS6detail17trampoline_kernelINS0_14default_configENS1_27scan_by_key_config_selectorIiiEEZZNS1_16scan_by_key_implILNS1_25lookback_scan_determinismE0ELb0ES3_PKiN6hipcub16HIPCUB_304000_NS21ConstantInputIteratorIilEEPiiNSB_3SumENSB_8EqualityEiEE10hipError_tPvRmT2_T3_T4_T5_mT6_T7_P12ihipStream_tbENKUlT_T0_E_clISt17integral_constantIbLb0EESX_EEDaSS_ST_EUlSS_E_NS1_11comp_targetILNS1_3genE0ELNS1_11target_archE4294967295ELNS1_3gpuE0ELNS1_3repE0EEENS1_30default_config_static_selectorELNS0_4arch9wavefront6targetE0EEEvT1_.numbered_sgpr, 0
	.set _ZN7rocprim17ROCPRIM_400000_NS6detail17trampoline_kernelINS0_14default_configENS1_27scan_by_key_config_selectorIiiEEZZNS1_16scan_by_key_implILNS1_25lookback_scan_determinismE0ELb0ES3_PKiN6hipcub16HIPCUB_304000_NS21ConstantInputIteratorIilEEPiiNSB_3SumENSB_8EqualityEiEE10hipError_tPvRmT2_T3_T4_T5_mT6_T7_P12ihipStream_tbENKUlT_T0_E_clISt17integral_constantIbLb0EESX_EEDaSS_ST_EUlSS_E_NS1_11comp_targetILNS1_3genE0ELNS1_11target_archE4294967295ELNS1_3gpuE0ELNS1_3repE0EEENS1_30default_config_static_selectorELNS0_4arch9wavefront6targetE0EEEvT1_.num_named_barrier, 0
	.set _ZN7rocprim17ROCPRIM_400000_NS6detail17trampoline_kernelINS0_14default_configENS1_27scan_by_key_config_selectorIiiEEZZNS1_16scan_by_key_implILNS1_25lookback_scan_determinismE0ELb0ES3_PKiN6hipcub16HIPCUB_304000_NS21ConstantInputIteratorIilEEPiiNSB_3SumENSB_8EqualityEiEE10hipError_tPvRmT2_T3_T4_T5_mT6_T7_P12ihipStream_tbENKUlT_T0_E_clISt17integral_constantIbLb0EESX_EEDaSS_ST_EUlSS_E_NS1_11comp_targetILNS1_3genE0ELNS1_11target_archE4294967295ELNS1_3gpuE0ELNS1_3repE0EEENS1_30default_config_static_selectorELNS0_4arch9wavefront6targetE0EEEvT1_.private_seg_size, 0
	.set _ZN7rocprim17ROCPRIM_400000_NS6detail17trampoline_kernelINS0_14default_configENS1_27scan_by_key_config_selectorIiiEEZZNS1_16scan_by_key_implILNS1_25lookback_scan_determinismE0ELb0ES3_PKiN6hipcub16HIPCUB_304000_NS21ConstantInputIteratorIilEEPiiNSB_3SumENSB_8EqualityEiEE10hipError_tPvRmT2_T3_T4_T5_mT6_T7_P12ihipStream_tbENKUlT_T0_E_clISt17integral_constantIbLb0EESX_EEDaSS_ST_EUlSS_E_NS1_11comp_targetILNS1_3genE0ELNS1_11target_archE4294967295ELNS1_3gpuE0ELNS1_3repE0EEENS1_30default_config_static_selectorELNS0_4arch9wavefront6targetE0EEEvT1_.uses_vcc, 0
	.set _ZN7rocprim17ROCPRIM_400000_NS6detail17trampoline_kernelINS0_14default_configENS1_27scan_by_key_config_selectorIiiEEZZNS1_16scan_by_key_implILNS1_25lookback_scan_determinismE0ELb0ES3_PKiN6hipcub16HIPCUB_304000_NS21ConstantInputIteratorIilEEPiiNSB_3SumENSB_8EqualityEiEE10hipError_tPvRmT2_T3_T4_T5_mT6_T7_P12ihipStream_tbENKUlT_T0_E_clISt17integral_constantIbLb0EESX_EEDaSS_ST_EUlSS_E_NS1_11comp_targetILNS1_3genE0ELNS1_11target_archE4294967295ELNS1_3gpuE0ELNS1_3repE0EEENS1_30default_config_static_selectorELNS0_4arch9wavefront6targetE0EEEvT1_.uses_flat_scratch, 0
	.set _ZN7rocprim17ROCPRIM_400000_NS6detail17trampoline_kernelINS0_14default_configENS1_27scan_by_key_config_selectorIiiEEZZNS1_16scan_by_key_implILNS1_25lookback_scan_determinismE0ELb0ES3_PKiN6hipcub16HIPCUB_304000_NS21ConstantInputIteratorIilEEPiiNSB_3SumENSB_8EqualityEiEE10hipError_tPvRmT2_T3_T4_T5_mT6_T7_P12ihipStream_tbENKUlT_T0_E_clISt17integral_constantIbLb0EESX_EEDaSS_ST_EUlSS_E_NS1_11comp_targetILNS1_3genE0ELNS1_11target_archE4294967295ELNS1_3gpuE0ELNS1_3repE0EEENS1_30default_config_static_selectorELNS0_4arch9wavefront6targetE0EEEvT1_.has_dyn_sized_stack, 0
	.set _ZN7rocprim17ROCPRIM_400000_NS6detail17trampoline_kernelINS0_14default_configENS1_27scan_by_key_config_selectorIiiEEZZNS1_16scan_by_key_implILNS1_25lookback_scan_determinismE0ELb0ES3_PKiN6hipcub16HIPCUB_304000_NS21ConstantInputIteratorIilEEPiiNSB_3SumENSB_8EqualityEiEE10hipError_tPvRmT2_T3_T4_T5_mT6_T7_P12ihipStream_tbENKUlT_T0_E_clISt17integral_constantIbLb0EESX_EEDaSS_ST_EUlSS_E_NS1_11comp_targetILNS1_3genE0ELNS1_11target_archE4294967295ELNS1_3gpuE0ELNS1_3repE0EEENS1_30default_config_static_selectorELNS0_4arch9wavefront6targetE0EEEvT1_.has_recursion, 0
	.set _ZN7rocprim17ROCPRIM_400000_NS6detail17trampoline_kernelINS0_14default_configENS1_27scan_by_key_config_selectorIiiEEZZNS1_16scan_by_key_implILNS1_25lookback_scan_determinismE0ELb0ES3_PKiN6hipcub16HIPCUB_304000_NS21ConstantInputIteratorIilEEPiiNSB_3SumENSB_8EqualityEiEE10hipError_tPvRmT2_T3_T4_T5_mT6_T7_P12ihipStream_tbENKUlT_T0_E_clISt17integral_constantIbLb0EESX_EEDaSS_ST_EUlSS_E_NS1_11comp_targetILNS1_3genE0ELNS1_11target_archE4294967295ELNS1_3gpuE0ELNS1_3repE0EEENS1_30default_config_static_selectorELNS0_4arch9wavefront6targetE0EEEvT1_.has_indirect_call, 0
	.section	.AMDGPU.csdata,"",@progbits
; Kernel info:
; codeLenInByte = 0
; TotalNumSgprs: 0
; NumVgprs: 0
; ScratchSize: 0
; MemoryBound: 0
; FloatMode: 240
; IeeeMode: 1
; LDSByteSize: 0 bytes/workgroup (compile time only)
; SGPRBlocks: 0
; VGPRBlocks: 0
; NumSGPRsForWavesPerEU: 1
; NumVGPRsForWavesPerEU: 1
; Occupancy: 16
; WaveLimiterHint : 0
; COMPUTE_PGM_RSRC2:SCRATCH_EN: 0
; COMPUTE_PGM_RSRC2:USER_SGPR: 6
; COMPUTE_PGM_RSRC2:TRAP_HANDLER: 0
; COMPUTE_PGM_RSRC2:TGID_X_EN: 1
; COMPUTE_PGM_RSRC2:TGID_Y_EN: 0
; COMPUTE_PGM_RSRC2:TGID_Z_EN: 0
; COMPUTE_PGM_RSRC2:TIDIG_COMP_CNT: 0
	.section	.text._ZN7rocprim17ROCPRIM_400000_NS6detail17trampoline_kernelINS0_14default_configENS1_27scan_by_key_config_selectorIiiEEZZNS1_16scan_by_key_implILNS1_25lookback_scan_determinismE0ELb0ES3_PKiN6hipcub16HIPCUB_304000_NS21ConstantInputIteratorIilEEPiiNSB_3SumENSB_8EqualityEiEE10hipError_tPvRmT2_T3_T4_T5_mT6_T7_P12ihipStream_tbENKUlT_T0_E_clISt17integral_constantIbLb0EESX_EEDaSS_ST_EUlSS_E_NS1_11comp_targetILNS1_3genE10ELNS1_11target_archE1201ELNS1_3gpuE5ELNS1_3repE0EEENS1_30default_config_static_selectorELNS0_4arch9wavefront6targetE0EEEvT1_,"axG",@progbits,_ZN7rocprim17ROCPRIM_400000_NS6detail17trampoline_kernelINS0_14default_configENS1_27scan_by_key_config_selectorIiiEEZZNS1_16scan_by_key_implILNS1_25lookback_scan_determinismE0ELb0ES3_PKiN6hipcub16HIPCUB_304000_NS21ConstantInputIteratorIilEEPiiNSB_3SumENSB_8EqualityEiEE10hipError_tPvRmT2_T3_T4_T5_mT6_T7_P12ihipStream_tbENKUlT_T0_E_clISt17integral_constantIbLb0EESX_EEDaSS_ST_EUlSS_E_NS1_11comp_targetILNS1_3genE10ELNS1_11target_archE1201ELNS1_3gpuE5ELNS1_3repE0EEENS1_30default_config_static_selectorELNS0_4arch9wavefront6targetE0EEEvT1_,comdat
	.protected	_ZN7rocprim17ROCPRIM_400000_NS6detail17trampoline_kernelINS0_14default_configENS1_27scan_by_key_config_selectorIiiEEZZNS1_16scan_by_key_implILNS1_25lookback_scan_determinismE0ELb0ES3_PKiN6hipcub16HIPCUB_304000_NS21ConstantInputIteratorIilEEPiiNSB_3SumENSB_8EqualityEiEE10hipError_tPvRmT2_T3_T4_T5_mT6_T7_P12ihipStream_tbENKUlT_T0_E_clISt17integral_constantIbLb0EESX_EEDaSS_ST_EUlSS_E_NS1_11comp_targetILNS1_3genE10ELNS1_11target_archE1201ELNS1_3gpuE5ELNS1_3repE0EEENS1_30default_config_static_selectorELNS0_4arch9wavefront6targetE0EEEvT1_ ; -- Begin function _ZN7rocprim17ROCPRIM_400000_NS6detail17trampoline_kernelINS0_14default_configENS1_27scan_by_key_config_selectorIiiEEZZNS1_16scan_by_key_implILNS1_25lookback_scan_determinismE0ELb0ES3_PKiN6hipcub16HIPCUB_304000_NS21ConstantInputIteratorIilEEPiiNSB_3SumENSB_8EqualityEiEE10hipError_tPvRmT2_T3_T4_T5_mT6_T7_P12ihipStream_tbENKUlT_T0_E_clISt17integral_constantIbLb0EESX_EEDaSS_ST_EUlSS_E_NS1_11comp_targetILNS1_3genE10ELNS1_11target_archE1201ELNS1_3gpuE5ELNS1_3repE0EEENS1_30default_config_static_selectorELNS0_4arch9wavefront6targetE0EEEvT1_
	.globl	_ZN7rocprim17ROCPRIM_400000_NS6detail17trampoline_kernelINS0_14default_configENS1_27scan_by_key_config_selectorIiiEEZZNS1_16scan_by_key_implILNS1_25lookback_scan_determinismE0ELb0ES3_PKiN6hipcub16HIPCUB_304000_NS21ConstantInputIteratorIilEEPiiNSB_3SumENSB_8EqualityEiEE10hipError_tPvRmT2_T3_T4_T5_mT6_T7_P12ihipStream_tbENKUlT_T0_E_clISt17integral_constantIbLb0EESX_EEDaSS_ST_EUlSS_E_NS1_11comp_targetILNS1_3genE10ELNS1_11target_archE1201ELNS1_3gpuE5ELNS1_3repE0EEENS1_30default_config_static_selectorELNS0_4arch9wavefront6targetE0EEEvT1_
	.p2align	8
	.type	_ZN7rocprim17ROCPRIM_400000_NS6detail17trampoline_kernelINS0_14default_configENS1_27scan_by_key_config_selectorIiiEEZZNS1_16scan_by_key_implILNS1_25lookback_scan_determinismE0ELb0ES3_PKiN6hipcub16HIPCUB_304000_NS21ConstantInputIteratorIilEEPiiNSB_3SumENSB_8EqualityEiEE10hipError_tPvRmT2_T3_T4_T5_mT6_T7_P12ihipStream_tbENKUlT_T0_E_clISt17integral_constantIbLb0EESX_EEDaSS_ST_EUlSS_E_NS1_11comp_targetILNS1_3genE10ELNS1_11target_archE1201ELNS1_3gpuE5ELNS1_3repE0EEENS1_30default_config_static_selectorELNS0_4arch9wavefront6targetE0EEEvT1_,@function
_ZN7rocprim17ROCPRIM_400000_NS6detail17trampoline_kernelINS0_14default_configENS1_27scan_by_key_config_selectorIiiEEZZNS1_16scan_by_key_implILNS1_25lookback_scan_determinismE0ELb0ES3_PKiN6hipcub16HIPCUB_304000_NS21ConstantInputIteratorIilEEPiiNSB_3SumENSB_8EqualityEiEE10hipError_tPvRmT2_T3_T4_T5_mT6_T7_P12ihipStream_tbENKUlT_T0_E_clISt17integral_constantIbLb0EESX_EEDaSS_ST_EUlSS_E_NS1_11comp_targetILNS1_3genE10ELNS1_11target_archE1201ELNS1_3gpuE5ELNS1_3repE0EEENS1_30default_config_static_selectorELNS0_4arch9wavefront6targetE0EEEvT1_: ; @_ZN7rocprim17ROCPRIM_400000_NS6detail17trampoline_kernelINS0_14default_configENS1_27scan_by_key_config_selectorIiiEEZZNS1_16scan_by_key_implILNS1_25lookback_scan_determinismE0ELb0ES3_PKiN6hipcub16HIPCUB_304000_NS21ConstantInputIteratorIilEEPiiNSB_3SumENSB_8EqualityEiEE10hipError_tPvRmT2_T3_T4_T5_mT6_T7_P12ihipStream_tbENKUlT_T0_E_clISt17integral_constantIbLb0EESX_EEDaSS_ST_EUlSS_E_NS1_11comp_targetILNS1_3genE10ELNS1_11target_archE1201ELNS1_3gpuE5ELNS1_3repE0EEENS1_30default_config_static_selectorELNS0_4arch9wavefront6targetE0EEEvT1_
; %bb.0:
	.section	.rodata,"a",@progbits
	.p2align	6, 0x0
	.amdhsa_kernel _ZN7rocprim17ROCPRIM_400000_NS6detail17trampoline_kernelINS0_14default_configENS1_27scan_by_key_config_selectorIiiEEZZNS1_16scan_by_key_implILNS1_25lookback_scan_determinismE0ELb0ES3_PKiN6hipcub16HIPCUB_304000_NS21ConstantInputIteratorIilEEPiiNSB_3SumENSB_8EqualityEiEE10hipError_tPvRmT2_T3_T4_T5_mT6_T7_P12ihipStream_tbENKUlT_T0_E_clISt17integral_constantIbLb0EESX_EEDaSS_ST_EUlSS_E_NS1_11comp_targetILNS1_3genE10ELNS1_11target_archE1201ELNS1_3gpuE5ELNS1_3repE0EEENS1_30default_config_static_selectorELNS0_4arch9wavefront6targetE0EEEvT1_
		.amdhsa_group_segment_fixed_size 0
		.amdhsa_private_segment_fixed_size 0
		.amdhsa_kernarg_size 120
		.amdhsa_user_sgpr_count 6
		.amdhsa_user_sgpr_private_segment_buffer 1
		.amdhsa_user_sgpr_dispatch_ptr 0
		.amdhsa_user_sgpr_queue_ptr 0
		.amdhsa_user_sgpr_kernarg_segment_ptr 1
		.amdhsa_user_sgpr_dispatch_id 0
		.amdhsa_user_sgpr_flat_scratch_init 0
		.amdhsa_user_sgpr_private_segment_size 0
		.amdhsa_wavefront_size32 1
		.amdhsa_uses_dynamic_stack 0
		.amdhsa_system_sgpr_private_segment_wavefront_offset 0
		.amdhsa_system_sgpr_workgroup_id_x 1
		.amdhsa_system_sgpr_workgroup_id_y 0
		.amdhsa_system_sgpr_workgroup_id_z 0
		.amdhsa_system_sgpr_workgroup_info 0
		.amdhsa_system_vgpr_workitem_id 0
		.amdhsa_next_free_vgpr 1
		.amdhsa_next_free_sgpr 1
		.amdhsa_reserve_vcc 0
		.amdhsa_reserve_flat_scratch 0
		.amdhsa_float_round_mode_32 0
		.amdhsa_float_round_mode_16_64 0
		.amdhsa_float_denorm_mode_32 3
		.amdhsa_float_denorm_mode_16_64 3
		.amdhsa_dx10_clamp 1
		.amdhsa_ieee_mode 1
		.amdhsa_fp16_overflow 0
		.amdhsa_workgroup_processor_mode 1
		.amdhsa_memory_ordered 1
		.amdhsa_forward_progress 1
		.amdhsa_shared_vgpr_count 0
		.amdhsa_exception_fp_ieee_invalid_op 0
		.amdhsa_exception_fp_denorm_src 0
		.amdhsa_exception_fp_ieee_div_zero 0
		.amdhsa_exception_fp_ieee_overflow 0
		.amdhsa_exception_fp_ieee_underflow 0
		.amdhsa_exception_fp_ieee_inexact 0
		.amdhsa_exception_int_div_zero 0
	.end_amdhsa_kernel
	.section	.text._ZN7rocprim17ROCPRIM_400000_NS6detail17trampoline_kernelINS0_14default_configENS1_27scan_by_key_config_selectorIiiEEZZNS1_16scan_by_key_implILNS1_25lookback_scan_determinismE0ELb0ES3_PKiN6hipcub16HIPCUB_304000_NS21ConstantInputIteratorIilEEPiiNSB_3SumENSB_8EqualityEiEE10hipError_tPvRmT2_T3_T4_T5_mT6_T7_P12ihipStream_tbENKUlT_T0_E_clISt17integral_constantIbLb0EESX_EEDaSS_ST_EUlSS_E_NS1_11comp_targetILNS1_3genE10ELNS1_11target_archE1201ELNS1_3gpuE5ELNS1_3repE0EEENS1_30default_config_static_selectorELNS0_4arch9wavefront6targetE0EEEvT1_,"axG",@progbits,_ZN7rocprim17ROCPRIM_400000_NS6detail17trampoline_kernelINS0_14default_configENS1_27scan_by_key_config_selectorIiiEEZZNS1_16scan_by_key_implILNS1_25lookback_scan_determinismE0ELb0ES3_PKiN6hipcub16HIPCUB_304000_NS21ConstantInputIteratorIilEEPiiNSB_3SumENSB_8EqualityEiEE10hipError_tPvRmT2_T3_T4_T5_mT6_T7_P12ihipStream_tbENKUlT_T0_E_clISt17integral_constantIbLb0EESX_EEDaSS_ST_EUlSS_E_NS1_11comp_targetILNS1_3genE10ELNS1_11target_archE1201ELNS1_3gpuE5ELNS1_3repE0EEENS1_30default_config_static_selectorELNS0_4arch9wavefront6targetE0EEEvT1_,comdat
.Lfunc_end11:
	.size	_ZN7rocprim17ROCPRIM_400000_NS6detail17trampoline_kernelINS0_14default_configENS1_27scan_by_key_config_selectorIiiEEZZNS1_16scan_by_key_implILNS1_25lookback_scan_determinismE0ELb0ES3_PKiN6hipcub16HIPCUB_304000_NS21ConstantInputIteratorIilEEPiiNSB_3SumENSB_8EqualityEiEE10hipError_tPvRmT2_T3_T4_T5_mT6_T7_P12ihipStream_tbENKUlT_T0_E_clISt17integral_constantIbLb0EESX_EEDaSS_ST_EUlSS_E_NS1_11comp_targetILNS1_3genE10ELNS1_11target_archE1201ELNS1_3gpuE5ELNS1_3repE0EEENS1_30default_config_static_selectorELNS0_4arch9wavefront6targetE0EEEvT1_, .Lfunc_end11-_ZN7rocprim17ROCPRIM_400000_NS6detail17trampoline_kernelINS0_14default_configENS1_27scan_by_key_config_selectorIiiEEZZNS1_16scan_by_key_implILNS1_25lookback_scan_determinismE0ELb0ES3_PKiN6hipcub16HIPCUB_304000_NS21ConstantInputIteratorIilEEPiiNSB_3SumENSB_8EqualityEiEE10hipError_tPvRmT2_T3_T4_T5_mT6_T7_P12ihipStream_tbENKUlT_T0_E_clISt17integral_constantIbLb0EESX_EEDaSS_ST_EUlSS_E_NS1_11comp_targetILNS1_3genE10ELNS1_11target_archE1201ELNS1_3gpuE5ELNS1_3repE0EEENS1_30default_config_static_selectorELNS0_4arch9wavefront6targetE0EEEvT1_
                                        ; -- End function
	.set _ZN7rocprim17ROCPRIM_400000_NS6detail17trampoline_kernelINS0_14default_configENS1_27scan_by_key_config_selectorIiiEEZZNS1_16scan_by_key_implILNS1_25lookback_scan_determinismE0ELb0ES3_PKiN6hipcub16HIPCUB_304000_NS21ConstantInputIteratorIilEEPiiNSB_3SumENSB_8EqualityEiEE10hipError_tPvRmT2_T3_T4_T5_mT6_T7_P12ihipStream_tbENKUlT_T0_E_clISt17integral_constantIbLb0EESX_EEDaSS_ST_EUlSS_E_NS1_11comp_targetILNS1_3genE10ELNS1_11target_archE1201ELNS1_3gpuE5ELNS1_3repE0EEENS1_30default_config_static_selectorELNS0_4arch9wavefront6targetE0EEEvT1_.num_vgpr, 0
	.set _ZN7rocprim17ROCPRIM_400000_NS6detail17trampoline_kernelINS0_14default_configENS1_27scan_by_key_config_selectorIiiEEZZNS1_16scan_by_key_implILNS1_25lookback_scan_determinismE0ELb0ES3_PKiN6hipcub16HIPCUB_304000_NS21ConstantInputIteratorIilEEPiiNSB_3SumENSB_8EqualityEiEE10hipError_tPvRmT2_T3_T4_T5_mT6_T7_P12ihipStream_tbENKUlT_T0_E_clISt17integral_constantIbLb0EESX_EEDaSS_ST_EUlSS_E_NS1_11comp_targetILNS1_3genE10ELNS1_11target_archE1201ELNS1_3gpuE5ELNS1_3repE0EEENS1_30default_config_static_selectorELNS0_4arch9wavefront6targetE0EEEvT1_.num_agpr, 0
	.set _ZN7rocprim17ROCPRIM_400000_NS6detail17trampoline_kernelINS0_14default_configENS1_27scan_by_key_config_selectorIiiEEZZNS1_16scan_by_key_implILNS1_25lookback_scan_determinismE0ELb0ES3_PKiN6hipcub16HIPCUB_304000_NS21ConstantInputIteratorIilEEPiiNSB_3SumENSB_8EqualityEiEE10hipError_tPvRmT2_T3_T4_T5_mT6_T7_P12ihipStream_tbENKUlT_T0_E_clISt17integral_constantIbLb0EESX_EEDaSS_ST_EUlSS_E_NS1_11comp_targetILNS1_3genE10ELNS1_11target_archE1201ELNS1_3gpuE5ELNS1_3repE0EEENS1_30default_config_static_selectorELNS0_4arch9wavefront6targetE0EEEvT1_.numbered_sgpr, 0
	.set _ZN7rocprim17ROCPRIM_400000_NS6detail17trampoline_kernelINS0_14default_configENS1_27scan_by_key_config_selectorIiiEEZZNS1_16scan_by_key_implILNS1_25lookback_scan_determinismE0ELb0ES3_PKiN6hipcub16HIPCUB_304000_NS21ConstantInputIteratorIilEEPiiNSB_3SumENSB_8EqualityEiEE10hipError_tPvRmT2_T3_T4_T5_mT6_T7_P12ihipStream_tbENKUlT_T0_E_clISt17integral_constantIbLb0EESX_EEDaSS_ST_EUlSS_E_NS1_11comp_targetILNS1_3genE10ELNS1_11target_archE1201ELNS1_3gpuE5ELNS1_3repE0EEENS1_30default_config_static_selectorELNS0_4arch9wavefront6targetE0EEEvT1_.num_named_barrier, 0
	.set _ZN7rocprim17ROCPRIM_400000_NS6detail17trampoline_kernelINS0_14default_configENS1_27scan_by_key_config_selectorIiiEEZZNS1_16scan_by_key_implILNS1_25lookback_scan_determinismE0ELb0ES3_PKiN6hipcub16HIPCUB_304000_NS21ConstantInputIteratorIilEEPiiNSB_3SumENSB_8EqualityEiEE10hipError_tPvRmT2_T3_T4_T5_mT6_T7_P12ihipStream_tbENKUlT_T0_E_clISt17integral_constantIbLb0EESX_EEDaSS_ST_EUlSS_E_NS1_11comp_targetILNS1_3genE10ELNS1_11target_archE1201ELNS1_3gpuE5ELNS1_3repE0EEENS1_30default_config_static_selectorELNS0_4arch9wavefront6targetE0EEEvT1_.private_seg_size, 0
	.set _ZN7rocprim17ROCPRIM_400000_NS6detail17trampoline_kernelINS0_14default_configENS1_27scan_by_key_config_selectorIiiEEZZNS1_16scan_by_key_implILNS1_25lookback_scan_determinismE0ELb0ES3_PKiN6hipcub16HIPCUB_304000_NS21ConstantInputIteratorIilEEPiiNSB_3SumENSB_8EqualityEiEE10hipError_tPvRmT2_T3_T4_T5_mT6_T7_P12ihipStream_tbENKUlT_T0_E_clISt17integral_constantIbLb0EESX_EEDaSS_ST_EUlSS_E_NS1_11comp_targetILNS1_3genE10ELNS1_11target_archE1201ELNS1_3gpuE5ELNS1_3repE0EEENS1_30default_config_static_selectorELNS0_4arch9wavefront6targetE0EEEvT1_.uses_vcc, 0
	.set _ZN7rocprim17ROCPRIM_400000_NS6detail17trampoline_kernelINS0_14default_configENS1_27scan_by_key_config_selectorIiiEEZZNS1_16scan_by_key_implILNS1_25lookback_scan_determinismE0ELb0ES3_PKiN6hipcub16HIPCUB_304000_NS21ConstantInputIteratorIilEEPiiNSB_3SumENSB_8EqualityEiEE10hipError_tPvRmT2_T3_T4_T5_mT6_T7_P12ihipStream_tbENKUlT_T0_E_clISt17integral_constantIbLb0EESX_EEDaSS_ST_EUlSS_E_NS1_11comp_targetILNS1_3genE10ELNS1_11target_archE1201ELNS1_3gpuE5ELNS1_3repE0EEENS1_30default_config_static_selectorELNS0_4arch9wavefront6targetE0EEEvT1_.uses_flat_scratch, 0
	.set _ZN7rocprim17ROCPRIM_400000_NS6detail17trampoline_kernelINS0_14default_configENS1_27scan_by_key_config_selectorIiiEEZZNS1_16scan_by_key_implILNS1_25lookback_scan_determinismE0ELb0ES3_PKiN6hipcub16HIPCUB_304000_NS21ConstantInputIteratorIilEEPiiNSB_3SumENSB_8EqualityEiEE10hipError_tPvRmT2_T3_T4_T5_mT6_T7_P12ihipStream_tbENKUlT_T0_E_clISt17integral_constantIbLb0EESX_EEDaSS_ST_EUlSS_E_NS1_11comp_targetILNS1_3genE10ELNS1_11target_archE1201ELNS1_3gpuE5ELNS1_3repE0EEENS1_30default_config_static_selectorELNS0_4arch9wavefront6targetE0EEEvT1_.has_dyn_sized_stack, 0
	.set _ZN7rocprim17ROCPRIM_400000_NS6detail17trampoline_kernelINS0_14default_configENS1_27scan_by_key_config_selectorIiiEEZZNS1_16scan_by_key_implILNS1_25lookback_scan_determinismE0ELb0ES3_PKiN6hipcub16HIPCUB_304000_NS21ConstantInputIteratorIilEEPiiNSB_3SumENSB_8EqualityEiEE10hipError_tPvRmT2_T3_T4_T5_mT6_T7_P12ihipStream_tbENKUlT_T0_E_clISt17integral_constantIbLb0EESX_EEDaSS_ST_EUlSS_E_NS1_11comp_targetILNS1_3genE10ELNS1_11target_archE1201ELNS1_3gpuE5ELNS1_3repE0EEENS1_30default_config_static_selectorELNS0_4arch9wavefront6targetE0EEEvT1_.has_recursion, 0
	.set _ZN7rocprim17ROCPRIM_400000_NS6detail17trampoline_kernelINS0_14default_configENS1_27scan_by_key_config_selectorIiiEEZZNS1_16scan_by_key_implILNS1_25lookback_scan_determinismE0ELb0ES3_PKiN6hipcub16HIPCUB_304000_NS21ConstantInputIteratorIilEEPiiNSB_3SumENSB_8EqualityEiEE10hipError_tPvRmT2_T3_T4_T5_mT6_T7_P12ihipStream_tbENKUlT_T0_E_clISt17integral_constantIbLb0EESX_EEDaSS_ST_EUlSS_E_NS1_11comp_targetILNS1_3genE10ELNS1_11target_archE1201ELNS1_3gpuE5ELNS1_3repE0EEENS1_30default_config_static_selectorELNS0_4arch9wavefront6targetE0EEEvT1_.has_indirect_call, 0
	.section	.AMDGPU.csdata,"",@progbits
; Kernel info:
; codeLenInByte = 0
; TotalNumSgprs: 0
; NumVgprs: 0
; ScratchSize: 0
; MemoryBound: 0
; FloatMode: 240
; IeeeMode: 1
; LDSByteSize: 0 bytes/workgroup (compile time only)
; SGPRBlocks: 0
; VGPRBlocks: 0
; NumSGPRsForWavesPerEU: 1
; NumVGPRsForWavesPerEU: 1
; Occupancy: 16
; WaveLimiterHint : 0
; COMPUTE_PGM_RSRC2:SCRATCH_EN: 0
; COMPUTE_PGM_RSRC2:USER_SGPR: 6
; COMPUTE_PGM_RSRC2:TRAP_HANDLER: 0
; COMPUTE_PGM_RSRC2:TGID_X_EN: 1
; COMPUTE_PGM_RSRC2:TGID_Y_EN: 0
; COMPUTE_PGM_RSRC2:TGID_Z_EN: 0
; COMPUTE_PGM_RSRC2:TIDIG_COMP_CNT: 0
	.section	.text._ZN7rocprim17ROCPRIM_400000_NS6detail17trampoline_kernelINS0_14default_configENS1_27scan_by_key_config_selectorIiiEEZZNS1_16scan_by_key_implILNS1_25lookback_scan_determinismE0ELb0ES3_PKiN6hipcub16HIPCUB_304000_NS21ConstantInputIteratorIilEEPiiNSB_3SumENSB_8EqualityEiEE10hipError_tPvRmT2_T3_T4_T5_mT6_T7_P12ihipStream_tbENKUlT_T0_E_clISt17integral_constantIbLb0EESX_EEDaSS_ST_EUlSS_E_NS1_11comp_targetILNS1_3genE5ELNS1_11target_archE942ELNS1_3gpuE9ELNS1_3repE0EEENS1_30default_config_static_selectorELNS0_4arch9wavefront6targetE0EEEvT1_,"axG",@progbits,_ZN7rocprim17ROCPRIM_400000_NS6detail17trampoline_kernelINS0_14default_configENS1_27scan_by_key_config_selectorIiiEEZZNS1_16scan_by_key_implILNS1_25lookback_scan_determinismE0ELb0ES3_PKiN6hipcub16HIPCUB_304000_NS21ConstantInputIteratorIilEEPiiNSB_3SumENSB_8EqualityEiEE10hipError_tPvRmT2_T3_T4_T5_mT6_T7_P12ihipStream_tbENKUlT_T0_E_clISt17integral_constantIbLb0EESX_EEDaSS_ST_EUlSS_E_NS1_11comp_targetILNS1_3genE5ELNS1_11target_archE942ELNS1_3gpuE9ELNS1_3repE0EEENS1_30default_config_static_selectorELNS0_4arch9wavefront6targetE0EEEvT1_,comdat
	.protected	_ZN7rocprim17ROCPRIM_400000_NS6detail17trampoline_kernelINS0_14default_configENS1_27scan_by_key_config_selectorIiiEEZZNS1_16scan_by_key_implILNS1_25lookback_scan_determinismE0ELb0ES3_PKiN6hipcub16HIPCUB_304000_NS21ConstantInputIteratorIilEEPiiNSB_3SumENSB_8EqualityEiEE10hipError_tPvRmT2_T3_T4_T5_mT6_T7_P12ihipStream_tbENKUlT_T0_E_clISt17integral_constantIbLb0EESX_EEDaSS_ST_EUlSS_E_NS1_11comp_targetILNS1_3genE5ELNS1_11target_archE942ELNS1_3gpuE9ELNS1_3repE0EEENS1_30default_config_static_selectorELNS0_4arch9wavefront6targetE0EEEvT1_ ; -- Begin function _ZN7rocprim17ROCPRIM_400000_NS6detail17trampoline_kernelINS0_14default_configENS1_27scan_by_key_config_selectorIiiEEZZNS1_16scan_by_key_implILNS1_25lookback_scan_determinismE0ELb0ES3_PKiN6hipcub16HIPCUB_304000_NS21ConstantInputIteratorIilEEPiiNSB_3SumENSB_8EqualityEiEE10hipError_tPvRmT2_T3_T4_T5_mT6_T7_P12ihipStream_tbENKUlT_T0_E_clISt17integral_constantIbLb0EESX_EEDaSS_ST_EUlSS_E_NS1_11comp_targetILNS1_3genE5ELNS1_11target_archE942ELNS1_3gpuE9ELNS1_3repE0EEENS1_30default_config_static_selectorELNS0_4arch9wavefront6targetE0EEEvT1_
	.globl	_ZN7rocprim17ROCPRIM_400000_NS6detail17trampoline_kernelINS0_14default_configENS1_27scan_by_key_config_selectorIiiEEZZNS1_16scan_by_key_implILNS1_25lookback_scan_determinismE0ELb0ES3_PKiN6hipcub16HIPCUB_304000_NS21ConstantInputIteratorIilEEPiiNSB_3SumENSB_8EqualityEiEE10hipError_tPvRmT2_T3_T4_T5_mT6_T7_P12ihipStream_tbENKUlT_T0_E_clISt17integral_constantIbLb0EESX_EEDaSS_ST_EUlSS_E_NS1_11comp_targetILNS1_3genE5ELNS1_11target_archE942ELNS1_3gpuE9ELNS1_3repE0EEENS1_30default_config_static_selectorELNS0_4arch9wavefront6targetE0EEEvT1_
	.p2align	8
	.type	_ZN7rocprim17ROCPRIM_400000_NS6detail17trampoline_kernelINS0_14default_configENS1_27scan_by_key_config_selectorIiiEEZZNS1_16scan_by_key_implILNS1_25lookback_scan_determinismE0ELb0ES3_PKiN6hipcub16HIPCUB_304000_NS21ConstantInputIteratorIilEEPiiNSB_3SumENSB_8EqualityEiEE10hipError_tPvRmT2_T3_T4_T5_mT6_T7_P12ihipStream_tbENKUlT_T0_E_clISt17integral_constantIbLb0EESX_EEDaSS_ST_EUlSS_E_NS1_11comp_targetILNS1_3genE5ELNS1_11target_archE942ELNS1_3gpuE9ELNS1_3repE0EEENS1_30default_config_static_selectorELNS0_4arch9wavefront6targetE0EEEvT1_,@function
_ZN7rocprim17ROCPRIM_400000_NS6detail17trampoline_kernelINS0_14default_configENS1_27scan_by_key_config_selectorIiiEEZZNS1_16scan_by_key_implILNS1_25lookback_scan_determinismE0ELb0ES3_PKiN6hipcub16HIPCUB_304000_NS21ConstantInputIteratorIilEEPiiNSB_3SumENSB_8EqualityEiEE10hipError_tPvRmT2_T3_T4_T5_mT6_T7_P12ihipStream_tbENKUlT_T0_E_clISt17integral_constantIbLb0EESX_EEDaSS_ST_EUlSS_E_NS1_11comp_targetILNS1_3genE5ELNS1_11target_archE942ELNS1_3gpuE9ELNS1_3repE0EEENS1_30default_config_static_selectorELNS0_4arch9wavefront6targetE0EEEvT1_: ; @_ZN7rocprim17ROCPRIM_400000_NS6detail17trampoline_kernelINS0_14default_configENS1_27scan_by_key_config_selectorIiiEEZZNS1_16scan_by_key_implILNS1_25lookback_scan_determinismE0ELb0ES3_PKiN6hipcub16HIPCUB_304000_NS21ConstantInputIteratorIilEEPiiNSB_3SumENSB_8EqualityEiEE10hipError_tPvRmT2_T3_T4_T5_mT6_T7_P12ihipStream_tbENKUlT_T0_E_clISt17integral_constantIbLb0EESX_EEDaSS_ST_EUlSS_E_NS1_11comp_targetILNS1_3genE5ELNS1_11target_archE942ELNS1_3gpuE9ELNS1_3repE0EEENS1_30default_config_static_selectorELNS0_4arch9wavefront6targetE0EEEvT1_
; %bb.0:
	.section	.rodata,"a",@progbits
	.p2align	6, 0x0
	.amdhsa_kernel _ZN7rocprim17ROCPRIM_400000_NS6detail17trampoline_kernelINS0_14default_configENS1_27scan_by_key_config_selectorIiiEEZZNS1_16scan_by_key_implILNS1_25lookback_scan_determinismE0ELb0ES3_PKiN6hipcub16HIPCUB_304000_NS21ConstantInputIteratorIilEEPiiNSB_3SumENSB_8EqualityEiEE10hipError_tPvRmT2_T3_T4_T5_mT6_T7_P12ihipStream_tbENKUlT_T0_E_clISt17integral_constantIbLb0EESX_EEDaSS_ST_EUlSS_E_NS1_11comp_targetILNS1_3genE5ELNS1_11target_archE942ELNS1_3gpuE9ELNS1_3repE0EEENS1_30default_config_static_selectorELNS0_4arch9wavefront6targetE0EEEvT1_
		.amdhsa_group_segment_fixed_size 0
		.amdhsa_private_segment_fixed_size 0
		.amdhsa_kernarg_size 120
		.amdhsa_user_sgpr_count 6
		.amdhsa_user_sgpr_private_segment_buffer 1
		.amdhsa_user_sgpr_dispatch_ptr 0
		.amdhsa_user_sgpr_queue_ptr 0
		.amdhsa_user_sgpr_kernarg_segment_ptr 1
		.amdhsa_user_sgpr_dispatch_id 0
		.amdhsa_user_sgpr_flat_scratch_init 0
		.amdhsa_user_sgpr_private_segment_size 0
		.amdhsa_wavefront_size32 1
		.amdhsa_uses_dynamic_stack 0
		.amdhsa_system_sgpr_private_segment_wavefront_offset 0
		.amdhsa_system_sgpr_workgroup_id_x 1
		.amdhsa_system_sgpr_workgroup_id_y 0
		.amdhsa_system_sgpr_workgroup_id_z 0
		.amdhsa_system_sgpr_workgroup_info 0
		.amdhsa_system_vgpr_workitem_id 0
		.amdhsa_next_free_vgpr 1
		.amdhsa_next_free_sgpr 1
		.amdhsa_reserve_vcc 0
		.amdhsa_reserve_flat_scratch 0
		.amdhsa_float_round_mode_32 0
		.amdhsa_float_round_mode_16_64 0
		.amdhsa_float_denorm_mode_32 3
		.amdhsa_float_denorm_mode_16_64 3
		.amdhsa_dx10_clamp 1
		.amdhsa_ieee_mode 1
		.amdhsa_fp16_overflow 0
		.amdhsa_workgroup_processor_mode 1
		.amdhsa_memory_ordered 1
		.amdhsa_forward_progress 1
		.amdhsa_shared_vgpr_count 0
		.amdhsa_exception_fp_ieee_invalid_op 0
		.amdhsa_exception_fp_denorm_src 0
		.amdhsa_exception_fp_ieee_div_zero 0
		.amdhsa_exception_fp_ieee_overflow 0
		.amdhsa_exception_fp_ieee_underflow 0
		.amdhsa_exception_fp_ieee_inexact 0
		.amdhsa_exception_int_div_zero 0
	.end_amdhsa_kernel
	.section	.text._ZN7rocprim17ROCPRIM_400000_NS6detail17trampoline_kernelINS0_14default_configENS1_27scan_by_key_config_selectorIiiEEZZNS1_16scan_by_key_implILNS1_25lookback_scan_determinismE0ELb0ES3_PKiN6hipcub16HIPCUB_304000_NS21ConstantInputIteratorIilEEPiiNSB_3SumENSB_8EqualityEiEE10hipError_tPvRmT2_T3_T4_T5_mT6_T7_P12ihipStream_tbENKUlT_T0_E_clISt17integral_constantIbLb0EESX_EEDaSS_ST_EUlSS_E_NS1_11comp_targetILNS1_3genE5ELNS1_11target_archE942ELNS1_3gpuE9ELNS1_3repE0EEENS1_30default_config_static_selectorELNS0_4arch9wavefront6targetE0EEEvT1_,"axG",@progbits,_ZN7rocprim17ROCPRIM_400000_NS6detail17trampoline_kernelINS0_14default_configENS1_27scan_by_key_config_selectorIiiEEZZNS1_16scan_by_key_implILNS1_25lookback_scan_determinismE0ELb0ES3_PKiN6hipcub16HIPCUB_304000_NS21ConstantInputIteratorIilEEPiiNSB_3SumENSB_8EqualityEiEE10hipError_tPvRmT2_T3_T4_T5_mT6_T7_P12ihipStream_tbENKUlT_T0_E_clISt17integral_constantIbLb0EESX_EEDaSS_ST_EUlSS_E_NS1_11comp_targetILNS1_3genE5ELNS1_11target_archE942ELNS1_3gpuE9ELNS1_3repE0EEENS1_30default_config_static_selectorELNS0_4arch9wavefront6targetE0EEEvT1_,comdat
.Lfunc_end12:
	.size	_ZN7rocprim17ROCPRIM_400000_NS6detail17trampoline_kernelINS0_14default_configENS1_27scan_by_key_config_selectorIiiEEZZNS1_16scan_by_key_implILNS1_25lookback_scan_determinismE0ELb0ES3_PKiN6hipcub16HIPCUB_304000_NS21ConstantInputIteratorIilEEPiiNSB_3SumENSB_8EqualityEiEE10hipError_tPvRmT2_T3_T4_T5_mT6_T7_P12ihipStream_tbENKUlT_T0_E_clISt17integral_constantIbLb0EESX_EEDaSS_ST_EUlSS_E_NS1_11comp_targetILNS1_3genE5ELNS1_11target_archE942ELNS1_3gpuE9ELNS1_3repE0EEENS1_30default_config_static_selectorELNS0_4arch9wavefront6targetE0EEEvT1_, .Lfunc_end12-_ZN7rocprim17ROCPRIM_400000_NS6detail17trampoline_kernelINS0_14default_configENS1_27scan_by_key_config_selectorIiiEEZZNS1_16scan_by_key_implILNS1_25lookback_scan_determinismE0ELb0ES3_PKiN6hipcub16HIPCUB_304000_NS21ConstantInputIteratorIilEEPiiNSB_3SumENSB_8EqualityEiEE10hipError_tPvRmT2_T3_T4_T5_mT6_T7_P12ihipStream_tbENKUlT_T0_E_clISt17integral_constantIbLb0EESX_EEDaSS_ST_EUlSS_E_NS1_11comp_targetILNS1_3genE5ELNS1_11target_archE942ELNS1_3gpuE9ELNS1_3repE0EEENS1_30default_config_static_selectorELNS0_4arch9wavefront6targetE0EEEvT1_
                                        ; -- End function
	.set _ZN7rocprim17ROCPRIM_400000_NS6detail17trampoline_kernelINS0_14default_configENS1_27scan_by_key_config_selectorIiiEEZZNS1_16scan_by_key_implILNS1_25lookback_scan_determinismE0ELb0ES3_PKiN6hipcub16HIPCUB_304000_NS21ConstantInputIteratorIilEEPiiNSB_3SumENSB_8EqualityEiEE10hipError_tPvRmT2_T3_T4_T5_mT6_T7_P12ihipStream_tbENKUlT_T0_E_clISt17integral_constantIbLb0EESX_EEDaSS_ST_EUlSS_E_NS1_11comp_targetILNS1_3genE5ELNS1_11target_archE942ELNS1_3gpuE9ELNS1_3repE0EEENS1_30default_config_static_selectorELNS0_4arch9wavefront6targetE0EEEvT1_.num_vgpr, 0
	.set _ZN7rocprim17ROCPRIM_400000_NS6detail17trampoline_kernelINS0_14default_configENS1_27scan_by_key_config_selectorIiiEEZZNS1_16scan_by_key_implILNS1_25lookback_scan_determinismE0ELb0ES3_PKiN6hipcub16HIPCUB_304000_NS21ConstantInputIteratorIilEEPiiNSB_3SumENSB_8EqualityEiEE10hipError_tPvRmT2_T3_T4_T5_mT6_T7_P12ihipStream_tbENKUlT_T0_E_clISt17integral_constantIbLb0EESX_EEDaSS_ST_EUlSS_E_NS1_11comp_targetILNS1_3genE5ELNS1_11target_archE942ELNS1_3gpuE9ELNS1_3repE0EEENS1_30default_config_static_selectorELNS0_4arch9wavefront6targetE0EEEvT1_.num_agpr, 0
	.set _ZN7rocprim17ROCPRIM_400000_NS6detail17trampoline_kernelINS0_14default_configENS1_27scan_by_key_config_selectorIiiEEZZNS1_16scan_by_key_implILNS1_25lookback_scan_determinismE0ELb0ES3_PKiN6hipcub16HIPCUB_304000_NS21ConstantInputIteratorIilEEPiiNSB_3SumENSB_8EqualityEiEE10hipError_tPvRmT2_T3_T4_T5_mT6_T7_P12ihipStream_tbENKUlT_T0_E_clISt17integral_constantIbLb0EESX_EEDaSS_ST_EUlSS_E_NS1_11comp_targetILNS1_3genE5ELNS1_11target_archE942ELNS1_3gpuE9ELNS1_3repE0EEENS1_30default_config_static_selectorELNS0_4arch9wavefront6targetE0EEEvT1_.numbered_sgpr, 0
	.set _ZN7rocprim17ROCPRIM_400000_NS6detail17trampoline_kernelINS0_14default_configENS1_27scan_by_key_config_selectorIiiEEZZNS1_16scan_by_key_implILNS1_25lookback_scan_determinismE0ELb0ES3_PKiN6hipcub16HIPCUB_304000_NS21ConstantInputIteratorIilEEPiiNSB_3SumENSB_8EqualityEiEE10hipError_tPvRmT2_T3_T4_T5_mT6_T7_P12ihipStream_tbENKUlT_T0_E_clISt17integral_constantIbLb0EESX_EEDaSS_ST_EUlSS_E_NS1_11comp_targetILNS1_3genE5ELNS1_11target_archE942ELNS1_3gpuE9ELNS1_3repE0EEENS1_30default_config_static_selectorELNS0_4arch9wavefront6targetE0EEEvT1_.num_named_barrier, 0
	.set _ZN7rocprim17ROCPRIM_400000_NS6detail17trampoline_kernelINS0_14default_configENS1_27scan_by_key_config_selectorIiiEEZZNS1_16scan_by_key_implILNS1_25lookback_scan_determinismE0ELb0ES3_PKiN6hipcub16HIPCUB_304000_NS21ConstantInputIteratorIilEEPiiNSB_3SumENSB_8EqualityEiEE10hipError_tPvRmT2_T3_T4_T5_mT6_T7_P12ihipStream_tbENKUlT_T0_E_clISt17integral_constantIbLb0EESX_EEDaSS_ST_EUlSS_E_NS1_11comp_targetILNS1_3genE5ELNS1_11target_archE942ELNS1_3gpuE9ELNS1_3repE0EEENS1_30default_config_static_selectorELNS0_4arch9wavefront6targetE0EEEvT1_.private_seg_size, 0
	.set _ZN7rocprim17ROCPRIM_400000_NS6detail17trampoline_kernelINS0_14default_configENS1_27scan_by_key_config_selectorIiiEEZZNS1_16scan_by_key_implILNS1_25lookback_scan_determinismE0ELb0ES3_PKiN6hipcub16HIPCUB_304000_NS21ConstantInputIteratorIilEEPiiNSB_3SumENSB_8EqualityEiEE10hipError_tPvRmT2_T3_T4_T5_mT6_T7_P12ihipStream_tbENKUlT_T0_E_clISt17integral_constantIbLb0EESX_EEDaSS_ST_EUlSS_E_NS1_11comp_targetILNS1_3genE5ELNS1_11target_archE942ELNS1_3gpuE9ELNS1_3repE0EEENS1_30default_config_static_selectorELNS0_4arch9wavefront6targetE0EEEvT1_.uses_vcc, 0
	.set _ZN7rocprim17ROCPRIM_400000_NS6detail17trampoline_kernelINS0_14default_configENS1_27scan_by_key_config_selectorIiiEEZZNS1_16scan_by_key_implILNS1_25lookback_scan_determinismE0ELb0ES3_PKiN6hipcub16HIPCUB_304000_NS21ConstantInputIteratorIilEEPiiNSB_3SumENSB_8EqualityEiEE10hipError_tPvRmT2_T3_T4_T5_mT6_T7_P12ihipStream_tbENKUlT_T0_E_clISt17integral_constantIbLb0EESX_EEDaSS_ST_EUlSS_E_NS1_11comp_targetILNS1_3genE5ELNS1_11target_archE942ELNS1_3gpuE9ELNS1_3repE0EEENS1_30default_config_static_selectorELNS0_4arch9wavefront6targetE0EEEvT1_.uses_flat_scratch, 0
	.set _ZN7rocprim17ROCPRIM_400000_NS6detail17trampoline_kernelINS0_14default_configENS1_27scan_by_key_config_selectorIiiEEZZNS1_16scan_by_key_implILNS1_25lookback_scan_determinismE0ELb0ES3_PKiN6hipcub16HIPCUB_304000_NS21ConstantInputIteratorIilEEPiiNSB_3SumENSB_8EqualityEiEE10hipError_tPvRmT2_T3_T4_T5_mT6_T7_P12ihipStream_tbENKUlT_T0_E_clISt17integral_constantIbLb0EESX_EEDaSS_ST_EUlSS_E_NS1_11comp_targetILNS1_3genE5ELNS1_11target_archE942ELNS1_3gpuE9ELNS1_3repE0EEENS1_30default_config_static_selectorELNS0_4arch9wavefront6targetE0EEEvT1_.has_dyn_sized_stack, 0
	.set _ZN7rocprim17ROCPRIM_400000_NS6detail17trampoline_kernelINS0_14default_configENS1_27scan_by_key_config_selectorIiiEEZZNS1_16scan_by_key_implILNS1_25lookback_scan_determinismE0ELb0ES3_PKiN6hipcub16HIPCUB_304000_NS21ConstantInputIteratorIilEEPiiNSB_3SumENSB_8EqualityEiEE10hipError_tPvRmT2_T3_T4_T5_mT6_T7_P12ihipStream_tbENKUlT_T0_E_clISt17integral_constantIbLb0EESX_EEDaSS_ST_EUlSS_E_NS1_11comp_targetILNS1_3genE5ELNS1_11target_archE942ELNS1_3gpuE9ELNS1_3repE0EEENS1_30default_config_static_selectorELNS0_4arch9wavefront6targetE0EEEvT1_.has_recursion, 0
	.set _ZN7rocprim17ROCPRIM_400000_NS6detail17trampoline_kernelINS0_14default_configENS1_27scan_by_key_config_selectorIiiEEZZNS1_16scan_by_key_implILNS1_25lookback_scan_determinismE0ELb0ES3_PKiN6hipcub16HIPCUB_304000_NS21ConstantInputIteratorIilEEPiiNSB_3SumENSB_8EqualityEiEE10hipError_tPvRmT2_T3_T4_T5_mT6_T7_P12ihipStream_tbENKUlT_T0_E_clISt17integral_constantIbLb0EESX_EEDaSS_ST_EUlSS_E_NS1_11comp_targetILNS1_3genE5ELNS1_11target_archE942ELNS1_3gpuE9ELNS1_3repE0EEENS1_30default_config_static_selectorELNS0_4arch9wavefront6targetE0EEEvT1_.has_indirect_call, 0
	.section	.AMDGPU.csdata,"",@progbits
; Kernel info:
; codeLenInByte = 0
; TotalNumSgprs: 0
; NumVgprs: 0
; ScratchSize: 0
; MemoryBound: 0
; FloatMode: 240
; IeeeMode: 1
; LDSByteSize: 0 bytes/workgroup (compile time only)
; SGPRBlocks: 0
; VGPRBlocks: 0
; NumSGPRsForWavesPerEU: 1
; NumVGPRsForWavesPerEU: 1
; Occupancy: 16
; WaveLimiterHint : 0
; COMPUTE_PGM_RSRC2:SCRATCH_EN: 0
; COMPUTE_PGM_RSRC2:USER_SGPR: 6
; COMPUTE_PGM_RSRC2:TRAP_HANDLER: 0
; COMPUTE_PGM_RSRC2:TGID_X_EN: 1
; COMPUTE_PGM_RSRC2:TGID_Y_EN: 0
; COMPUTE_PGM_RSRC2:TGID_Z_EN: 0
; COMPUTE_PGM_RSRC2:TIDIG_COMP_CNT: 0
	.section	.text._ZN7rocprim17ROCPRIM_400000_NS6detail17trampoline_kernelINS0_14default_configENS1_27scan_by_key_config_selectorIiiEEZZNS1_16scan_by_key_implILNS1_25lookback_scan_determinismE0ELb0ES3_PKiN6hipcub16HIPCUB_304000_NS21ConstantInputIteratorIilEEPiiNSB_3SumENSB_8EqualityEiEE10hipError_tPvRmT2_T3_T4_T5_mT6_T7_P12ihipStream_tbENKUlT_T0_E_clISt17integral_constantIbLb0EESX_EEDaSS_ST_EUlSS_E_NS1_11comp_targetILNS1_3genE4ELNS1_11target_archE910ELNS1_3gpuE8ELNS1_3repE0EEENS1_30default_config_static_selectorELNS0_4arch9wavefront6targetE0EEEvT1_,"axG",@progbits,_ZN7rocprim17ROCPRIM_400000_NS6detail17trampoline_kernelINS0_14default_configENS1_27scan_by_key_config_selectorIiiEEZZNS1_16scan_by_key_implILNS1_25lookback_scan_determinismE0ELb0ES3_PKiN6hipcub16HIPCUB_304000_NS21ConstantInputIteratorIilEEPiiNSB_3SumENSB_8EqualityEiEE10hipError_tPvRmT2_T3_T4_T5_mT6_T7_P12ihipStream_tbENKUlT_T0_E_clISt17integral_constantIbLb0EESX_EEDaSS_ST_EUlSS_E_NS1_11comp_targetILNS1_3genE4ELNS1_11target_archE910ELNS1_3gpuE8ELNS1_3repE0EEENS1_30default_config_static_selectorELNS0_4arch9wavefront6targetE0EEEvT1_,comdat
	.protected	_ZN7rocprim17ROCPRIM_400000_NS6detail17trampoline_kernelINS0_14default_configENS1_27scan_by_key_config_selectorIiiEEZZNS1_16scan_by_key_implILNS1_25lookback_scan_determinismE0ELb0ES3_PKiN6hipcub16HIPCUB_304000_NS21ConstantInputIteratorIilEEPiiNSB_3SumENSB_8EqualityEiEE10hipError_tPvRmT2_T3_T4_T5_mT6_T7_P12ihipStream_tbENKUlT_T0_E_clISt17integral_constantIbLb0EESX_EEDaSS_ST_EUlSS_E_NS1_11comp_targetILNS1_3genE4ELNS1_11target_archE910ELNS1_3gpuE8ELNS1_3repE0EEENS1_30default_config_static_selectorELNS0_4arch9wavefront6targetE0EEEvT1_ ; -- Begin function _ZN7rocprim17ROCPRIM_400000_NS6detail17trampoline_kernelINS0_14default_configENS1_27scan_by_key_config_selectorIiiEEZZNS1_16scan_by_key_implILNS1_25lookback_scan_determinismE0ELb0ES3_PKiN6hipcub16HIPCUB_304000_NS21ConstantInputIteratorIilEEPiiNSB_3SumENSB_8EqualityEiEE10hipError_tPvRmT2_T3_T4_T5_mT6_T7_P12ihipStream_tbENKUlT_T0_E_clISt17integral_constantIbLb0EESX_EEDaSS_ST_EUlSS_E_NS1_11comp_targetILNS1_3genE4ELNS1_11target_archE910ELNS1_3gpuE8ELNS1_3repE0EEENS1_30default_config_static_selectorELNS0_4arch9wavefront6targetE0EEEvT1_
	.globl	_ZN7rocprim17ROCPRIM_400000_NS6detail17trampoline_kernelINS0_14default_configENS1_27scan_by_key_config_selectorIiiEEZZNS1_16scan_by_key_implILNS1_25lookback_scan_determinismE0ELb0ES3_PKiN6hipcub16HIPCUB_304000_NS21ConstantInputIteratorIilEEPiiNSB_3SumENSB_8EqualityEiEE10hipError_tPvRmT2_T3_T4_T5_mT6_T7_P12ihipStream_tbENKUlT_T0_E_clISt17integral_constantIbLb0EESX_EEDaSS_ST_EUlSS_E_NS1_11comp_targetILNS1_3genE4ELNS1_11target_archE910ELNS1_3gpuE8ELNS1_3repE0EEENS1_30default_config_static_selectorELNS0_4arch9wavefront6targetE0EEEvT1_
	.p2align	8
	.type	_ZN7rocprim17ROCPRIM_400000_NS6detail17trampoline_kernelINS0_14default_configENS1_27scan_by_key_config_selectorIiiEEZZNS1_16scan_by_key_implILNS1_25lookback_scan_determinismE0ELb0ES3_PKiN6hipcub16HIPCUB_304000_NS21ConstantInputIteratorIilEEPiiNSB_3SumENSB_8EqualityEiEE10hipError_tPvRmT2_T3_T4_T5_mT6_T7_P12ihipStream_tbENKUlT_T0_E_clISt17integral_constantIbLb0EESX_EEDaSS_ST_EUlSS_E_NS1_11comp_targetILNS1_3genE4ELNS1_11target_archE910ELNS1_3gpuE8ELNS1_3repE0EEENS1_30default_config_static_selectorELNS0_4arch9wavefront6targetE0EEEvT1_,@function
_ZN7rocprim17ROCPRIM_400000_NS6detail17trampoline_kernelINS0_14default_configENS1_27scan_by_key_config_selectorIiiEEZZNS1_16scan_by_key_implILNS1_25lookback_scan_determinismE0ELb0ES3_PKiN6hipcub16HIPCUB_304000_NS21ConstantInputIteratorIilEEPiiNSB_3SumENSB_8EqualityEiEE10hipError_tPvRmT2_T3_T4_T5_mT6_T7_P12ihipStream_tbENKUlT_T0_E_clISt17integral_constantIbLb0EESX_EEDaSS_ST_EUlSS_E_NS1_11comp_targetILNS1_3genE4ELNS1_11target_archE910ELNS1_3gpuE8ELNS1_3repE0EEENS1_30default_config_static_selectorELNS0_4arch9wavefront6targetE0EEEvT1_: ; @_ZN7rocprim17ROCPRIM_400000_NS6detail17trampoline_kernelINS0_14default_configENS1_27scan_by_key_config_selectorIiiEEZZNS1_16scan_by_key_implILNS1_25lookback_scan_determinismE0ELb0ES3_PKiN6hipcub16HIPCUB_304000_NS21ConstantInputIteratorIilEEPiiNSB_3SumENSB_8EqualityEiEE10hipError_tPvRmT2_T3_T4_T5_mT6_T7_P12ihipStream_tbENKUlT_T0_E_clISt17integral_constantIbLb0EESX_EEDaSS_ST_EUlSS_E_NS1_11comp_targetILNS1_3genE4ELNS1_11target_archE910ELNS1_3gpuE8ELNS1_3repE0EEENS1_30default_config_static_selectorELNS0_4arch9wavefront6targetE0EEEvT1_
; %bb.0:
	.section	.rodata,"a",@progbits
	.p2align	6, 0x0
	.amdhsa_kernel _ZN7rocprim17ROCPRIM_400000_NS6detail17trampoline_kernelINS0_14default_configENS1_27scan_by_key_config_selectorIiiEEZZNS1_16scan_by_key_implILNS1_25lookback_scan_determinismE0ELb0ES3_PKiN6hipcub16HIPCUB_304000_NS21ConstantInputIteratorIilEEPiiNSB_3SumENSB_8EqualityEiEE10hipError_tPvRmT2_T3_T4_T5_mT6_T7_P12ihipStream_tbENKUlT_T0_E_clISt17integral_constantIbLb0EESX_EEDaSS_ST_EUlSS_E_NS1_11comp_targetILNS1_3genE4ELNS1_11target_archE910ELNS1_3gpuE8ELNS1_3repE0EEENS1_30default_config_static_selectorELNS0_4arch9wavefront6targetE0EEEvT1_
		.amdhsa_group_segment_fixed_size 0
		.amdhsa_private_segment_fixed_size 0
		.amdhsa_kernarg_size 120
		.amdhsa_user_sgpr_count 6
		.amdhsa_user_sgpr_private_segment_buffer 1
		.amdhsa_user_sgpr_dispatch_ptr 0
		.amdhsa_user_sgpr_queue_ptr 0
		.amdhsa_user_sgpr_kernarg_segment_ptr 1
		.amdhsa_user_sgpr_dispatch_id 0
		.amdhsa_user_sgpr_flat_scratch_init 0
		.amdhsa_user_sgpr_private_segment_size 0
		.amdhsa_wavefront_size32 1
		.amdhsa_uses_dynamic_stack 0
		.amdhsa_system_sgpr_private_segment_wavefront_offset 0
		.amdhsa_system_sgpr_workgroup_id_x 1
		.amdhsa_system_sgpr_workgroup_id_y 0
		.amdhsa_system_sgpr_workgroup_id_z 0
		.amdhsa_system_sgpr_workgroup_info 0
		.amdhsa_system_vgpr_workitem_id 0
		.amdhsa_next_free_vgpr 1
		.amdhsa_next_free_sgpr 1
		.amdhsa_reserve_vcc 0
		.amdhsa_reserve_flat_scratch 0
		.amdhsa_float_round_mode_32 0
		.amdhsa_float_round_mode_16_64 0
		.amdhsa_float_denorm_mode_32 3
		.amdhsa_float_denorm_mode_16_64 3
		.amdhsa_dx10_clamp 1
		.amdhsa_ieee_mode 1
		.amdhsa_fp16_overflow 0
		.amdhsa_workgroup_processor_mode 1
		.amdhsa_memory_ordered 1
		.amdhsa_forward_progress 1
		.amdhsa_shared_vgpr_count 0
		.amdhsa_exception_fp_ieee_invalid_op 0
		.amdhsa_exception_fp_denorm_src 0
		.amdhsa_exception_fp_ieee_div_zero 0
		.amdhsa_exception_fp_ieee_overflow 0
		.amdhsa_exception_fp_ieee_underflow 0
		.amdhsa_exception_fp_ieee_inexact 0
		.amdhsa_exception_int_div_zero 0
	.end_amdhsa_kernel
	.section	.text._ZN7rocprim17ROCPRIM_400000_NS6detail17trampoline_kernelINS0_14default_configENS1_27scan_by_key_config_selectorIiiEEZZNS1_16scan_by_key_implILNS1_25lookback_scan_determinismE0ELb0ES3_PKiN6hipcub16HIPCUB_304000_NS21ConstantInputIteratorIilEEPiiNSB_3SumENSB_8EqualityEiEE10hipError_tPvRmT2_T3_T4_T5_mT6_T7_P12ihipStream_tbENKUlT_T0_E_clISt17integral_constantIbLb0EESX_EEDaSS_ST_EUlSS_E_NS1_11comp_targetILNS1_3genE4ELNS1_11target_archE910ELNS1_3gpuE8ELNS1_3repE0EEENS1_30default_config_static_selectorELNS0_4arch9wavefront6targetE0EEEvT1_,"axG",@progbits,_ZN7rocprim17ROCPRIM_400000_NS6detail17trampoline_kernelINS0_14default_configENS1_27scan_by_key_config_selectorIiiEEZZNS1_16scan_by_key_implILNS1_25lookback_scan_determinismE0ELb0ES3_PKiN6hipcub16HIPCUB_304000_NS21ConstantInputIteratorIilEEPiiNSB_3SumENSB_8EqualityEiEE10hipError_tPvRmT2_T3_T4_T5_mT6_T7_P12ihipStream_tbENKUlT_T0_E_clISt17integral_constantIbLb0EESX_EEDaSS_ST_EUlSS_E_NS1_11comp_targetILNS1_3genE4ELNS1_11target_archE910ELNS1_3gpuE8ELNS1_3repE0EEENS1_30default_config_static_selectorELNS0_4arch9wavefront6targetE0EEEvT1_,comdat
.Lfunc_end13:
	.size	_ZN7rocprim17ROCPRIM_400000_NS6detail17trampoline_kernelINS0_14default_configENS1_27scan_by_key_config_selectorIiiEEZZNS1_16scan_by_key_implILNS1_25lookback_scan_determinismE0ELb0ES3_PKiN6hipcub16HIPCUB_304000_NS21ConstantInputIteratorIilEEPiiNSB_3SumENSB_8EqualityEiEE10hipError_tPvRmT2_T3_T4_T5_mT6_T7_P12ihipStream_tbENKUlT_T0_E_clISt17integral_constantIbLb0EESX_EEDaSS_ST_EUlSS_E_NS1_11comp_targetILNS1_3genE4ELNS1_11target_archE910ELNS1_3gpuE8ELNS1_3repE0EEENS1_30default_config_static_selectorELNS0_4arch9wavefront6targetE0EEEvT1_, .Lfunc_end13-_ZN7rocprim17ROCPRIM_400000_NS6detail17trampoline_kernelINS0_14default_configENS1_27scan_by_key_config_selectorIiiEEZZNS1_16scan_by_key_implILNS1_25lookback_scan_determinismE0ELb0ES3_PKiN6hipcub16HIPCUB_304000_NS21ConstantInputIteratorIilEEPiiNSB_3SumENSB_8EqualityEiEE10hipError_tPvRmT2_T3_T4_T5_mT6_T7_P12ihipStream_tbENKUlT_T0_E_clISt17integral_constantIbLb0EESX_EEDaSS_ST_EUlSS_E_NS1_11comp_targetILNS1_3genE4ELNS1_11target_archE910ELNS1_3gpuE8ELNS1_3repE0EEENS1_30default_config_static_selectorELNS0_4arch9wavefront6targetE0EEEvT1_
                                        ; -- End function
	.set _ZN7rocprim17ROCPRIM_400000_NS6detail17trampoline_kernelINS0_14default_configENS1_27scan_by_key_config_selectorIiiEEZZNS1_16scan_by_key_implILNS1_25lookback_scan_determinismE0ELb0ES3_PKiN6hipcub16HIPCUB_304000_NS21ConstantInputIteratorIilEEPiiNSB_3SumENSB_8EqualityEiEE10hipError_tPvRmT2_T3_T4_T5_mT6_T7_P12ihipStream_tbENKUlT_T0_E_clISt17integral_constantIbLb0EESX_EEDaSS_ST_EUlSS_E_NS1_11comp_targetILNS1_3genE4ELNS1_11target_archE910ELNS1_3gpuE8ELNS1_3repE0EEENS1_30default_config_static_selectorELNS0_4arch9wavefront6targetE0EEEvT1_.num_vgpr, 0
	.set _ZN7rocprim17ROCPRIM_400000_NS6detail17trampoline_kernelINS0_14default_configENS1_27scan_by_key_config_selectorIiiEEZZNS1_16scan_by_key_implILNS1_25lookback_scan_determinismE0ELb0ES3_PKiN6hipcub16HIPCUB_304000_NS21ConstantInputIteratorIilEEPiiNSB_3SumENSB_8EqualityEiEE10hipError_tPvRmT2_T3_T4_T5_mT6_T7_P12ihipStream_tbENKUlT_T0_E_clISt17integral_constantIbLb0EESX_EEDaSS_ST_EUlSS_E_NS1_11comp_targetILNS1_3genE4ELNS1_11target_archE910ELNS1_3gpuE8ELNS1_3repE0EEENS1_30default_config_static_selectorELNS0_4arch9wavefront6targetE0EEEvT1_.num_agpr, 0
	.set _ZN7rocprim17ROCPRIM_400000_NS6detail17trampoline_kernelINS0_14default_configENS1_27scan_by_key_config_selectorIiiEEZZNS1_16scan_by_key_implILNS1_25lookback_scan_determinismE0ELb0ES3_PKiN6hipcub16HIPCUB_304000_NS21ConstantInputIteratorIilEEPiiNSB_3SumENSB_8EqualityEiEE10hipError_tPvRmT2_T3_T4_T5_mT6_T7_P12ihipStream_tbENKUlT_T0_E_clISt17integral_constantIbLb0EESX_EEDaSS_ST_EUlSS_E_NS1_11comp_targetILNS1_3genE4ELNS1_11target_archE910ELNS1_3gpuE8ELNS1_3repE0EEENS1_30default_config_static_selectorELNS0_4arch9wavefront6targetE0EEEvT1_.numbered_sgpr, 0
	.set _ZN7rocprim17ROCPRIM_400000_NS6detail17trampoline_kernelINS0_14default_configENS1_27scan_by_key_config_selectorIiiEEZZNS1_16scan_by_key_implILNS1_25lookback_scan_determinismE0ELb0ES3_PKiN6hipcub16HIPCUB_304000_NS21ConstantInputIteratorIilEEPiiNSB_3SumENSB_8EqualityEiEE10hipError_tPvRmT2_T3_T4_T5_mT6_T7_P12ihipStream_tbENKUlT_T0_E_clISt17integral_constantIbLb0EESX_EEDaSS_ST_EUlSS_E_NS1_11comp_targetILNS1_3genE4ELNS1_11target_archE910ELNS1_3gpuE8ELNS1_3repE0EEENS1_30default_config_static_selectorELNS0_4arch9wavefront6targetE0EEEvT1_.num_named_barrier, 0
	.set _ZN7rocprim17ROCPRIM_400000_NS6detail17trampoline_kernelINS0_14default_configENS1_27scan_by_key_config_selectorIiiEEZZNS1_16scan_by_key_implILNS1_25lookback_scan_determinismE0ELb0ES3_PKiN6hipcub16HIPCUB_304000_NS21ConstantInputIteratorIilEEPiiNSB_3SumENSB_8EqualityEiEE10hipError_tPvRmT2_T3_T4_T5_mT6_T7_P12ihipStream_tbENKUlT_T0_E_clISt17integral_constantIbLb0EESX_EEDaSS_ST_EUlSS_E_NS1_11comp_targetILNS1_3genE4ELNS1_11target_archE910ELNS1_3gpuE8ELNS1_3repE0EEENS1_30default_config_static_selectorELNS0_4arch9wavefront6targetE0EEEvT1_.private_seg_size, 0
	.set _ZN7rocprim17ROCPRIM_400000_NS6detail17trampoline_kernelINS0_14default_configENS1_27scan_by_key_config_selectorIiiEEZZNS1_16scan_by_key_implILNS1_25lookback_scan_determinismE0ELb0ES3_PKiN6hipcub16HIPCUB_304000_NS21ConstantInputIteratorIilEEPiiNSB_3SumENSB_8EqualityEiEE10hipError_tPvRmT2_T3_T4_T5_mT6_T7_P12ihipStream_tbENKUlT_T0_E_clISt17integral_constantIbLb0EESX_EEDaSS_ST_EUlSS_E_NS1_11comp_targetILNS1_3genE4ELNS1_11target_archE910ELNS1_3gpuE8ELNS1_3repE0EEENS1_30default_config_static_selectorELNS0_4arch9wavefront6targetE0EEEvT1_.uses_vcc, 0
	.set _ZN7rocprim17ROCPRIM_400000_NS6detail17trampoline_kernelINS0_14default_configENS1_27scan_by_key_config_selectorIiiEEZZNS1_16scan_by_key_implILNS1_25lookback_scan_determinismE0ELb0ES3_PKiN6hipcub16HIPCUB_304000_NS21ConstantInputIteratorIilEEPiiNSB_3SumENSB_8EqualityEiEE10hipError_tPvRmT2_T3_T4_T5_mT6_T7_P12ihipStream_tbENKUlT_T0_E_clISt17integral_constantIbLb0EESX_EEDaSS_ST_EUlSS_E_NS1_11comp_targetILNS1_3genE4ELNS1_11target_archE910ELNS1_3gpuE8ELNS1_3repE0EEENS1_30default_config_static_selectorELNS0_4arch9wavefront6targetE0EEEvT1_.uses_flat_scratch, 0
	.set _ZN7rocprim17ROCPRIM_400000_NS6detail17trampoline_kernelINS0_14default_configENS1_27scan_by_key_config_selectorIiiEEZZNS1_16scan_by_key_implILNS1_25lookback_scan_determinismE0ELb0ES3_PKiN6hipcub16HIPCUB_304000_NS21ConstantInputIteratorIilEEPiiNSB_3SumENSB_8EqualityEiEE10hipError_tPvRmT2_T3_T4_T5_mT6_T7_P12ihipStream_tbENKUlT_T0_E_clISt17integral_constantIbLb0EESX_EEDaSS_ST_EUlSS_E_NS1_11comp_targetILNS1_3genE4ELNS1_11target_archE910ELNS1_3gpuE8ELNS1_3repE0EEENS1_30default_config_static_selectorELNS0_4arch9wavefront6targetE0EEEvT1_.has_dyn_sized_stack, 0
	.set _ZN7rocprim17ROCPRIM_400000_NS6detail17trampoline_kernelINS0_14default_configENS1_27scan_by_key_config_selectorIiiEEZZNS1_16scan_by_key_implILNS1_25lookback_scan_determinismE0ELb0ES3_PKiN6hipcub16HIPCUB_304000_NS21ConstantInputIteratorIilEEPiiNSB_3SumENSB_8EqualityEiEE10hipError_tPvRmT2_T3_T4_T5_mT6_T7_P12ihipStream_tbENKUlT_T0_E_clISt17integral_constantIbLb0EESX_EEDaSS_ST_EUlSS_E_NS1_11comp_targetILNS1_3genE4ELNS1_11target_archE910ELNS1_3gpuE8ELNS1_3repE0EEENS1_30default_config_static_selectorELNS0_4arch9wavefront6targetE0EEEvT1_.has_recursion, 0
	.set _ZN7rocprim17ROCPRIM_400000_NS6detail17trampoline_kernelINS0_14default_configENS1_27scan_by_key_config_selectorIiiEEZZNS1_16scan_by_key_implILNS1_25lookback_scan_determinismE0ELb0ES3_PKiN6hipcub16HIPCUB_304000_NS21ConstantInputIteratorIilEEPiiNSB_3SumENSB_8EqualityEiEE10hipError_tPvRmT2_T3_T4_T5_mT6_T7_P12ihipStream_tbENKUlT_T0_E_clISt17integral_constantIbLb0EESX_EEDaSS_ST_EUlSS_E_NS1_11comp_targetILNS1_3genE4ELNS1_11target_archE910ELNS1_3gpuE8ELNS1_3repE0EEENS1_30default_config_static_selectorELNS0_4arch9wavefront6targetE0EEEvT1_.has_indirect_call, 0
	.section	.AMDGPU.csdata,"",@progbits
; Kernel info:
; codeLenInByte = 0
; TotalNumSgprs: 0
; NumVgprs: 0
; ScratchSize: 0
; MemoryBound: 0
; FloatMode: 240
; IeeeMode: 1
; LDSByteSize: 0 bytes/workgroup (compile time only)
; SGPRBlocks: 0
; VGPRBlocks: 0
; NumSGPRsForWavesPerEU: 1
; NumVGPRsForWavesPerEU: 1
; Occupancy: 16
; WaveLimiterHint : 0
; COMPUTE_PGM_RSRC2:SCRATCH_EN: 0
; COMPUTE_PGM_RSRC2:USER_SGPR: 6
; COMPUTE_PGM_RSRC2:TRAP_HANDLER: 0
; COMPUTE_PGM_RSRC2:TGID_X_EN: 1
; COMPUTE_PGM_RSRC2:TGID_Y_EN: 0
; COMPUTE_PGM_RSRC2:TGID_Z_EN: 0
; COMPUTE_PGM_RSRC2:TIDIG_COMP_CNT: 0
	.section	.text._ZN7rocprim17ROCPRIM_400000_NS6detail17trampoline_kernelINS0_14default_configENS1_27scan_by_key_config_selectorIiiEEZZNS1_16scan_by_key_implILNS1_25lookback_scan_determinismE0ELb0ES3_PKiN6hipcub16HIPCUB_304000_NS21ConstantInputIteratorIilEEPiiNSB_3SumENSB_8EqualityEiEE10hipError_tPvRmT2_T3_T4_T5_mT6_T7_P12ihipStream_tbENKUlT_T0_E_clISt17integral_constantIbLb0EESX_EEDaSS_ST_EUlSS_E_NS1_11comp_targetILNS1_3genE3ELNS1_11target_archE908ELNS1_3gpuE7ELNS1_3repE0EEENS1_30default_config_static_selectorELNS0_4arch9wavefront6targetE0EEEvT1_,"axG",@progbits,_ZN7rocprim17ROCPRIM_400000_NS6detail17trampoline_kernelINS0_14default_configENS1_27scan_by_key_config_selectorIiiEEZZNS1_16scan_by_key_implILNS1_25lookback_scan_determinismE0ELb0ES3_PKiN6hipcub16HIPCUB_304000_NS21ConstantInputIteratorIilEEPiiNSB_3SumENSB_8EqualityEiEE10hipError_tPvRmT2_T3_T4_T5_mT6_T7_P12ihipStream_tbENKUlT_T0_E_clISt17integral_constantIbLb0EESX_EEDaSS_ST_EUlSS_E_NS1_11comp_targetILNS1_3genE3ELNS1_11target_archE908ELNS1_3gpuE7ELNS1_3repE0EEENS1_30default_config_static_selectorELNS0_4arch9wavefront6targetE0EEEvT1_,comdat
	.protected	_ZN7rocprim17ROCPRIM_400000_NS6detail17trampoline_kernelINS0_14default_configENS1_27scan_by_key_config_selectorIiiEEZZNS1_16scan_by_key_implILNS1_25lookback_scan_determinismE0ELb0ES3_PKiN6hipcub16HIPCUB_304000_NS21ConstantInputIteratorIilEEPiiNSB_3SumENSB_8EqualityEiEE10hipError_tPvRmT2_T3_T4_T5_mT6_T7_P12ihipStream_tbENKUlT_T0_E_clISt17integral_constantIbLb0EESX_EEDaSS_ST_EUlSS_E_NS1_11comp_targetILNS1_3genE3ELNS1_11target_archE908ELNS1_3gpuE7ELNS1_3repE0EEENS1_30default_config_static_selectorELNS0_4arch9wavefront6targetE0EEEvT1_ ; -- Begin function _ZN7rocprim17ROCPRIM_400000_NS6detail17trampoline_kernelINS0_14default_configENS1_27scan_by_key_config_selectorIiiEEZZNS1_16scan_by_key_implILNS1_25lookback_scan_determinismE0ELb0ES3_PKiN6hipcub16HIPCUB_304000_NS21ConstantInputIteratorIilEEPiiNSB_3SumENSB_8EqualityEiEE10hipError_tPvRmT2_T3_T4_T5_mT6_T7_P12ihipStream_tbENKUlT_T0_E_clISt17integral_constantIbLb0EESX_EEDaSS_ST_EUlSS_E_NS1_11comp_targetILNS1_3genE3ELNS1_11target_archE908ELNS1_3gpuE7ELNS1_3repE0EEENS1_30default_config_static_selectorELNS0_4arch9wavefront6targetE0EEEvT1_
	.globl	_ZN7rocprim17ROCPRIM_400000_NS6detail17trampoline_kernelINS0_14default_configENS1_27scan_by_key_config_selectorIiiEEZZNS1_16scan_by_key_implILNS1_25lookback_scan_determinismE0ELb0ES3_PKiN6hipcub16HIPCUB_304000_NS21ConstantInputIteratorIilEEPiiNSB_3SumENSB_8EqualityEiEE10hipError_tPvRmT2_T3_T4_T5_mT6_T7_P12ihipStream_tbENKUlT_T0_E_clISt17integral_constantIbLb0EESX_EEDaSS_ST_EUlSS_E_NS1_11comp_targetILNS1_3genE3ELNS1_11target_archE908ELNS1_3gpuE7ELNS1_3repE0EEENS1_30default_config_static_selectorELNS0_4arch9wavefront6targetE0EEEvT1_
	.p2align	8
	.type	_ZN7rocprim17ROCPRIM_400000_NS6detail17trampoline_kernelINS0_14default_configENS1_27scan_by_key_config_selectorIiiEEZZNS1_16scan_by_key_implILNS1_25lookback_scan_determinismE0ELb0ES3_PKiN6hipcub16HIPCUB_304000_NS21ConstantInputIteratorIilEEPiiNSB_3SumENSB_8EqualityEiEE10hipError_tPvRmT2_T3_T4_T5_mT6_T7_P12ihipStream_tbENKUlT_T0_E_clISt17integral_constantIbLb0EESX_EEDaSS_ST_EUlSS_E_NS1_11comp_targetILNS1_3genE3ELNS1_11target_archE908ELNS1_3gpuE7ELNS1_3repE0EEENS1_30default_config_static_selectorELNS0_4arch9wavefront6targetE0EEEvT1_,@function
_ZN7rocprim17ROCPRIM_400000_NS6detail17trampoline_kernelINS0_14default_configENS1_27scan_by_key_config_selectorIiiEEZZNS1_16scan_by_key_implILNS1_25lookback_scan_determinismE0ELb0ES3_PKiN6hipcub16HIPCUB_304000_NS21ConstantInputIteratorIilEEPiiNSB_3SumENSB_8EqualityEiEE10hipError_tPvRmT2_T3_T4_T5_mT6_T7_P12ihipStream_tbENKUlT_T0_E_clISt17integral_constantIbLb0EESX_EEDaSS_ST_EUlSS_E_NS1_11comp_targetILNS1_3genE3ELNS1_11target_archE908ELNS1_3gpuE7ELNS1_3repE0EEENS1_30default_config_static_selectorELNS0_4arch9wavefront6targetE0EEEvT1_: ; @_ZN7rocprim17ROCPRIM_400000_NS6detail17trampoline_kernelINS0_14default_configENS1_27scan_by_key_config_selectorIiiEEZZNS1_16scan_by_key_implILNS1_25lookback_scan_determinismE0ELb0ES3_PKiN6hipcub16HIPCUB_304000_NS21ConstantInputIteratorIilEEPiiNSB_3SumENSB_8EqualityEiEE10hipError_tPvRmT2_T3_T4_T5_mT6_T7_P12ihipStream_tbENKUlT_T0_E_clISt17integral_constantIbLb0EESX_EEDaSS_ST_EUlSS_E_NS1_11comp_targetILNS1_3genE3ELNS1_11target_archE908ELNS1_3gpuE7ELNS1_3repE0EEENS1_30default_config_static_selectorELNS0_4arch9wavefront6targetE0EEEvT1_
; %bb.0:
	.section	.rodata,"a",@progbits
	.p2align	6, 0x0
	.amdhsa_kernel _ZN7rocprim17ROCPRIM_400000_NS6detail17trampoline_kernelINS0_14default_configENS1_27scan_by_key_config_selectorIiiEEZZNS1_16scan_by_key_implILNS1_25lookback_scan_determinismE0ELb0ES3_PKiN6hipcub16HIPCUB_304000_NS21ConstantInputIteratorIilEEPiiNSB_3SumENSB_8EqualityEiEE10hipError_tPvRmT2_T3_T4_T5_mT6_T7_P12ihipStream_tbENKUlT_T0_E_clISt17integral_constantIbLb0EESX_EEDaSS_ST_EUlSS_E_NS1_11comp_targetILNS1_3genE3ELNS1_11target_archE908ELNS1_3gpuE7ELNS1_3repE0EEENS1_30default_config_static_selectorELNS0_4arch9wavefront6targetE0EEEvT1_
		.amdhsa_group_segment_fixed_size 0
		.amdhsa_private_segment_fixed_size 0
		.amdhsa_kernarg_size 120
		.amdhsa_user_sgpr_count 6
		.amdhsa_user_sgpr_private_segment_buffer 1
		.amdhsa_user_sgpr_dispatch_ptr 0
		.amdhsa_user_sgpr_queue_ptr 0
		.amdhsa_user_sgpr_kernarg_segment_ptr 1
		.amdhsa_user_sgpr_dispatch_id 0
		.amdhsa_user_sgpr_flat_scratch_init 0
		.amdhsa_user_sgpr_private_segment_size 0
		.amdhsa_wavefront_size32 1
		.amdhsa_uses_dynamic_stack 0
		.amdhsa_system_sgpr_private_segment_wavefront_offset 0
		.amdhsa_system_sgpr_workgroup_id_x 1
		.amdhsa_system_sgpr_workgroup_id_y 0
		.amdhsa_system_sgpr_workgroup_id_z 0
		.amdhsa_system_sgpr_workgroup_info 0
		.amdhsa_system_vgpr_workitem_id 0
		.amdhsa_next_free_vgpr 1
		.amdhsa_next_free_sgpr 1
		.amdhsa_reserve_vcc 0
		.amdhsa_reserve_flat_scratch 0
		.amdhsa_float_round_mode_32 0
		.amdhsa_float_round_mode_16_64 0
		.amdhsa_float_denorm_mode_32 3
		.amdhsa_float_denorm_mode_16_64 3
		.amdhsa_dx10_clamp 1
		.amdhsa_ieee_mode 1
		.amdhsa_fp16_overflow 0
		.amdhsa_workgroup_processor_mode 1
		.amdhsa_memory_ordered 1
		.amdhsa_forward_progress 1
		.amdhsa_shared_vgpr_count 0
		.amdhsa_exception_fp_ieee_invalid_op 0
		.amdhsa_exception_fp_denorm_src 0
		.amdhsa_exception_fp_ieee_div_zero 0
		.amdhsa_exception_fp_ieee_overflow 0
		.amdhsa_exception_fp_ieee_underflow 0
		.amdhsa_exception_fp_ieee_inexact 0
		.amdhsa_exception_int_div_zero 0
	.end_amdhsa_kernel
	.section	.text._ZN7rocprim17ROCPRIM_400000_NS6detail17trampoline_kernelINS0_14default_configENS1_27scan_by_key_config_selectorIiiEEZZNS1_16scan_by_key_implILNS1_25lookback_scan_determinismE0ELb0ES3_PKiN6hipcub16HIPCUB_304000_NS21ConstantInputIteratorIilEEPiiNSB_3SumENSB_8EqualityEiEE10hipError_tPvRmT2_T3_T4_T5_mT6_T7_P12ihipStream_tbENKUlT_T0_E_clISt17integral_constantIbLb0EESX_EEDaSS_ST_EUlSS_E_NS1_11comp_targetILNS1_3genE3ELNS1_11target_archE908ELNS1_3gpuE7ELNS1_3repE0EEENS1_30default_config_static_selectorELNS0_4arch9wavefront6targetE0EEEvT1_,"axG",@progbits,_ZN7rocprim17ROCPRIM_400000_NS6detail17trampoline_kernelINS0_14default_configENS1_27scan_by_key_config_selectorIiiEEZZNS1_16scan_by_key_implILNS1_25lookback_scan_determinismE0ELb0ES3_PKiN6hipcub16HIPCUB_304000_NS21ConstantInputIteratorIilEEPiiNSB_3SumENSB_8EqualityEiEE10hipError_tPvRmT2_T3_T4_T5_mT6_T7_P12ihipStream_tbENKUlT_T0_E_clISt17integral_constantIbLb0EESX_EEDaSS_ST_EUlSS_E_NS1_11comp_targetILNS1_3genE3ELNS1_11target_archE908ELNS1_3gpuE7ELNS1_3repE0EEENS1_30default_config_static_selectorELNS0_4arch9wavefront6targetE0EEEvT1_,comdat
.Lfunc_end14:
	.size	_ZN7rocprim17ROCPRIM_400000_NS6detail17trampoline_kernelINS0_14default_configENS1_27scan_by_key_config_selectorIiiEEZZNS1_16scan_by_key_implILNS1_25lookback_scan_determinismE0ELb0ES3_PKiN6hipcub16HIPCUB_304000_NS21ConstantInputIteratorIilEEPiiNSB_3SumENSB_8EqualityEiEE10hipError_tPvRmT2_T3_T4_T5_mT6_T7_P12ihipStream_tbENKUlT_T0_E_clISt17integral_constantIbLb0EESX_EEDaSS_ST_EUlSS_E_NS1_11comp_targetILNS1_3genE3ELNS1_11target_archE908ELNS1_3gpuE7ELNS1_3repE0EEENS1_30default_config_static_selectorELNS0_4arch9wavefront6targetE0EEEvT1_, .Lfunc_end14-_ZN7rocprim17ROCPRIM_400000_NS6detail17trampoline_kernelINS0_14default_configENS1_27scan_by_key_config_selectorIiiEEZZNS1_16scan_by_key_implILNS1_25lookback_scan_determinismE0ELb0ES3_PKiN6hipcub16HIPCUB_304000_NS21ConstantInputIteratorIilEEPiiNSB_3SumENSB_8EqualityEiEE10hipError_tPvRmT2_T3_T4_T5_mT6_T7_P12ihipStream_tbENKUlT_T0_E_clISt17integral_constantIbLb0EESX_EEDaSS_ST_EUlSS_E_NS1_11comp_targetILNS1_3genE3ELNS1_11target_archE908ELNS1_3gpuE7ELNS1_3repE0EEENS1_30default_config_static_selectorELNS0_4arch9wavefront6targetE0EEEvT1_
                                        ; -- End function
	.set _ZN7rocprim17ROCPRIM_400000_NS6detail17trampoline_kernelINS0_14default_configENS1_27scan_by_key_config_selectorIiiEEZZNS1_16scan_by_key_implILNS1_25lookback_scan_determinismE0ELb0ES3_PKiN6hipcub16HIPCUB_304000_NS21ConstantInputIteratorIilEEPiiNSB_3SumENSB_8EqualityEiEE10hipError_tPvRmT2_T3_T4_T5_mT6_T7_P12ihipStream_tbENKUlT_T0_E_clISt17integral_constantIbLb0EESX_EEDaSS_ST_EUlSS_E_NS1_11comp_targetILNS1_3genE3ELNS1_11target_archE908ELNS1_3gpuE7ELNS1_3repE0EEENS1_30default_config_static_selectorELNS0_4arch9wavefront6targetE0EEEvT1_.num_vgpr, 0
	.set _ZN7rocprim17ROCPRIM_400000_NS6detail17trampoline_kernelINS0_14default_configENS1_27scan_by_key_config_selectorIiiEEZZNS1_16scan_by_key_implILNS1_25lookback_scan_determinismE0ELb0ES3_PKiN6hipcub16HIPCUB_304000_NS21ConstantInputIteratorIilEEPiiNSB_3SumENSB_8EqualityEiEE10hipError_tPvRmT2_T3_T4_T5_mT6_T7_P12ihipStream_tbENKUlT_T0_E_clISt17integral_constantIbLb0EESX_EEDaSS_ST_EUlSS_E_NS1_11comp_targetILNS1_3genE3ELNS1_11target_archE908ELNS1_3gpuE7ELNS1_3repE0EEENS1_30default_config_static_selectorELNS0_4arch9wavefront6targetE0EEEvT1_.num_agpr, 0
	.set _ZN7rocprim17ROCPRIM_400000_NS6detail17trampoline_kernelINS0_14default_configENS1_27scan_by_key_config_selectorIiiEEZZNS1_16scan_by_key_implILNS1_25lookback_scan_determinismE0ELb0ES3_PKiN6hipcub16HIPCUB_304000_NS21ConstantInputIteratorIilEEPiiNSB_3SumENSB_8EqualityEiEE10hipError_tPvRmT2_T3_T4_T5_mT6_T7_P12ihipStream_tbENKUlT_T0_E_clISt17integral_constantIbLb0EESX_EEDaSS_ST_EUlSS_E_NS1_11comp_targetILNS1_3genE3ELNS1_11target_archE908ELNS1_3gpuE7ELNS1_3repE0EEENS1_30default_config_static_selectorELNS0_4arch9wavefront6targetE0EEEvT1_.numbered_sgpr, 0
	.set _ZN7rocprim17ROCPRIM_400000_NS6detail17trampoline_kernelINS0_14default_configENS1_27scan_by_key_config_selectorIiiEEZZNS1_16scan_by_key_implILNS1_25lookback_scan_determinismE0ELb0ES3_PKiN6hipcub16HIPCUB_304000_NS21ConstantInputIteratorIilEEPiiNSB_3SumENSB_8EqualityEiEE10hipError_tPvRmT2_T3_T4_T5_mT6_T7_P12ihipStream_tbENKUlT_T0_E_clISt17integral_constantIbLb0EESX_EEDaSS_ST_EUlSS_E_NS1_11comp_targetILNS1_3genE3ELNS1_11target_archE908ELNS1_3gpuE7ELNS1_3repE0EEENS1_30default_config_static_selectorELNS0_4arch9wavefront6targetE0EEEvT1_.num_named_barrier, 0
	.set _ZN7rocprim17ROCPRIM_400000_NS6detail17trampoline_kernelINS0_14default_configENS1_27scan_by_key_config_selectorIiiEEZZNS1_16scan_by_key_implILNS1_25lookback_scan_determinismE0ELb0ES3_PKiN6hipcub16HIPCUB_304000_NS21ConstantInputIteratorIilEEPiiNSB_3SumENSB_8EqualityEiEE10hipError_tPvRmT2_T3_T4_T5_mT6_T7_P12ihipStream_tbENKUlT_T0_E_clISt17integral_constantIbLb0EESX_EEDaSS_ST_EUlSS_E_NS1_11comp_targetILNS1_3genE3ELNS1_11target_archE908ELNS1_3gpuE7ELNS1_3repE0EEENS1_30default_config_static_selectorELNS0_4arch9wavefront6targetE0EEEvT1_.private_seg_size, 0
	.set _ZN7rocprim17ROCPRIM_400000_NS6detail17trampoline_kernelINS0_14default_configENS1_27scan_by_key_config_selectorIiiEEZZNS1_16scan_by_key_implILNS1_25lookback_scan_determinismE0ELb0ES3_PKiN6hipcub16HIPCUB_304000_NS21ConstantInputIteratorIilEEPiiNSB_3SumENSB_8EqualityEiEE10hipError_tPvRmT2_T3_T4_T5_mT6_T7_P12ihipStream_tbENKUlT_T0_E_clISt17integral_constantIbLb0EESX_EEDaSS_ST_EUlSS_E_NS1_11comp_targetILNS1_3genE3ELNS1_11target_archE908ELNS1_3gpuE7ELNS1_3repE0EEENS1_30default_config_static_selectorELNS0_4arch9wavefront6targetE0EEEvT1_.uses_vcc, 0
	.set _ZN7rocprim17ROCPRIM_400000_NS6detail17trampoline_kernelINS0_14default_configENS1_27scan_by_key_config_selectorIiiEEZZNS1_16scan_by_key_implILNS1_25lookback_scan_determinismE0ELb0ES3_PKiN6hipcub16HIPCUB_304000_NS21ConstantInputIteratorIilEEPiiNSB_3SumENSB_8EqualityEiEE10hipError_tPvRmT2_T3_T4_T5_mT6_T7_P12ihipStream_tbENKUlT_T0_E_clISt17integral_constantIbLb0EESX_EEDaSS_ST_EUlSS_E_NS1_11comp_targetILNS1_3genE3ELNS1_11target_archE908ELNS1_3gpuE7ELNS1_3repE0EEENS1_30default_config_static_selectorELNS0_4arch9wavefront6targetE0EEEvT1_.uses_flat_scratch, 0
	.set _ZN7rocprim17ROCPRIM_400000_NS6detail17trampoline_kernelINS0_14default_configENS1_27scan_by_key_config_selectorIiiEEZZNS1_16scan_by_key_implILNS1_25lookback_scan_determinismE0ELb0ES3_PKiN6hipcub16HIPCUB_304000_NS21ConstantInputIteratorIilEEPiiNSB_3SumENSB_8EqualityEiEE10hipError_tPvRmT2_T3_T4_T5_mT6_T7_P12ihipStream_tbENKUlT_T0_E_clISt17integral_constantIbLb0EESX_EEDaSS_ST_EUlSS_E_NS1_11comp_targetILNS1_3genE3ELNS1_11target_archE908ELNS1_3gpuE7ELNS1_3repE0EEENS1_30default_config_static_selectorELNS0_4arch9wavefront6targetE0EEEvT1_.has_dyn_sized_stack, 0
	.set _ZN7rocprim17ROCPRIM_400000_NS6detail17trampoline_kernelINS0_14default_configENS1_27scan_by_key_config_selectorIiiEEZZNS1_16scan_by_key_implILNS1_25lookback_scan_determinismE0ELb0ES3_PKiN6hipcub16HIPCUB_304000_NS21ConstantInputIteratorIilEEPiiNSB_3SumENSB_8EqualityEiEE10hipError_tPvRmT2_T3_T4_T5_mT6_T7_P12ihipStream_tbENKUlT_T0_E_clISt17integral_constantIbLb0EESX_EEDaSS_ST_EUlSS_E_NS1_11comp_targetILNS1_3genE3ELNS1_11target_archE908ELNS1_3gpuE7ELNS1_3repE0EEENS1_30default_config_static_selectorELNS0_4arch9wavefront6targetE0EEEvT1_.has_recursion, 0
	.set _ZN7rocprim17ROCPRIM_400000_NS6detail17trampoline_kernelINS0_14default_configENS1_27scan_by_key_config_selectorIiiEEZZNS1_16scan_by_key_implILNS1_25lookback_scan_determinismE0ELb0ES3_PKiN6hipcub16HIPCUB_304000_NS21ConstantInputIteratorIilEEPiiNSB_3SumENSB_8EqualityEiEE10hipError_tPvRmT2_T3_T4_T5_mT6_T7_P12ihipStream_tbENKUlT_T0_E_clISt17integral_constantIbLb0EESX_EEDaSS_ST_EUlSS_E_NS1_11comp_targetILNS1_3genE3ELNS1_11target_archE908ELNS1_3gpuE7ELNS1_3repE0EEENS1_30default_config_static_selectorELNS0_4arch9wavefront6targetE0EEEvT1_.has_indirect_call, 0
	.section	.AMDGPU.csdata,"",@progbits
; Kernel info:
; codeLenInByte = 0
; TotalNumSgprs: 0
; NumVgprs: 0
; ScratchSize: 0
; MemoryBound: 0
; FloatMode: 240
; IeeeMode: 1
; LDSByteSize: 0 bytes/workgroup (compile time only)
; SGPRBlocks: 0
; VGPRBlocks: 0
; NumSGPRsForWavesPerEU: 1
; NumVGPRsForWavesPerEU: 1
; Occupancy: 16
; WaveLimiterHint : 0
; COMPUTE_PGM_RSRC2:SCRATCH_EN: 0
; COMPUTE_PGM_RSRC2:USER_SGPR: 6
; COMPUTE_PGM_RSRC2:TRAP_HANDLER: 0
; COMPUTE_PGM_RSRC2:TGID_X_EN: 1
; COMPUTE_PGM_RSRC2:TGID_Y_EN: 0
; COMPUTE_PGM_RSRC2:TGID_Z_EN: 0
; COMPUTE_PGM_RSRC2:TIDIG_COMP_CNT: 0
	.section	.text._ZN7rocprim17ROCPRIM_400000_NS6detail17trampoline_kernelINS0_14default_configENS1_27scan_by_key_config_selectorIiiEEZZNS1_16scan_by_key_implILNS1_25lookback_scan_determinismE0ELb0ES3_PKiN6hipcub16HIPCUB_304000_NS21ConstantInputIteratorIilEEPiiNSB_3SumENSB_8EqualityEiEE10hipError_tPvRmT2_T3_T4_T5_mT6_T7_P12ihipStream_tbENKUlT_T0_E_clISt17integral_constantIbLb0EESX_EEDaSS_ST_EUlSS_E_NS1_11comp_targetILNS1_3genE2ELNS1_11target_archE906ELNS1_3gpuE6ELNS1_3repE0EEENS1_30default_config_static_selectorELNS0_4arch9wavefront6targetE0EEEvT1_,"axG",@progbits,_ZN7rocprim17ROCPRIM_400000_NS6detail17trampoline_kernelINS0_14default_configENS1_27scan_by_key_config_selectorIiiEEZZNS1_16scan_by_key_implILNS1_25lookback_scan_determinismE0ELb0ES3_PKiN6hipcub16HIPCUB_304000_NS21ConstantInputIteratorIilEEPiiNSB_3SumENSB_8EqualityEiEE10hipError_tPvRmT2_T3_T4_T5_mT6_T7_P12ihipStream_tbENKUlT_T0_E_clISt17integral_constantIbLb0EESX_EEDaSS_ST_EUlSS_E_NS1_11comp_targetILNS1_3genE2ELNS1_11target_archE906ELNS1_3gpuE6ELNS1_3repE0EEENS1_30default_config_static_selectorELNS0_4arch9wavefront6targetE0EEEvT1_,comdat
	.protected	_ZN7rocprim17ROCPRIM_400000_NS6detail17trampoline_kernelINS0_14default_configENS1_27scan_by_key_config_selectorIiiEEZZNS1_16scan_by_key_implILNS1_25lookback_scan_determinismE0ELb0ES3_PKiN6hipcub16HIPCUB_304000_NS21ConstantInputIteratorIilEEPiiNSB_3SumENSB_8EqualityEiEE10hipError_tPvRmT2_T3_T4_T5_mT6_T7_P12ihipStream_tbENKUlT_T0_E_clISt17integral_constantIbLb0EESX_EEDaSS_ST_EUlSS_E_NS1_11comp_targetILNS1_3genE2ELNS1_11target_archE906ELNS1_3gpuE6ELNS1_3repE0EEENS1_30default_config_static_selectorELNS0_4arch9wavefront6targetE0EEEvT1_ ; -- Begin function _ZN7rocprim17ROCPRIM_400000_NS6detail17trampoline_kernelINS0_14default_configENS1_27scan_by_key_config_selectorIiiEEZZNS1_16scan_by_key_implILNS1_25lookback_scan_determinismE0ELb0ES3_PKiN6hipcub16HIPCUB_304000_NS21ConstantInputIteratorIilEEPiiNSB_3SumENSB_8EqualityEiEE10hipError_tPvRmT2_T3_T4_T5_mT6_T7_P12ihipStream_tbENKUlT_T0_E_clISt17integral_constantIbLb0EESX_EEDaSS_ST_EUlSS_E_NS1_11comp_targetILNS1_3genE2ELNS1_11target_archE906ELNS1_3gpuE6ELNS1_3repE0EEENS1_30default_config_static_selectorELNS0_4arch9wavefront6targetE0EEEvT1_
	.globl	_ZN7rocprim17ROCPRIM_400000_NS6detail17trampoline_kernelINS0_14default_configENS1_27scan_by_key_config_selectorIiiEEZZNS1_16scan_by_key_implILNS1_25lookback_scan_determinismE0ELb0ES3_PKiN6hipcub16HIPCUB_304000_NS21ConstantInputIteratorIilEEPiiNSB_3SumENSB_8EqualityEiEE10hipError_tPvRmT2_T3_T4_T5_mT6_T7_P12ihipStream_tbENKUlT_T0_E_clISt17integral_constantIbLb0EESX_EEDaSS_ST_EUlSS_E_NS1_11comp_targetILNS1_3genE2ELNS1_11target_archE906ELNS1_3gpuE6ELNS1_3repE0EEENS1_30default_config_static_selectorELNS0_4arch9wavefront6targetE0EEEvT1_
	.p2align	8
	.type	_ZN7rocprim17ROCPRIM_400000_NS6detail17trampoline_kernelINS0_14default_configENS1_27scan_by_key_config_selectorIiiEEZZNS1_16scan_by_key_implILNS1_25lookback_scan_determinismE0ELb0ES3_PKiN6hipcub16HIPCUB_304000_NS21ConstantInputIteratorIilEEPiiNSB_3SumENSB_8EqualityEiEE10hipError_tPvRmT2_T3_T4_T5_mT6_T7_P12ihipStream_tbENKUlT_T0_E_clISt17integral_constantIbLb0EESX_EEDaSS_ST_EUlSS_E_NS1_11comp_targetILNS1_3genE2ELNS1_11target_archE906ELNS1_3gpuE6ELNS1_3repE0EEENS1_30default_config_static_selectorELNS0_4arch9wavefront6targetE0EEEvT1_,@function
_ZN7rocprim17ROCPRIM_400000_NS6detail17trampoline_kernelINS0_14default_configENS1_27scan_by_key_config_selectorIiiEEZZNS1_16scan_by_key_implILNS1_25lookback_scan_determinismE0ELb0ES3_PKiN6hipcub16HIPCUB_304000_NS21ConstantInputIteratorIilEEPiiNSB_3SumENSB_8EqualityEiEE10hipError_tPvRmT2_T3_T4_T5_mT6_T7_P12ihipStream_tbENKUlT_T0_E_clISt17integral_constantIbLb0EESX_EEDaSS_ST_EUlSS_E_NS1_11comp_targetILNS1_3genE2ELNS1_11target_archE906ELNS1_3gpuE6ELNS1_3repE0EEENS1_30default_config_static_selectorELNS0_4arch9wavefront6targetE0EEEvT1_: ; @_ZN7rocprim17ROCPRIM_400000_NS6detail17trampoline_kernelINS0_14default_configENS1_27scan_by_key_config_selectorIiiEEZZNS1_16scan_by_key_implILNS1_25lookback_scan_determinismE0ELb0ES3_PKiN6hipcub16HIPCUB_304000_NS21ConstantInputIteratorIilEEPiiNSB_3SumENSB_8EqualityEiEE10hipError_tPvRmT2_T3_T4_T5_mT6_T7_P12ihipStream_tbENKUlT_T0_E_clISt17integral_constantIbLb0EESX_EEDaSS_ST_EUlSS_E_NS1_11comp_targetILNS1_3genE2ELNS1_11target_archE906ELNS1_3gpuE6ELNS1_3repE0EEENS1_30default_config_static_selectorELNS0_4arch9wavefront6targetE0EEEvT1_
; %bb.0:
	.section	.rodata,"a",@progbits
	.p2align	6, 0x0
	.amdhsa_kernel _ZN7rocprim17ROCPRIM_400000_NS6detail17trampoline_kernelINS0_14default_configENS1_27scan_by_key_config_selectorIiiEEZZNS1_16scan_by_key_implILNS1_25lookback_scan_determinismE0ELb0ES3_PKiN6hipcub16HIPCUB_304000_NS21ConstantInputIteratorIilEEPiiNSB_3SumENSB_8EqualityEiEE10hipError_tPvRmT2_T3_T4_T5_mT6_T7_P12ihipStream_tbENKUlT_T0_E_clISt17integral_constantIbLb0EESX_EEDaSS_ST_EUlSS_E_NS1_11comp_targetILNS1_3genE2ELNS1_11target_archE906ELNS1_3gpuE6ELNS1_3repE0EEENS1_30default_config_static_selectorELNS0_4arch9wavefront6targetE0EEEvT1_
		.amdhsa_group_segment_fixed_size 0
		.amdhsa_private_segment_fixed_size 0
		.amdhsa_kernarg_size 120
		.amdhsa_user_sgpr_count 6
		.amdhsa_user_sgpr_private_segment_buffer 1
		.amdhsa_user_sgpr_dispatch_ptr 0
		.amdhsa_user_sgpr_queue_ptr 0
		.amdhsa_user_sgpr_kernarg_segment_ptr 1
		.amdhsa_user_sgpr_dispatch_id 0
		.amdhsa_user_sgpr_flat_scratch_init 0
		.amdhsa_user_sgpr_private_segment_size 0
		.amdhsa_wavefront_size32 1
		.amdhsa_uses_dynamic_stack 0
		.amdhsa_system_sgpr_private_segment_wavefront_offset 0
		.amdhsa_system_sgpr_workgroup_id_x 1
		.amdhsa_system_sgpr_workgroup_id_y 0
		.amdhsa_system_sgpr_workgroup_id_z 0
		.amdhsa_system_sgpr_workgroup_info 0
		.amdhsa_system_vgpr_workitem_id 0
		.amdhsa_next_free_vgpr 1
		.amdhsa_next_free_sgpr 1
		.amdhsa_reserve_vcc 0
		.amdhsa_reserve_flat_scratch 0
		.amdhsa_float_round_mode_32 0
		.amdhsa_float_round_mode_16_64 0
		.amdhsa_float_denorm_mode_32 3
		.amdhsa_float_denorm_mode_16_64 3
		.amdhsa_dx10_clamp 1
		.amdhsa_ieee_mode 1
		.amdhsa_fp16_overflow 0
		.amdhsa_workgroup_processor_mode 1
		.amdhsa_memory_ordered 1
		.amdhsa_forward_progress 1
		.amdhsa_shared_vgpr_count 0
		.amdhsa_exception_fp_ieee_invalid_op 0
		.amdhsa_exception_fp_denorm_src 0
		.amdhsa_exception_fp_ieee_div_zero 0
		.amdhsa_exception_fp_ieee_overflow 0
		.amdhsa_exception_fp_ieee_underflow 0
		.amdhsa_exception_fp_ieee_inexact 0
		.amdhsa_exception_int_div_zero 0
	.end_amdhsa_kernel
	.section	.text._ZN7rocprim17ROCPRIM_400000_NS6detail17trampoline_kernelINS0_14default_configENS1_27scan_by_key_config_selectorIiiEEZZNS1_16scan_by_key_implILNS1_25lookback_scan_determinismE0ELb0ES3_PKiN6hipcub16HIPCUB_304000_NS21ConstantInputIteratorIilEEPiiNSB_3SumENSB_8EqualityEiEE10hipError_tPvRmT2_T3_T4_T5_mT6_T7_P12ihipStream_tbENKUlT_T0_E_clISt17integral_constantIbLb0EESX_EEDaSS_ST_EUlSS_E_NS1_11comp_targetILNS1_3genE2ELNS1_11target_archE906ELNS1_3gpuE6ELNS1_3repE0EEENS1_30default_config_static_selectorELNS0_4arch9wavefront6targetE0EEEvT1_,"axG",@progbits,_ZN7rocprim17ROCPRIM_400000_NS6detail17trampoline_kernelINS0_14default_configENS1_27scan_by_key_config_selectorIiiEEZZNS1_16scan_by_key_implILNS1_25lookback_scan_determinismE0ELb0ES3_PKiN6hipcub16HIPCUB_304000_NS21ConstantInputIteratorIilEEPiiNSB_3SumENSB_8EqualityEiEE10hipError_tPvRmT2_T3_T4_T5_mT6_T7_P12ihipStream_tbENKUlT_T0_E_clISt17integral_constantIbLb0EESX_EEDaSS_ST_EUlSS_E_NS1_11comp_targetILNS1_3genE2ELNS1_11target_archE906ELNS1_3gpuE6ELNS1_3repE0EEENS1_30default_config_static_selectorELNS0_4arch9wavefront6targetE0EEEvT1_,comdat
.Lfunc_end15:
	.size	_ZN7rocprim17ROCPRIM_400000_NS6detail17trampoline_kernelINS0_14default_configENS1_27scan_by_key_config_selectorIiiEEZZNS1_16scan_by_key_implILNS1_25lookback_scan_determinismE0ELb0ES3_PKiN6hipcub16HIPCUB_304000_NS21ConstantInputIteratorIilEEPiiNSB_3SumENSB_8EqualityEiEE10hipError_tPvRmT2_T3_T4_T5_mT6_T7_P12ihipStream_tbENKUlT_T0_E_clISt17integral_constantIbLb0EESX_EEDaSS_ST_EUlSS_E_NS1_11comp_targetILNS1_3genE2ELNS1_11target_archE906ELNS1_3gpuE6ELNS1_3repE0EEENS1_30default_config_static_selectorELNS0_4arch9wavefront6targetE0EEEvT1_, .Lfunc_end15-_ZN7rocprim17ROCPRIM_400000_NS6detail17trampoline_kernelINS0_14default_configENS1_27scan_by_key_config_selectorIiiEEZZNS1_16scan_by_key_implILNS1_25lookback_scan_determinismE0ELb0ES3_PKiN6hipcub16HIPCUB_304000_NS21ConstantInputIteratorIilEEPiiNSB_3SumENSB_8EqualityEiEE10hipError_tPvRmT2_T3_T4_T5_mT6_T7_P12ihipStream_tbENKUlT_T0_E_clISt17integral_constantIbLb0EESX_EEDaSS_ST_EUlSS_E_NS1_11comp_targetILNS1_3genE2ELNS1_11target_archE906ELNS1_3gpuE6ELNS1_3repE0EEENS1_30default_config_static_selectorELNS0_4arch9wavefront6targetE0EEEvT1_
                                        ; -- End function
	.set _ZN7rocprim17ROCPRIM_400000_NS6detail17trampoline_kernelINS0_14default_configENS1_27scan_by_key_config_selectorIiiEEZZNS1_16scan_by_key_implILNS1_25lookback_scan_determinismE0ELb0ES3_PKiN6hipcub16HIPCUB_304000_NS21ConstantInputIteratorIilEEPiiNSB_3SumENSB_8EqualityEiEE10hipError_tPvRmT2_T3_T4_T5_mT6_T7_P12ihipStream_tbENKUlT_T0_E_clISt17integral_constantIbLb0EESX_EEDaSS_ST_EUlSS_E_NS1_11comp_targetILNS1_3genE2ELNS1_11target_archE906ELNS1_3gpuE6ELNS1_3repE0EEENS1_30default_config_static_selectorELNS0_4arch9wavefront6targetE0EEEvT1_.num_vgpr, 0
	.set _ZN7rocprim17ROCPRIM_400000_NS6detail17trampoline_kernelINS0_14default_configENS1_27scan_by_key_config_selectorIiiEEZZNS1_16scan_by_key_implILNS1_25lookback_scan_determinismE0ELb0ES3_PKiN6hipcub16HIPCUB_304000_NS21ConstantInputIteratorIilEEPiiNSB_3SumENSB_8EqualityEiEE10hipError_tPvRmT2_T3_T4_T5_mT6_T7_P12ihipStream_tbENKUlT_T0_E_clISt17integral_constantIbLb0EESX_EEDaSS_ST_EUlSS_E_NS1_11comp_targetILNS1_3genE2ELNS1_11target_archE906ELNS1_3gpuE6ELNS1_3repE0EEENS1_30default_config_static_selectorELNS0_4arch9wavefront6targetE0EEEvT1_.num_agpr, 0
	.set _ZN7rocprim17ROCPRIM_400000_NS6detail17trampoline_kernelINS0_14default_configENS1_27scan_by_key_config_selectorIiiEEZZNS1_16scan_by_key_implILNS1_25lookback_scan_determinismE0ELb0ES3_PKiN6hipcub16HIPCUB_304000_NS21ConstantInputIteratorIilEEPiiNSB_3SumENSB_8EqualityEiEE10hipError_tPvRmT2_T3_T4_T5_mT6_T7_P12ihipStream_tbENKUlT_T0_E_clISt17integral_constantIbLb0EESX_EEDaSS_ST_EUlSS_E_NS1_11comp_targetILNS1_3genE2ELNS1_11target_archE906ELNS1_3gpuE6ELNS1_3repE0EEENS1_30default_config_static_selectorELNS0_4arch9wavefront6targetE0EEEvT1_.numbered_sgpr, 0
	.set _ZN7rocprim17ROCPRIM_400000_NS6detail17trampoline_kernelINS0_14default_configENS1_27scan_by_key_config_selectorIiiEEZZNS1_16scan_by_key_implILNS1_25lookback_scan_determinismE0ELb0ES3_PKiN6hipcub16HIPCUB_304000_NS21ConstantInputIteratorIilEEPiiNSB_3SumENSB_8EqualityEiEE10hipError_tPvRmT2_T3_T4_T5_mT6_T7_P12ihipStream_tbENKUlT_T0_E_clISt17integral_constantIbLb0EESX_EEDaSS_ST_EUlSS_E_NS1_11comp_targetILNS1_3genE2ELNS1_11target_archE906ELNS1_3gpuE6ELNS1_3repE0EEENS1_30default_config_static_selectorELNS0_4arch9wavefront6targetE0EEEvT1_.num_named_barrier, 0
	.set _ZN7rocprim17ROCPRIM_400000_NS6detail17trampoline_kernelINS0_14default_configENS1_27scan_by_key_config_selectorIiiEEZZNS1_16scan_by_key_implILNS1_25lookback_scan_determinismE0ELb0ES3_PKiN6hipcub16HIPCUB_304000_NS21ConstantInputIteratorIilEEPiiNSB_3SumENSB_8EqualityEiEE10hipError_tPvRmT2_T3_T4_T5_mT6_T7_P12ihipStream_tbENKUlT_T0_E_clISt17integral_constantIbLb0EESX_EEDaSS_ST_EUlSS_E_NS1_11comp_targetILNS1_3genE2ELNS1_11target_archE906ELNS1_3gpuE6ELNS1_3repE0EEENS1_30default_config_static_selectorELNS0_4arch9wavefront6targetE0EEEvT1_.private_seg_size, 0
	.set _ZN7rocprim17ROCPRIM_400000_NS6detail17trampoline_kernelINS0_14default_configENS1_27scan_by_key_config_selectorIiiEEZZNS1_16scan_by_key_implILNS1_25lookback_scan_determinismE0ELb0ES3_PKiN6hipcub16HIPCUB_304000_NS21ConstantInputIteratorIilEEPiiNSB_3SumENSB_8EqualityEiEE10hipError_tPvRmT2_T3_T4_T5_mT6_T7_P12ihipStream_tbENKUlT_T0_E_clISt17integral_constantIbLb0EESX_EEDaSS_ST_EUlSS_E_NS1_11comp_targetILNS1_3genE2ELNS1_11target_archE906ELNS1_3gpuE6ELNS1_3repE0EEENS1_30default_config_static_selectorELNS0_4arch9wavefront6targetE0EEEvT1_.uses_vcc, 0
	.set _ZN7rocprim17ROCPRIM_400000_NS6detail17trampoline_kernelINS0_14default_configENS1_27scan_by_key_config_selectorIiiEEZZNS1_16scan_by_key_implILNS1_25lookback_scan_determinismE0ELb0ES3_PKiN6hipcub16HIPCUB_304000_NS21ConstantInputIteratorIilEEPiiNSB_3SumENSB_8EqualityEiEE10hipError_tPvRmT2_T3_T4_T5_mT6_T7_P12ihipStream_tbENKUlT_T0_E_clISt17integral_constantIbLb0EESX_EEDaSS_ST_EUlSS_E_NS1_11comp_targetILNS1_3genE2ELNS1_11target_archE906ELNS1_3gpuE6ELNS1_3repE0EEENS1_30default_config_static_selectorELNS0_4arch9wavefront6targetE0EEEvT1_.uses_flat_scratch, 0
	.set _ZN7rocprim17ROCPRIM_400000_NS6detail17trampoline_kernelINS0_14default_configENS1_27scan_by_key_config_selectorIiiEEZZNS1_16scan_by_key_implILNS1_25lookback_scan_determinismE0ELb0ES3_PKiN6hipcub16HIPCUB_304000_NS21ConstantInputIteratorIilEEPiiNSB_3SumENSB_8EqualityEiEE10hipError_tPvRmT2_T3_T4_T5_mT6_T7_P12ihipStream_tbENKUlT_T0_E_clISt17integral_constantIbLb0EESX_EEDaSS_ST_EUlSS_E_NS1_11comp_targetILNS1_3genE2ELNS1_11target_archE906ELNS1_3gpuE6ELNS1_3repE0EEENS1_30default_config_static_selectorELNS0_4arch9wavefront6targetE0EEEvT1_.has_dyn_sized_stack, 0
	.set _ZN7rocprim17ROCPRIM_400000_NS6detail17trampoline_kernelINS0_14default_configENS1_27scan_by_key_config_selectorIiiEEZZNS1_16scan_by_key_implILNS1_25lookback_scan_determinismE0ELb0ES3_PKiN6hipcub16HIPCUB_304000_NS21ConstantInputIteratorIilEEPiiNSB_3SumENSB_8EqualityEiEE10hipError_tPvRmT2_T3_T4_T5_mT6_T7_P12ihipStream_tbENKUlT_T0_E_clISt17integral_constantIbLb0EESX_EEDaSS_ST_EUlSS_E_NS1_11comp_targetILNS1_3genE2ELNS1_11target_archE906ELNS1_3gpuE6ELNS1_3repE0EEENS1_30default_config_static_selectorELNS0_4arch9wavefront6targetE0EEEvT1_.has_recursion, 0
	.set _ZN7rocprim17ROCPRIM_400000_NS6detail17trampoline_kernelINS0_14default_configENS1_27scan_by_key_config_selectorIiiEEZZNS1_16scan_by_key_implILNS1_25lookback_scan_determinismE0ELb0ES3_PKiN6hipcub16HIPCUB_304000_NS21ConstantInputIteratorIilEEPiiNSB_3SumENSB_8EqualityEiEE10hipError_tPvRmT2_T3_T4_T5_mT6_T7_P12ihipStream_tbENKUlT_T0_E_clISt17integral_constantIbLb0EESX_EEDaSS_ST_EUlSS_E_NS1_11comp_targetILNS1_3genE2ELNS1_11target_archE906ELNS1_3gpuE6ELNS1_3repE0EEENS1_30default_config_static_selectorELNS0_4arch9wavefront6targetE0EEEvT1_.has_indirect_call, 0
	.section	.AMDGPU.csdata,"",@progbits
; Kernel info:
; codeLenInByte = 0
; TotalNumSgprs: 0
; NumVgprs: 0
; ScratchSize: 0
; MemoryBound: 0
; FloatMode: 240
; IeeeMode: 1
; LDSByteSize: 0 bytes/workgroup (compile time only)
; SGPRBlocks: 0
; VGPRBlocks: 0
; NumSGPRsForWavesPerEU: 1
; NumVGPRsForWavesPerEU: 1
; Occupancy: 16
; WaveLimiterHint : 0
; COMPUTE_PGM_RSRC2:SCRATCH_EN: 0
; COMPUTE_PGM_RSRC2:USER_SGPR: 6
; COMPUTE_PGM_RSRC2:TRAP_HANDLER: 0
; COMPUTE_PGM_RSRC2:TGID_X_EN: 1
; COMPUTE_PGM_RSRC2:TGID_Y_EN: 0
; COMPUTE_PGM_RSRC2:TGID_Z_EN: 0
; COMPUTE_PGM_RSRC2:TIDIG_COMP_CNT: 0
	.section	.text._ZN7rocprim17ROCPRIM_400000_NS6detail17trampoline_kernelINS0_14default_configENS1_27scan_by_key_config_selectorIiiEEZZNS1_16scan_by_key_implILNS1_25lookback_scan_determinismE0ELb0ES3_PKiN6hipcub16HIPCUB_304000_NS21ConstantInputIteratorIilEEPiiNSB_3SumENSB_8EqualityEiEE10hipError_tPvRmT2_T3_T4_T5_mT6_T7_P12ihipStream_tbENKUlT_T0_E_clISt17integral_constantIbLb0EESX_EEDaSS_ST_EUlSS_E_NS1_11comp_targetILNS1_3genE10ELNS1_11target_archE1200ELNS1_3gpuE4ELNS1_3repE0EEENS1_30default_config_static_selectorELNS0_4arch9wavefront6targetE0EEEvT1_,"axG",@progbits,_ZN7rocprim17ROCPRIM_400000_NS6detail17trampoline_kernelINS0_14default_configENS1_27scan_by_key_config_selectorIiiEEZZNS1_16scan_by_key_implILNS1_25lookback_scan_determinismE0ELb0ES3_PKiN6hipcub16HIPCUB_304000_NS21ConstantInputIteratorIilEEPiiNSB_3SumENSB_8EqualityEiEE10hipError_tPvRmT2_T3_T4_T5_mT6_T7_P12ihipStream_tbENKUlT_T0_E_clISt17integral_constantIbLb0EESX_EEDaSS_ST_EUlSS_E_NS1_11comp_targetILNS1_3genE10ELNS1_11target_archE1200ELNS1_3gpuE4ELNS1_3repE0EEENS1_30default_config_static_selectorELNS0_4arch9wavefront6targetE0EEEvT1_,comdat
	.protected	_ZN7rocprim17ROCPRIM_400000_NS6detail17trampoline_kernelINS0_14default_configENS1_27scan_by_key_config_selectorIiiEEZZNS1_16scan_by_key_implILNS1_25lookback_scan_determinismE0ELb0ES3_PKiN6hipcub16HIPCUB_304000_NS21ConstantInputIteratorIilEEPiiNSB_3SumENSB_8EqualityEiEE10hipError_tPvRmT2_T3_T4_T5_mT6_T7_P12ihipStream_tbENKUlT_T0_E_clISt17integral_constantIbLb0EESX_EEDaSS_ST_EUlSS_E_NS1_11comp_targetILNS1_3genE10ELNS1_11target_archE1200ELNS1_3gpuE4ELNS1_3repE0EEENS1_30default_config_static_selectorELNS0_4arch9wavefront6targetE0EEEvT1_ ; -- Begin function _ZN7rocprim17ROCPRIM_400000_NS6detail17trampoline_kernelINS0_14default_configENS1_27scan_by_key_config_selectorIiiEEZZNS1_16scan_by_key_implILNS1_25lookback_scan_determinismE0ELb0ES3_PKiN6hipcub16HIPCUB_304000_NS21ConstantInputIteratorIilEEPiiNSB_3SumENSB_8EqualityEiEE10hipError_tPvRmT2_T3_T4_T5_mT6_T7_P12ihipStream_tbENKUlT_T0_E_clISt17integral_constantIbLb0EESX_EEDaSS_ST_EUlSS_E_NS1_11comp_targetILNS1_3genE10ELNS1_11target_archE1200ELNS1_3gpuE4ELNS1_3repE0EEENS1_30default_config_static_selectorELNS0_4arch9wavefront6targetE0EEEvT1_
	.globl	_ZN7rocprim17ROCPRIM_400000_NS6detail17trampoline_kernelINS0_14default_configENS1_27scan_by_key_config_selectorIiiEEZZNS1_16scan_by_key_implILNS1_25lookback_scan_determinismE0ELb0ES3_PKiN6hipcub16HIPCUB_304000_NS21ConstantInputIteratorIilEEPiiNSB_3SumENSB_8EqualityEiEE10hipError_tPvRmT2_T3_T4_T5_mT6_T7_P12ihipStream_tbENKUlT_T0_E_clISt17integral_constantIbLb0EESX_EEDaSS_ST_EUlSS_E_NS1_11comp_targetILNS1_3genE10ELNS1_11target_archE1200ELNS1_3gpuE4ELNS1_3repE0EEENS1_30default_config_static_selectorELNS0_4arch9wavefront6targetE0EEEvT1_
	.p2align	8
	.type	_ZN7rocprim17ROCPRIM_400000_NS6detail17trampoline_kernelINS0_14default_configENS1_27scan_by_key_config_selectorIiiEEZZNS1_16scan_by_key_implILNS1_25lookback_scan_determinismE0ELb0ES3_PKiN6hipcub16HIPCUB_304000_NS21ConstantInputIteratorIilEEPiiNSB_3SumENSB_8EqualityEiEE10hipError_tPvRmT2_T3_T4_T5_mT6_T7_P12ihipStream_tbENKUlT_T0_E_clISt17integral_constantIbLb0EESX_EEDaSS_ST_EUlSS_E_NS1_11comp_targetILNS1_3genE10ELNS1_11target_archE1200ELNS1_3gpuE4ELNS1_3repE0EEENS1_30default_config_static_selectorELNS0_4arch9wavefront6targetE0EEEvT1_,@function
_ZN7rocprim17ROCPRIM_400000_NS6detail17trampoline_kernelINS0_14default_configENS1_27scan_by_key_config_selectorIiiEEZZNS1_16scan_by_key_implILNS1_25lookback_scan_determinismE0ELb0ES3_PKiN6hipcub16HIPCUB_304000_NS21ConstantInputIteratorIilEEPiiNSB_3SumENSB_8EqualityEiEE10hipError_tPvRmT2_T3_T4_T5_mT6_T7_P12ihipStream_tbENKUlT_T0_E_clISt17integral_constantIbLb0EESX_EEDaSS_ST_EUlSS_E_NS1_11comp_targetILNS1_3genE10ELNS1_11target_archE1200ELNS1_3gpuE4ELNS1_3repE0EEENS1_30default_config_static_selectorELNS0_4arch9wavefront6targetE0EEEvT1_: ; @_ZN7rocprim17ROCPRIM_400000_NS6detail17trampoline_kernelINS0_14default_configENS1_27scan_by_key_config_selectorIiiEEZZNS1_16scan_by_key_implILNS1_25lookback_scan_determinismE0ELb0ES3_PKiN6hipcub16HIPCUB_304000_NS21ConstantInputIteratorIilEEPiiNSB_3SumENSB_8EqualityEiEE10hipError_tPvRmT2_T3_T4_T5_mT6_T7_P12ihipStream_tbENKUlT_T0_E_clISt17integral_constantIbLb0EESX_EEDaSS_ST_EUlSS_E_NS1_11comp_targetILNS1_3genE10ELNS1_11target_archE1200ELNS1_3gpuE4ELNS1_3repE0EEENS1_30default_config_static_selectorELNS0_4arch9wavefront6targetE0EEEvT1_
; %bb.0:
	.section	.rodata,"a",@progbits
	.p2align	6, 0x0
	.amdhsa_kernel _ZN7rocprim17ROCPRIM_400000_NS6detail17trampoline_kernelINS0_14default_configENS1_27scan_by_key_config_selectorIiiEEZZNS1_16scan_by_key_implILNS1_25lookback_scan_determinismE0ELb0ES3_PKiN6hipcub16HIPCUB_304000_NS21ConstantInputIteratorIilEEPiiNSB_3SumENSB_8EqualityEiEE10hipError_tPvRmT2_T3_T4_T5_mT6_T7_P12ihipStream_tbENKUlT_T0_E_clISt17integral_constantIbLb0EESX_EEDaSS_ST_EUlSS_E_NS1_11comp_targetILNS1_3genE10ELNS1_11target_archE1200ELNS1_3gpuE4ELNS1_3repE0EEENS1_30default_config_static_selectorELNS0_4arch9wavefront6targetE0EEEvT1_
		.amdhsa_group_segment_fixed_size 0
		.amdhsa_private_segment_fixed_size 0
		.amdhsa_kernarg_size 120
		.amdhsa_user_sgpr_count 6
		.amdhsa_user_sgpr_private_segment_buffer 1
		.amdhsa_user_sgpr_dispatch_ptr 0
		.amdhsa_user_sgpr_queue_ptr 0
		.amdhsa_user_sgpr_kernarg_segment_ptr 1
		.amdhsa_user_sgpr_dispatch_id 0
		.amdhsa_user_sgpr_flat_scratch_init 0
		.amdhsa_user_sgpr_private_segment_size 0
		.amdhsa_wavefront_size32 1
		.amdhsa_uses_dynamic_stack 0
		.amdhsa_system_sgpr_private_segment_wavefront_offset 0
		.amdhsa_system_sgpr_workgroup_id_x 1
		.amdhsa_system_sgpr_workgroup_id_y 0
		.amdhsa_system_sgpr_workgroup_id_z 0
		.amdhsa_system_sgpr_workgroup_info 0
		.amdhsa_system_vgpr_workitem_id 0
		.amdhsa_next_free_vgpr 1
		.amdhsa_next_free_sgpr 1
		.amdhsa_reserve_vcc 0
		.amdhsa_reserve_flat_scratch 0
		.amdhsa_float_round_mode_32 0
		.amdhsa_float_round_mode_16_64 0
		.amdhsa_float_denorm_mode_32 3
		.amdhsa_float_denorm_mode_16_64 3
		.amdhsa_dx10_clamp 1
		.amdhsa_ieee_mode 1
		.amdhsa_fp16_overflow 0
		.amdhsa_workgroup_processor_mode 1
		.amdhsa_memory_ordered 1
		.amdhsa_forward_progress 1
		.amdhsa_shared_vgpr_count 0
		.amdhsa_exception_fp_ieee_invalid_op 0
		.amdhsa_exception_fp_denorm_src 0
		.amdhsa_exception_fp_ieee_div_zero 0
		.amdhsa_exception_fp_ieee_overflow 0
		.amdhsa_exception_fp_ieee_underflow 0
		.amdhsa_exception_fp_ieee_inexact 0
		.amdhsa_exception_int_div_zero 0
	.end_amdhsa_kernel
	.section	.text._ZN7rocprim17ROCPRIM_400000_NS6detail17trampoline_kernelINS0_14default_configENS1_27scan_by_key_config_selectorIiiEEZZNS1_16scan_by_key_implILNS1_25lookback_scan_determinismE0ELb0ES3_PKiN6hipcub16HIPCUB_304000_NS21ConstantInputIteratorIilEEPiiNSB_3SumENSB_8EqualityEiEE10hipError_tPvRmT2_T3_T4_T5_mT6_T7_P12ihipStream_tbENKUlT_T0_E_clISt17integral_constantIbLb0EESX_EEDaSS_ST_EUlSS_E_NS1_11comp_targetILNS1_3genE10ELNS1_11target_archE1200ELNS1_3gpuE4ELNS1_3repE0EEENS1_30default_config_static_selectorELNS0_4arch9wavefront6targetE0EEEvT1_,"axG",@progbits,_ZN7rocprim17ROCPRIM_400000_NS6detail17trampoline_kernelINS0_14default_configENS1_27scan_by_key_config_selectorIiiEEZZNS1_16scan_by_key_implILNS1_25lookback_scan_determinismE0ELb0ES3_PKiN6hipcub16HIPCUB_304000_NS21ConstantInputIteratorIilEEPiiNSB_3SumENSB_8EqualityEiEE10hipError_tPvRmT2_T3_T4_T5_mT6_T7_P12ihipStream_tbENKUlT_T0_E_clISt17integral_constantIbLb0EESX_EEDaSS_ST_EUlSS_E_NS1_11comp_targetILNS1_3genE10ELNS1_11target_archE1200ELNS1_3gpuE4ELNS1_3repE0EEENS1_30default_config_static_selectorELNS0_4arch9wavefront6targetE0EEEvT1_,comdat
.Lfunc_end16:
	.size	_ZN7rocprim17ROCPRIM_400000_NS6detail17trampoline_kernelINS0_14default_configENS1_27scan_by_key_config_selectorIiiEEZZNS1_16scan_by_key_implILNS1_25lookback_scan_determinismE0ELb0ES3_PKiN6hipcub16HIPCUB_304000_NS21ConstantInputIteratorIilEEPiiNSB_3SumENSB_8EqualityEiEE10hipError_tPvRmT2_T3_T4_T5_mT6_T7_P12ihipStream_tbENKUlT_T0_E_clISt17integral_constantIbLb0EESX_EEDaSS_ST_EUlSS_E_NS1_11comp_targetILNS1_3genE10ELNS1_11target_archE1200ELNS1_3gpuE4ELNS1_3repE0EEENS1_30default_config_static_selectorELNS0_4arch9wavefront6targetE0EEEvT1_, .Lfunc_end16-_ZN7rocprim17ROCPRIM_400000_NS6detail17trampoline_kernelINS0_14default_configENS1_27scan_by_key_config_selectorIiiEEZZNS1_16scan_by_key_implILNS1_25lookback_scan_determinismE0ELb0ES3_PKiN6hipcub16HIPCUB_304000_NS21ConstantInputIteratorIilEEPiiNSB_3SumENSB_8EqualityEiEE10hipError_tPvRmT2_T3_T4_T5_mT6_T7_P12ihipStream_tbENKUlT_T0_E_clISt17integral_constantIbLb0EESX_EEDaSS_ST_EUlSS_E_NS1_11comp_targetILNS1_3genE10ELNS1_11target_archE1200ELNS1_3gpuE4ELNS1_3repE0EEENS1_30default_config_static_selectorELNS0_4arch9wavefront6targetE0EEEvT1_
                                        ; -- End function
	.set _ZN7rocprim17ROCPRIM_400000_NS6detail17trampoline_kernelINS0_14default_configENS1_27scan_by_key_config_selectorIiiEEZZNS1_16scan_by_key_implILNS1_25lookback_scan_determinismE0ELb0ES3_PKiN6hipcub16HIPCUB_304000_NS21ConstantInputIteratorIilEEPiiNSB_3SumENSB_8EqualityEiEE10hipError_tPvRmT2_T3_T4_T5_mT6_T7_P12ihipStream_tbENKUlT_T0_E_clISt17integral_constantIbLb0EESX_EEDaSS_ST_EUlSS_E_NS1_11comp_targetILNS1_3genE10ELNS1_11target_archE1200ELNS1_3gpuE4ELNS1_3repE0EEENS1_30default_config_static_selectorELNS0_4arch9wavefront6targetE0EEEvT1_.num_vgpr, 0
	.set _ZN7rocprim17ROCPRIM_400000_NS6detail17trampoline_kernelINS0_14default_configENS1_27scan_by_key_config_selectorIiiEEZZNS1_16scan_by_key_implILNS1_25lookback_scan_determinismE0ELb0ES3_PKiN6hipcub16HIPCUB_304000_NS21ConstantInputIteratorIilEEPiiNSB_3SumENSB_8EqualityEiEE10hipError_tPvRmT2_T3_T4_T5_mT6_T7_P12ihipStream_tbENKUlT_T0_E_clISt17integral_constantIbLb0EESX_EEDaSS_ST_EUlSS_E_NS1_11comp_targetILNS1_3genE10ELNS1_11target_archE1200ELNS1_3gpuE4ELNS1_3repE0EEENS1_30default_config_static_selectorELNS0_4arch9wavefront6targetE0EEEvT1_.num_agpr, 0
	.set _ZN7rocprim17ROCPRIM_400000_NS6detail17trampoline_kernelINS0_14default_configENS1_27scan_by_key_config_selectorIiiEEZZNS1_16scan_by_key_implILNS1_25lookback_scan_determinismE0ELb0ES3_PKiN6hipcub16HIPCUB_304000_NS21ConstantInputIteratorIilEEPiiNSB_3SumENSB_8EqualityEiEE10hipError_tPvRmT2_T3_T4_T5_mT6_T7_P12ihipStream_tbENKUlT_T0_E_clISt17integral_constantIbLb0EESX_EEDaSS_ST_EUlSS_E_NS1_11comp_targetILNS1_3genE10ELNS1_11target_archE1200ELNS1_3gpuE4ELNS1_3repE0EEENS1_30default_config_static_selectorELNS0_4arch9wavefront6targetE0EEEvT1_.numbered_sgpr, 0
	.set _ZN7rocprim17ROCPRIM_400000_NS6detail17trampoline_kernelINS0_14default_configENS1_27scan_by_key_config_selectorIiiEEZZNS1_16scan_by_key_implILNS1_25lookback_scan_determinismE0ELb0ES3_PKiN6hipcub16HIPCUB_304000_NS21ConstantInputIteratorIilEEPiiNSB_3SumENSB_8EqualityEiEE10hipError_tPvRmT2_T3_T4_T5_mT6_T7_P12ihipStream_tbENKUlT_T0_E_clISt17integral_constantIbLb0EESX_EEDaSS_ST_EUlSS_E_NS1_11comp_targetILNS1_3genE10ELNS1_11target_archE1200ELNS1_3gpuE4ELNS1_3repE0EEENS1_30default_config_static_selectorELNS0_4arch9wavefront6targetE0EEEvT1_.num_named_barrier, 0
	.set _ZN7rocprim17ROCPRIM_400000_NS6detail17trampoline_kernelINS0_14default_configENS1_27scan_by_key_config_selectorIiiEEZZNS1_16scan_by_key_implILNS1_25lookback_scan_determinismE0ELb0ES3_PKiN6hipcub16HIPCUB_304000_NS21ConstantInputIteratorIilEEPiiNSB_3SumENSB_8EqualityEiEE10hipError_tPvRmT2_T3_T4_T5_mT6_T7_P12ihipStream_tbENKUlT_T0_E_clISt17integral_constantIbLb0EESX_EEDaSS_ST_EUlSS_E_NS1_11comp_targetILNS1_3genE10ELNS1_11target_archE1200ELNS1_3gpuE4ELNS1_3repE0EEENS1_30default_config_static_selectorELNS0_4arch9wavefront6targetE0EEEvT1_.private_seg_size, 0
	.set _ZN7rocprim17ROCPRIM_400000_NS6detail17trampoline_kernelINS0_14default_configENS1_27scan_by_key_config_selectorIiiEEZZNS1_16scan_by_key_implILNS1_25lookback_scan_determinismE0ELb0ES3_PKiN6hipcub16HIPCUB_304000_NS21ConstantInputIteratorIilEEPiiNSB_3SumENSB_8EqualityEiEE10hipError_tPvRmT2_T3_T4_T5_mT6_T7_P12ihipStream_tbENKUlT_T0_E_clISt17integral_constantIbLb0EESX_EEDaSS_ST_EUlSS_E_NS1_11comp_targetILNS1_3genE10ELNS1_11target_archE1200ELNS1_3gpuE4ELNS1_3repE0EEENS1_30default_config_static_selectorELNS0_4arch9wavefront6targetE0EEEvT1_.uses_vcc, 0
	.set _ZN7rocprim17ROCPRIM_400000_NS6detail17trampoline_kernelINS0_14default_configENS1_27scan_by_key_config_selectorIiiEEZZNS1_16scan_by_key_implILNS1_25lookback_scan_determinismE0ELb0ES3_PKiN6hipcub16HIPCUB_304000_NS21ConstantInputIteratorIilEEPiiNSB_3SumENSB_8EqualityEiEE10hipError_tPvRmT2_T3_T4_T5_mT6_T7_P12ihipStream_tbENKUlT_T0_E_clISt17integral_constantIbLb0EESX_EEDaSS_ST_EUlSS_E_NS1_11comp_targetILNS1_3genE10ELNS1_11target_archE1200ELNS1_3gpuE4ELNS1_3repE0EEENS1_30default_config_static_selectorELNS0_4arch9wavefront6targetE0EEEvT1_.uses_flat_scratch, 0
	.set _ZN7rocprim17ROCPRIM_400000_NS6detail17trampoline_kernelINS0_14default_configENS1_27scan_by_key_config_selectorIiiEEZZNS1_16scan_by_key_implILNS1_25lookback_scan_determinismE0ELb0ES3_PKiN6hipcub16HIPCUB_304000_NS21ConstantInputIteratorIilEEPiiNSB_3SumENSB_8EqualityEiEE10hipError_tPvRmT2_T3_T4_T5_mT6_T7_P12ihipStream_tbENKUlT_T0_E_clISt17integral_constantIbLb0EESX_EEDaSS_ST_EUlSS_E_NS1_11comp_targetILNS1_3genE10ELNS1_11target_archE1200ELNS1_3gpuE4ELNS1_3repE0EEENS1_30default_config_static_selectorELNS0_4arch9wavefront6targetE0EEEvT1_.has_dyn_sized_stack, 0
	.set _ZN7rocprim17ROCPRIM_400000_NS6detail17trampoline_kernelINS0_14default_configENS1_27scan_by_key_config_selectorIiiEEZZNS1_16scan_by_key_implILNS1_25lookback_scan_determinismE0ELb0ES3_PKiN6hipcub16HIPCUB_304000_NS21ConstantInputIteratorIilEEPiiNSB_3SumENSB_8EqualityEiEE10hipError_tPvRmT2_T3_T4_T5_mT6_T7_P12ihipStream_tbENKUlT_T0_E_clISt17integral_constantIbLb0EESX_EEDaSS_ST_EUlSS_E_NS1_11comp_targetILNS1_3genE10ELNS1_11target_archE1200ELNS1_3gpuE4ELNS1_3repE0EEENS1_30default_config_static_selectorELNS0_4arch9wavefront6targetE0EEEvT1_.has_recursion, 0
	.set _ZN7rocprim17ROCPRIM_400000_NS6detail17trampoline_kernelINS0_14default_configENS1_27scan_by_key_config_selectorIiiEEZZNS1_16scan_by_key_implILNS1_25lookback_scan_determinismE0ELb0ES3_PKiN6hipcub16HIPCUB_304000_NS21ConstantInputIteratorIilEEPiiNSB_3SumENSB_8EqualityEiEE10hipError_tPvRmT2_T3_T4_T5_mT6_T7_P12ihipStream_tbENKUlT_T0_E_clISt17integral_constantIbLb0EESX_EEDaSS_ST_EUlSS_E_NS1_11comp_targetILNS1_3genE10ELNS1_11target_archE1200ELNS1_3gpuE4ELNS1_3repE0EEENS1_30default_config_static_selectorELNS0_4arch9wavefront6targetE0EEEvT1_.has_indirect_call, 0
	.section	.AMDGPU.csdata,"",@progbits
; Kernel info:
; codeLenInByte = 0
; TotalNumSgprs: 0
; NumVgprs: 0
; ScratchSize: 0
; MemoryBound: 0
; FloatMode: 240
; IeeeMode: 1
; LDSByteSize: 0 bytes/workgroup (compile time only)
; SGPRBlocks: 0
; VGPRBlocks: 0
; NumSGPRsForWavesPerEU: 1
; NumVGPRsForWavesPerEU: 1
; Occupancy: 16
; WaveLimiterHint : 0
; COMPUTE_PGM_RSRC2:SCRATCH_EN: 0
; COMPUTE_PGM_RSRC2:USER_SGPR: 6
; COMPUTE_PGM_RSRC2:TRAP_HANDLER: 0
; COMPUTE_PGM_RSRC2:TGID_X_EN: 1
; COMPUTE_PGM_RSRC2:TGID_Y_EN: 0
; COMPUTE_PGM_RSRC2:TGID_Z_EN: 0
; COMPUTE_PGM_RSRC2:TIDIG_COMP_CNT: 0
	.section	.text._ZN7rocprim17ROCPRIM_400000_NS6detail17trampoline_kernelINS0_14default_configENS1_27scan_by_key_config_selectorIiiEEZZNS1_16scan_by_key_implILNS1_25lookback_scan_determinismE0ELb0ES3_PKiN6hipcub16HIPCUB_304000_NS21ConstantInputIteratorIilEEPiiNSB_3SumENSB_8EqualityEiEE10hipError_tPvRmT2_T3_T4_T5_mT6_T7_P12ihipStream_tbENKUlT_T0_E_clISt17integral_constantIbLb0EESX_EEDaSS_ST_EUlSS_E_NS1_11comp_targetILNS1_3genE9ELNS1_11target_archE1100ELNS1_3gpuE3ELNS1_3repE0EEENS1_30default_config_static_selectorELNS0_4arch9wavefront6targetE0EEEvT1_,"axG",@progbits,_ZN7rocprim17ROCPRIM_400000_NS6detail17trampoline_kernelINS0_14default_configENS1_27scan_by_key_config_selectorIiiEEZZNS1_16scan_by_key_implILNS1_25lookback_scan_determinismE0ELb0ES3_PKiN6hipcub16HIPCUB_304000_NS21ConstantInputIteratorIilEEPiiNSB_3SumENSB_8EqualityEiEE10hipError_tPvRmT2_T3_T4_T5_mT6_T7_P12ihipStream_tbENKUlT_T0_E_clISt17integral_constantIbLb0EESX_EEDaSS_ST_EUlSS_E_NS1_11comp_targetILNS1_3genE9ELNS1_11target_archE1100ELNS1_3gpuE3ELNS1_3repE0EEENS1_30default_config_static_selectorELNS0_4arch9wavefront6targetE0EEEvT1_,comdat
	.protected	_ZN7rocprim17ROCPRIM_400000_NS6detail17trampoline_kernelINS0_14default_configENS1_27scan_by_key_config_selectorIiiEEZZNS1_16scan_by_key_implILNS1_25lookback_scan_determinismE0ELb0ES3_PKiN6hipcub16HIPCUB_304000_NS21ConstantInputIteratorIilEEPiiNSB_3SumENSB_8EqualityEiEE10hipError_tPvRmT2_T3_T4_T5_mT6_T7_P12ihipStream_tbENKUlT_T0_E_clISt17integral_constantIbLb0EESX_EEDaSS_ST_EUlSS_E_NS1_11comp_targetILNS1_3genE9ELNS1_11target_archE1100ELNS1_3gpuE3ELNS1_3repE0EEENS1_30default_config_static_selectorELNS0_4arch9wavefront6targetE0EEEvT1_ ; -- Begin function _ZN7rocprim17ROCPRIM_400000_NS6detail17trampoline_kernelINS0_14default_configENS1_27scan_by_key_config_selectorIiiEEZZNS1_16scan_by_key_implILNS1_25lookback_scan_determinismE0ELb0ES3_PKiN6hipcub16HIPCUB_304000_NS21ConstantInputIteratorIilEEPiiNSB_3SumENSB_8EqualityEiEE10hipError_tPvRmT2_T3_T4_T5_mT6_T7_P12ihipStream_tbENKUlT_T0_E_clISt17integral_constantIbLb0EESX_EEDaSS_ST_EUlSS_E_NS1_11comp_targetILNS1_3genE9ELNS1_11target_archE1100ELNS1_3gpuE3ELNS1_3repE0EEENS1_30default_config_static_selectorELNS0_4arch9wavefront6targetE0EEEvT1_
	.globl	_ZN7rocprim17ROCPRIM_400000_NS6detail17trampoline_kernelINS0_14default_configENS1_27scan_by_key_config_selectorIiiEEZZNS1_16scan_by_key_implILNS1_25lookback_scan_determinismE0ELb0ES3_PKiN6hipcub16HIPCUB_304000_NS21ConstantInputIteratorIilEEPiiNSB_3SumENSB_8EqualityEiEE10hipError_tPvRmT2_T3_T4_T5_mT6_T7_P12ihipStream_tbENKUlT_T0_E_clISt17integral_constantIbLb0EESX_EEDaSS_ST_EUlSS_E_NS1_11comp_targetILNS1_3genE9ELNS1_11target_archE1100ELNS1_3gpuE3ELNS1_3repE0EEENS1_30default_config_static_selectorELNS0_4arch9wavefront6targetE0EEEvT1_
	.p2align	8
	.type	_ZN7rocprim17ROCPRIM_400000_NS6detail17trampoline_kernelINS0_14default_configENS1_27scan_by_key_config_selectorIiiEEZZNS1_16scan_by_key_implILNS1_25lookback_scan_determinismE0ELb0ES3_PKiN6hipcub16HIPCUB_304000_NS21ConstantInputIteratorIilEEPiiNSB_3SumENSB_8EqualityEiEE10hipError_tPvRmT2_T3_T4_T5_mT6_T7_P12ihipStream_tbENKUlT_T0_E_clISt17integral_constantIbLb0EESX_EEDaSS_ST_EUlSS_E_NS1_11comp_targetILNS1_3genE9ELNS1_11target_archE1100ELNS1_3gpuE3ELNS1_3repE0EEENS1_30default_config_static_selectorELNS0_4arch9wavefront6targetE0EEEvT1_,@function
_ZN7rocprim17ROCPRIM_400000_NS6detail17trampoline_kernelINS0_14default_configENS1_27scan_by_key_config_selectorIiiEEZZNS1_16scan_by_key_implILNS1_25lookback_scan_determinismE0ELb0ES3_PKiN6hipcub16HIPCUB_304000_NS21ConstantInputIteratorIilEEPiiNSB_3SumENSB_8EqualityEiEE10hipError_tPvRmT2_T3_T4_T5_mT6_T7_P12ihipStream_tbENKUlT_T0_E_clISt17integral_constantIbLb0EESX_EEDaSS_ST_EUlSS_E_NS1_11comp_targetILNS1_3genE9ELNS1_11target_archE1100ELNS1_3gpuE3ELNS1_3repE0EEENS1_30default_config_static_selectorELNS0_4arch9wavefront6targetE0EEEvT1_: ; @_ZN7rocprim17ROCPRIM_400000_NS6detail17trampoline_kernelINS0_14default_configENS1_27scan_by_key_config_selectorIiiEEZZNS1_16scan_by_key_implILNS1_25lookback_scan_determinismE0ELb0ES3_PKiN6hipcub16HIPCUB_304000_NS21ConstantInputIteratorIilEEPiiNSB_3SumENSB_8EqualityEiEE10hipError_tPvRmT2_T3_T4_T5_mT6_T7_P12ihipStream_tbENKUlT_T0_E_clISt17integral_constantIbLb0EESX_EEDaSS_ST_EUlSS_E_NS1_11comp_targetILNS1_3genE9ELNS1_11target_archE1100ELNS1_3gpuE3ELNS1_3repE0EEENS1_30default_config_static_selectorELNS0_4arch9wavefront6targetE0EEEvT1_
; %bb.0:
	.section	.rodata,"a",@progbits
	.p2align	6, 0x0
	.amdhsa_kernel _ZN7rocprim17ROCPRIM_400000_NS6detail17trampoline_kernelINS0_14default_configENS1_27scan_by_key_config_selectorIiiEEZZNS1_16scan_by_key_implILNS1_25lookback_scan_determinismE0ELb0ES3_PKiN6hipcub16HIPCUB_304000_NS21ConstantInputIteratorIilEEPiiNSB_3SumENSB_8EqualityEiEE10hipError_tPvRmT2_T3_T4_T5_mT6_T7_P12ihipStream_tbENKUlT_T0_E_clISt17integral_constantIbLb0EESX_EEDaSS_ST_EUlSS_E_NS1_11comp_targetILNS1_3genE9ELNS1_11target_archE1100ELNS1_3gpuE3ELNS1_3repE0EEENS1_30default_config_static_selectorELNS0_4arch9wavefront6targetE0EEEvT1_
		.amdhsa_group_segment_fixed_size 0
		.amdhsa_private_segment_fixed_size 0
		.amdhsa_kernarg_size 120
		.amdhsa_user_sgpr_count 6
		.amdhsa_user_sgpr_private_segment_buffer 1
		.amdhsa_user_sgpr_dispatch_ptr 0
		.amdhsa_user_sgpr_queue_ptr 0
		.amdhsa_user_sgpr_kernarg_segment_ptr 1
		.amdhsa_user_sgpr_dispatch_id 0
		.amdhsa_user_sgpr_flat_scratch_init 0
		.amdhsa_user_sgpr_private_segment_size 0
		.amdhsa_wavefront_size32 1
		.amdhsa_uses_dynamic_stack 0
		.amdhsa_system_sgpr_private_segment_wavefront_offset 0
		.amdhsa_system_sgpr_workgroup_id_x 1
		.amdhsa_system_sgpr_workgroup_id_y 0
		.amdhsa_system_sgpr_workgroup_id_z 0
		.amdhsa_system_sgpr_workgroup_info 0
		.amdhsa_system_vgpr_workitem_id 0
		.amdhsa_next_free_vgpr 1
		.amdhsa_next_free_sgpr 1
		.amdhsa_reserve_vcc 0
		.amdhsa_reserve_flat_scratch 0
		.amdhsa_float_round_mode_32 0
		.amdhsa_float_round_mode_16_64 0
		.amdhsa_float_denorm_mode_32 3
		.amdhsa_float_denorm_mode_16_64 3
		.amdhsa_dx10_clamp 1
		.amdhsa_ieee_mode 1
		.amdhsa_fp16_overflow 0
		.amdhsa_workgroup_processor_mode 1
		.amdhsa_memory_ordered 1
		.amdhsa_forward_progress 1
		.amdhsa_shared_vgpr_count 0
		.amdhsa_exception_fp_ieee_invalid_op 0
		.amdhsa_exception_fp_denorm_src 0
		.amdhsa_exception_fp_ieee_div_zero 0
		.amdhsa_exception_fp_ieee_overflow 0
		.amdhsa_exception_fp_ieee_underflow 0
		.amdhsa_exception_fp_ieee_inexact 0
		.amdhsa_exception_int_div_zero 0
	.end_amdhsa_kernel
	.section	.text._ZN7rocprim17ROCPRIM_400000_NS6detail17trampoline_kernelINS0_14default_configENS1_27scan_by_key_config_selectorIiiEEZZNS1_16scan_by_key_implILNS1_25lookback_scan_determinismE0ELb0ES3_PKiN6hipcub16HIPCUB_304000_NS21ConstantInputIteratorIilEEPiiNSB_3SumENSB_8EqualityEiEE10hipError_tPvRmT2_T3_T4_T5_mT6_T7_P12ihipStream_tbENKUlT_T0_E_clISt17integral_constantIbLb0EESX_EEDaSS_ST_EUlSS_E_NS1_11comp_targetILNS1_3genE9ELNS1_11target_archE1100ELNS1_3gpuE3ELNS1_3repE0EEENS1_30default_config_static_selectorELNS0_4arch9wavefront6targetE0EEEvT1_,"axG",@progbits,_ZN7rocprim17ROCPRIM_400000_NS6detail17trampoline_kernelINS0_14default_configENS1_27scan_by_key_config_selectorIiiEEZZNS1_16scan_by_key_implILNS1_25lookback_scan_determinismE0ELb0ES3_PKiN6hipcub16HIPCUB_304000_NS21ConstantInputIteratorIilEEPiiNSB_3SumENSB_8EqualityEiEE10hipError_tPvRmT2_T3_T4_T5_mT6_T7_P12ihipStream_tbENKUlT_T0_E_clISt17integral_constantIbLb0EESX_EEDaSS_ST_EUlSS_E_NS1_11comp_targetILNS1_3genE9ELNS1_11target_archE1100ELNS1_3gpuE3ELNS1_3repE0EEENS1_30default_config_static_selectorELNS0_4arch9wavefront6targetE0EEEvT1_,comdat
.Lfunc_end17:
	.size	_ZN7rocprim17ROCPRIM_400000_NS6detail17trampoline_kernelINS0_14default_configENS1_27scan_by_key_config_selectorIiiEEZZNS1_16scan_by_key_implILNS1_25lookback_scan_determinismE0ELb0ES3_PKiN6hipcub16HIPCUB_304000_NS21ConstantInputIteratorIilEEPiiNSB_3SumENSB_8EqualityEiEE10hipError_tPvRmT2_T3_T4_T5_mT6_T7_P12ihipStream_tbENKUlT_T0_E_clISt17integral_constantIbLb0EESX_EEDaSS_ST_EUlSS_E_NS1_11comp_targetILNS1_3genE9ELNS1_11target_archE1100ELNS1_3gpuE3ELNS1_3repE0EEENS1_30default_config_static_selectorELNS0_4arch9wavefront6targetE0EEEvT1_, .Lfunc_end17-_ZN7rocprim17ROCPRIM_400000_NS6detail17trampoline_kernelINS0_14default_configENS1_27scan_by_key_config_selectorIiiEEZZNS1_16scan_by_key_implILNS1_25lookback_scan_determinismE0ELb0ES3_PKiN6hipcub16HIPCUB_304000_NS21ConstantInputIteratorIilEEPiiNSB_3SumENSB_8EqualityEiEE10hipError_tPvRmT2_T3_T4_T5_mT6_T7_P12ihipStream_tbENKUlT_T0_E_clISt17integral_constantIbLb0EESX_EEDaSS_ST_EUlSS_E_NS1_11comp_targetILNS1_3genE9ELNS1_11target_archE1100ELNS1_3gpuE3ELNS1_3repE0EEENS1_30default_config_static_selectorELNS0_4arch9wavefront6targetE0EEEvT1_
                                        ; -- End function
	.set _ZN7rocprim17ROCPRIM_400000_NS6detail17trampoline_kernelINS0_14default_configENS1_27scan_by_key_config_selectorIiiEEZZNS1_16scan_by_key_implILNS1_25lookback_scan_determinismE0ELb0ES3_PKiN6hipcub16HIPCUB_304000_NS21ConstantInputIteratorIilEEPiiNSB_3SumENSB_8EqualityEiEE10hipError_tPvRmT2_T3_T4_T5_mT6_T7_P12ihipStream_tbENKUlT_T0_E_clISt17integral_constantIbLb0EESX_EEDaSS_ST_EUlSS_E_NS1_11comp_targetILNS1_3genE9ELNS1_11target_archE1100ELNS1_3gpuE3ELNS1_3repE0EEENS1_30default_config_static_selectorELNS0_4arch9wavefront6targetE0EEEvT1_.num_vgpr, 0
	.set _ZN7rocprim17ROCPRIM_400000_NS6detail17trampoline_kernelINS0_14default_configENS1_27scan_by_key_config_selectorIiiEEZZNS1_16scan_by_key_implILNS1_25lookback_scan_determinismE0ELb0ES3_PKiN6hipcub16HIPCUB_304000_NS21ConstantInputIteratorIilEEPiiNSB_3SumENSB_8EqualityEiEE10hipError_tPvRmT2_T3_T4_T5_mT6_T7_P12ihipStream_tbENKUlT_T0_E_clISt17integral_constantIbLb0EESX_EEDaSS_ST_EUlSS_E_NS1_11comp_targetILNS1_3genE9ELNS1_11target_archE1100ELNS1_3gpuE3ELNS1_3repE0EEENS1_30default_config_static_selectorELNS0_4arch9wavefront6targetE0EEEvT1_.num_agpr, 0
	.set _ZN7rocprim17ROCPRIM_400000_NS6detail17trampoline_kernelINS0_14default_configENS1_27scan_by_key_config_selectorIiiEEZZNS1_16scan_by_key_implILNS1_25lookback_scan_determinismE0ELb0ES3_PKiN6hipcub16HIPCUB_304000_NS21ConstantInputIteratorIilEEPiiNSB_3SumENSB_8EqualityEiEE10hipError_tPvRmT2_T3_T4_T5_mT6_T7_P12ihipStream_tbENKUlT_T0_E_clISt17integral_constantIbLb0EESX_EEDaSS_ST_EUlSS_E_NS1_11comp_targetILNS1_3genE9ELNS1_11target_archE1100ELNS1_3gpuE3ELNS1_3repE0EEENS1_30default_config_static_selectorELNS0_4arch9wavefront6targetE0EEEvT1_.numbered_sgpr, 0
	.set _ZN7rocprim17ROCPRIM_400000_NS6detail17trampoline_kernelINS0_14default_configENS1_27scan_by_key_config_selectorIiiEEZZNS1_16scan_by_key_implILNS1_25lookback_scan_determinismE0ELb0ES3_PKiN6hipcub16HIPCUB_304000_NS21ConstantInputIteratorIilEEPiiNSB_3SumENSB_8EqualityEiEE10hipError_tPvRmT2_T3_T4_T5_mT6_T7_P12ihipStream_tbENKUlT_T0_E_clISt17integral_constantIbLb0EESX_EEDaSS_ST_EUlSS_E_NS1_11comp_targetILNS1_3genE9ELNS1_11target_archE1100ELNS1_3gpuE3ELNS1_3repE0EEENS1_30default_config_static_selectorELNS0_4arch9wavefront6targetE0EEEvT1_.num_named_barrier, 0
	.set _ZN7rocprim17ROCPRIM_400000_NS6detail17trampoline_kernelINS0_14default_configENS1_27scan_by_key_config_selectorIiiEEZZNS1_16scan_by_key_implILNS1_25lookback_scan_determinismE0ELb0ES3_PKiN6hipcub16HIPCUB_304000_NS21ConstantInputIteratorIilEEPiiNSB_3SumENSB_8EqualityEiEE10hipError_tPvRmT2_T3_T4_T5_mT6_T7_P12ihipStream_tbENKUlT_T0_E_clISt17integral_constantIbLb0EESX_EEDaSS_ST_EUlSS_E_NS1_11comp_targetILNS1_3genE9ELNS1_11target_archE1100ELNS1_3gpuE3ELNS1_3repE0EEENS1_30default_config_static_selectorELNS0_4arch9wavefront6targetE0EEEvT1_.private_seg_size, 0
	.set _ZN7rocprim17ROCPRIM_400000_NS6detail17trampoline_kernelINS0_14default_configENS1_27scan_by_key_config_selectorIiiEEZZNS1_16scan_by_key_implILNS1_25lookback_scan_determinismE0ELb0ES3_PKiN6hipcub16HIPCUB_304000_NS21ConstantInputIteratorIilEEPiiNSB_3SumENSB_8EqualityEiEE10hipError_tPvRmT2_T3_T4_T5_mT6_T7_P12ihipStream_tbENKUlT_T0_E_clISt17integral_constantIbLb0EESX_EEDaSS_ST_EUlSS_E_NS1_11comp_targetILNS1_3genE9ELNS1_11target_archE1100ELNS1_3gpuE3ELNS1_3repE0EEENS1_30default_config_static_selectorELNS0_4arch9wavefront6targetE0EEEvT1_.uses_vcc, 0
	.set _ZN7rocprim17ROCPRIM_400000_NS6detail17trampoline_kernelINS0_14default_configENS1_27scan_by_key_config_selectorIiiEEZZNS1_16scan_by_key_implILNS1_25lookback_scan_determinismE0ELb0ES3_PKiN6hipcub16HIPCUB_304000_NS21ConstantInputIteratorIilEEPiiNSB_3SumENSB_8EqualityEiEE10hipError_tPvRmT2_T3_T4_T5_mT6_T7_P12ihipStream_tbENKUlT_T0_E_clISt17integral_constantIbLb0EESX_EEDaSS_ST_EUlSS_E_NS1_11comp_targetILNS1_3genE9ELNS1_11target_archE1100ELNS1_3gpuE3ELNS1_3repE0EEENS1_30default_config_static_selectorELNS0_4arch9wavefront6targetE0EEEvT1_.uses_flat_scratch, 0
	.set _ZN7rocprim17ROCPRIM_400000_NS6detail17trampoline_kernelINS0_14default_configENS1_27scan_by_key_config_selectorIiiEEZZNS1_16scan_by_key_implILNS1_25lookback_scan_determinismE0ELb0ES3_PKiN6hipcub16HIPCUB_304000_NS21ConstantInputIteratorIilEEPiiNSB_3SumENSB_8EqualityEiEE10hipError_tPvRmT2_T3_T4_T5_mT6_T7_P12ihipStream_tbENKUlT_T0_E_clISt17integral_constantIbLb0EESX_EEDaSS_ST_EUlSS_E_NS1_11comp_targetILNS1_3genE9ELNS1_11target_archE1100ELNS1_3gpuE3ELNS1_3repE0EEENS1_30default_config_static_selectorELNS0_4arch9wavefront6targetE0EEEvT1_.has_dyn_sized_stack, 0
	.set _ZN7rocprim17ROCPRIM_400000_NS6detail17trampoline_kernelINS0_14default_configENS1_27scan_by_key_config_selectorIiiEEZZNS1_16scan_by_key_implILNS1_25lookback_scan_determinismE0ELb0ES3_PKiN6hipcub16HIPCUB_304000_NS21ConstantInputIteratorIilEEPiiNSB_3SumENSB_8EqualityEiEE10hipError_tPvRmT2_T3_T4_T5_mT6_T7_P12ihipStream_tbENKUlT_T0_E_clISt17integral_constantIbLb0EESX_EEDaSS_ST_EUlSS_E_NS1_11comp_targetILNS1_3genE9ELNS1_11target_archE1100ELNS1_3gpuE3ELNS1_3repE0EEENS1_30default_config_static_selectorELNS0_4arch9wavefront6targetE0EEEvT1_.has_recursion, 0
	.set _ZN7rocprim17ROCPRIM_400000_NS6detail17trampoline_kernelINS0_14default_configENS1_27scan_by_key_config_selectorIiiEEZZNS1_16scan_by_key_implILNS1_25lookback_scan_determinismE0ELb0ES3_PKiN6hipcub16HIPCUB_304000_NS21ConstantInputIteratorIilEEPiiNSB_3SumENSB_8EqualityEiEE10hipError_tPvRmT2_T3_T4_T5_mT6_T7_P12ihipStream_tbENKUlT_T0_E_clISt17integral_constantIbLb0EESX_EEDaSS_ST_EUlSS_E_NS1_11comp_targetILNS1_3genE9ELNS1_11target_archE1100ELNS1_3gpuE3ELNS1_3repE0EEENS1_30default_config_static_selectorELNS0_4arch9wavefront6targetE0EEEvT1_.has_indirect_call, 0
	.section	.AMDGPU.csdata,"",@progbits
; Kernel info:
; codeLenInByte = 0
; TotalNumSgprs: 0
; NumVgprs: 0
; ScratchSize: 0
; MemoryBound: 0
; FloatMode: 240
; IeeeMode: 1
; LDSByteSize: 0 bytes/workgroup (compile time only)
; SGPRBlocks: 0
; VGPRBlocks: 0
; NumSGPRsForWavesPerEU: 1
; NumVGPRsForWavesPerEU: 1
; Occupancy: 16
; WaveLimiterHint : 0
; COMPUTE_PGM_RSRC2:SCRATCH_EN: 0
; COMPUTE_PGM_RSRC2:USER_SGPR: 6
; COMPUTE_PGM_RSRC2:TRAP_HANDLER: 0
; COMPUTE_PGM_RSRC2:TGID_X_EN: 1
; COMPUTE_PGM_RSRC2:TGID_Y_EN: 0
; COMPUTE_PGM_RSRC2:TGID_Z_EN: 0
; COMPUTE_PGM_RSRC2:TIDIG_COMP_CNT: 0
	.section	.text._ZN7rocprim17ROCPRIM_400000_NS6detail17trampoline_kernelINS0_14default_configENS1_27scan_by_key_config_selectorIiiEEZZNS1_16scan_by_key_implILNS1_25lookback_scan_determinismE0ELb0ES3_PKiN6hipcub16HIPCUB_304000_NS21ConstantInputIteratorIilEEPiiNSB_3SumENSB_8EqualityEiEE10hipError_tPvRmT2_T3_T4_T5_mT6_T7_P12ihipStream_tbENKUlT_T0_E_clISt17integral_constantIbLb0EESX_EEDaSS_ST_EUlSS_E_NS1_11comp_targetILNS1_3genE8ELNS1_11target_archE1030ELNS1_3gpuE2ELNS1_3repE0EEENS1_30default_config_static_selectorELNS0_4arch9wavefront6targetE0EEEvT1_,"axG",@progbits,_ZN7rocprim17ROCPRIM_400000_NS6detail17trampoline_kernelINS0_14default_configENS1_27scan_by_key_config_selectorIiiEEZZNS1_16scan_by_key_implILNS1_25lookback_scan_determinismE0ELb0ES3_PKiN6hipcub16HIPCUB_304000_NS21ConstantInputIteratorIilEEPiiNSB_3SumENSB_8EqualityEiEE10hipError_tPvRmT2_T3_T4_T5_mT6_T7_P12ihipStream_tbENKUlT_T0_E_clISt17integral_constantIbLb0EESX_EEDaSS_ST_EUlSS_E_NS1_11comp_targetILNS1_3genE8ELNS1_11target_archE1030ELNS1_3gpuE2ELNS1_3repE0EEENS1_30default_config_static_selectorELNS0_4arch9wavefront6targetE0EEEvT1_,comdat
	.protected	_ZN7rocprim17ROCPRIM_400000_NS6detail17trampoline_kernelINS0_14default_configENS1_27scan_by_key_config_selectorIiiEEZZNS1_16scan_by_key_implILNS1_25lookback_scan_determinismE0ELb0ES3_PKiN6hipcub16HIPCUB_304000_NS21ConstantInputIteratorIilEEPiiNSB_3SumENSB_8EqualityEiEE10hipError_tPvRmT2_T3_T4_T5_mT6_T7_P12ihipStream_tbENKUlT_T0_E_clISt17integral_constantIbLb0EESX_EEDaSS_ST_EUlSS_E_NS1_11comp_targetILNS1_3genE8ELNS1_11target_archE1030ELNS1_3gpuE2ELNS1_3repE0EEENS1_30default_config_static_selectorELNS0_4arch9wavefront6targetE0EEEvT1_ ; -- Begin function _ZN7rocprim17ROCPRIM_400000_NS6detail17trampoline_kernelINS0_14default_configENS1_27scan_by_key_config_selectorIiiEEZZNS1_16scan_by_key_implILNS1_25lookback_scan_determinismE0ELb0ES3_PKiN6hipcub16HIPCUB_304000_NS21ConstantInputIteratorIilEEPiiNSB_3SumENSB_8EqualityEiEE10hipError_tPvRmT2_T3_T4_T5_mT6_T7_P12ihipStream_tbENKUlT_T0_E_clISt17integral_constantIbLb0EESX_EEDaSS_ST_EUlSS_E_NS1_11comp_targetILNS1_3genE8ELNS1_11target_archE1030ELNS1_3gpuE2ELNS1_3repE0EEENS1_30default_config_static_selectorELNS0_4arch9wavefront6targetE0EEEvT1_
	.globl	_ZN7rocprim17ROCPRIM_400000_NS6detail17trampoline_kernelINS0_14default_configENS1_27scan_by_key_config_selectorIiiEEZZNS1_16scan_by_key_implILNS1_25lookback_scan_determinismE0ELb0ES3_PKiN6hipcub16HIPCUB_304000_NS21ConstantInputIteratorIilEEPiiNSB_3SumENSB_8EqualityEiEE10hipError_tPvRmT2_T3_T4_T5_mT6_T7_P12ihipStream_tbENKUlT_T0_E_clISt17integral_constantIbLb0EESX_EEDaSS_ST_EUlSS_E_NS1_11comp_targetILNS1_3genE8ELNS1_11target_archE1030ELNS1_3gpuE2ELNS1_3repE0EEENS1_30default_config_static_selectorELNS0_4arch9wavefront6targetE0EEEvT1_
	.p2align	8
	.type	_ZN7rocprim17ROCPRIM_400000_NS6detail17trampoline_kernelINS0_14default_configENS1_27scan_by_key_config_selectorIiiEEZZNS1_16scan_by_key_implILNS1_25lookback_scan_determinismE0ELb0ES3_PKiN6hipcub16HIPCUB_304000_NS21ConstantInputIteratorIilEEPiiNSB_3SumENSB_8EqualityEiEE10hipError_tPvRmT2_T3_T4_T5_mT6_T7_P12ihipStream_tbENKUlT_T0_E_clISt17integral_constantIbLb0EESX_EEDaSS_ST_EUlSS_E_NS1_11comp_targetILNS1_3genE8ELNS1_11target_archE1030ELNS1_3gpuE2ELNS1_3repE0EEENS1_30default_config_static_selectorELNS0_4arch9wavefront6targetE0EEEvT1_,@function
_ZN7rocprim17ROCPRIM_400000_NS6detail17trampoline_kernelINS0_14default_configENS1_27scan_by_key_config_selectorIiiEEZZNS1_16scan_by_key_implILNS1_25lookback_scan_determinismE0ELb0ES3_PKiN6hipcub16HIPCUB_304000_NS21ConstantInputIteratorIilEEPiiNSB_3SumENSB_8EqualityEiEE10hipError_tPvRmT2_T3_T4_T5_mT6_T7_P12ihipStream_tbENKUlT_T0_E_clISt17integral_constantIbLb0EESX_EEDaSS_ST_EUlSS_E_NS1_11comp_targetILNS1_3genE8ELNS1_11target_archE1030ELNS1_3gpuE2ELNS1_3repE0EEENS1_30default_config_static_selectorELNS0_4arch9wavefront6targetE0EEEvT1_: ; @_ZN7rocprim17ROCPRIM_400000_NS6detail17trampoline_kernelINS0_14default_configENS1_27scan_by_key_config_selectorIiiEEZZNS1_16scan_by_key_implILNS1_25lookback_scan_determinismE0ELb0ES3_PKiN6hipcub16HIPCUB_304000_NS21ConstantInputIteratorIilEEPiiNSB_3SumENSB_8EqualityEiEE10hipError_tPvRmT2_T3_T4_T5_mT6_T7_P12ihipStream_tbENKUlT_T0_E_clISt17integral_constantIbLb0EESX_EEDaSS_ST_EUlSS_E_NS1_11comp_targetILNS1_3genE8ELNS1_11target_archE1030ELNS1_3gpuE2ELNS1_3repE0EEENS1_30default_config_static_selectorELNS0_4arch9wavefront6targetE0EEEvT1_
; %bb.0:
	s_clause 0x5
	s_load_dwordx2 s[22:23], s[4:5], 0x40
	s_load_dword s0, s[4:5], 0x48
	s_load_dwordx4 s[24:27], s[4:5], 0x0
	s_load_dwordx8 s[8:15], s[4:5], 0x50
	s_load_dwordx4 s[16:19], s[4:5], 0x30
	s_load_dword s7, s[4:5], 0x10
	s_mov_b32 s3, 0
	s_waitcnt lgkmcnt(0)
	s_barrier
	buffer_gl0_inv
	s_mul_i32 s1, s23, s0
	s_mul_hi_u32 s2, s22, s0
	s_lshl_b64 s[20:21], s[26:27], 2
	s_add_i32 s1, s2, s1
	s_add_u32 s19, s24, s20
	s_addc_u32 s25, s25, s21
	s_cmp_lg_u64 s[12:13], 0
	s_mul_i32 s2, s6, 0x300
	s_cselect_b32 s29, -1, 0
	s_lshl_b64 s[12:13], s[2:3], 2
	s_mul_i32 s0, s22, s0
	s_add_u32 s24, s19, s12
	s_addc_u32 s25, s25, s13
	s_add_u32 s26, s0, s6
	s_addc_u32 s27, s1, 0
	s_add_u32 s0, s8, -1
	s_addc_u32 s1, s9, -1
	s_mul_i32 s28, s0, 0xfffffd00
	v_cmp_ge_u64_e64 s19, s[26:27], s[0:1]
	s_and_b32 vcc_lo, exec_lo, s19
	s_cbranch_vccz .LBB18_10
; %bb.1:
	s_load_dword s3, s[24:25], 0x0
	s_add_i32 s30, s28, s18
	v_cmp_gt_u32_e64 s0, s30, v0
	s_waitcnt lgkmcnt(0)
	v_mov_b32_e32 v1, s3
	s_and_saveexec_b32 s1, s0
	s_cbranch_execz .LBB18_3
; %bb.2:
	v_lshlrev_b32_e32 v1, 2, v0
	global_load_dword v1, v1, s[24:25]
.LBB18_3:
	s_or_b32 exec_lo, exec_lo, s1
	v_or_b32_e32 v2, 0x100, v0
	v_cmp_gt_u32_e64 s1, s30, v2
	v_mov_b32_e32 v2, s3
	s_and_saveexec_b32 s2, s1
	s_cbranch_execz .LBB18_5
; %bb.4:
	v_lshlrev_b32_e32 v2, 2, v0
	global_load_dword v2, v2, s[24:25] offset:1024
.LBB18_5:
	s_or_b32 exec_lo, exec_lo, s2
	v_or_b32_e32 v3, 0x200, v0
	v_mov_b32_e32 v5, s3
	v_cmp_gt_u32_e64 s2, s30, v3
	s_and_saveexec_b32 s3, s2
	s_cbranch_execz .LBB18_7
; %bb.6:
	v_lshlrev_b32_e32 v3, 2, v3
	global_load_dword v5, v3, s[24:25]
.LBB18_7:
	s_or_b32 exec_lo, exec_lo, s3
	v_lshlrev_b32_e32 v4, 2, v0
	v_lshlrev_b32_e32 v6, 3, v0
	s_cmp_eq_u64 s[26:27], 0
	s_mov_b64 s[8:9], s[24:25]
	s_waitcnt vmcnt(0)
	ds_write2st64_b32 v4, v1, v2 offset1:4
	v_add_nc_u32_e32 v3, v4, v6
	ds_write_b32 v4, v5 offset:2048
	s_waitcnt lgkmcnt(0)
	s_barrier
	buffer_gl0_inv
	ds_read2_b32 v[1:2], v3 offset1:1
	ds_read_b32 v5, v3 offset:8
	s_cbranch_scc1 .LBB18_13
; %bb.8:
	s_add_u32 s8, s24, -4
	s_addc_u32 s9, s25, -1
	s_andn2_b32 vcc_lo, exec_lo, s29
	s_cbranch_vccnz .LBB18_11
; %bb.9:
	s_lshl_b64 s[8:9], s[26:27], 2
	s_add_u32 s3, s14, s8
	s_addc_u32 s9, s15, s9
	s_add_u32 s8, s3, -4
	s_addc_u32 s9, s9, -1
	s_mov_b32 s3, 0
	s_branch .LBB18_12
.LBB18_10:
                                        ; implicit-def: $sgpr1
                                        ; implicit-def: $vgpr4
                                        ; implicit-def: $vgpr9_vgpr10
                                        ; implicit-def: $vgpr11_vgpr12
	v_lshlrev_b32_e32 v18, 2, v0
	v_lshlrev_b32_e32 v19, 3, v0
	s_cbranch_execnz .LBB18_20
	s_branch .LBB18_28
.LBB18_11:
	s_mov_b32 s3, -1
.LBB18_12:
	s_andn2_b32 vcc_lo, exec_lo, s3
.LBB18_13:
	s_load_dword s8, s[8:9], 0x0
	v_sub_nc_u32_e32 v8, v3, v6
	s_mov_b32 s3, 0
	s_waitcnt lgkmcnt(0)
	ds_write_b32 v8, v5 offset:3072
	s_waitcnt lgkmcnt(0)
	s_barrier
	buffer_gl0_inv
	v_mov_b32_e32 v7, s8
	s_mov_b32 s8, exec_lo
	v_cmpx_ne_u32_e32 0, v0
; %bb.14:
	v_sub_nc_u32_e32 v6, 0, v6
	v_add_nc_u32_e32 v6, v3, v6
	ds_read_b32 v7, v6 offset:3068
; %bb.15:
	s_or_b32 exec_lo, exec_lo, s8
	v_cndmask_b32_e64 v8, 0, s7, s0
	v_cndmask_b32_e64 v9, 0, s7, s1
	s_waitcnt lgkmcnt(0)
	s_barrier
	buffer_gl0_inv
	v_mov_b32_e32 v11, 0
	ds_write2st64_b32 v4, v8, v9 offset1:4
	v_mov_b32_e32 v9, 0
	v_mul_u32_u24_e32 v6, 3, v0
	v_cndmask_b32_e64 v13, 0, s7, s2
	v_mov_b32_e32 v10, 0
	v_mov_b32_e32 v12, 0
	s_mov_b32 s2, exec_lo
                                        ; implicit-def: $sgpr1
	ds_write_b32 v4, v13 offset:2048
	s_waitcnt lgkmcnt(0)
	s_barrier
	buffer_gl0_inv
                                        ; implicit-def: $vgpr4
	v_cmpx_gt_u32_e64 s30, v6
	s_cbranch_execz .LBB18_19
; %bb.16:
	ds_read_b32 v9, v3
	v_add_nc_u32_e32 v4, 1, v6
	v_cmp_ne_u32_e32 vcc_lo, v7, v1
	v_mov_b32_e32 v11, 0
	v_mov_b32_e32 v12, 0
	s_mov_b32 s0, 0
                                        ; implicit-def: $sgpr1
	v_cndmask_b32_e64 v10, 0, 1, vcc_lo
	v_cmp_gt_u32_e32 vcc_lo, s30, v4
                                        ; implicit-def: $vgpr4
	s_and_saveexec_b32 s3, vcc_lo
	s_xor_b32 s3, exec_lo, s3
	s_cbranch_execz .LBB18_18
; %bb.17:
	ds_read2_b32 v[3:4], v3 offset0:1 offset1:2
	v_add_nc_u32_e32 v6, 2, v6
	v_cmp_ne_u32_e64 s0, v1, v2
	v_cmp_ne_u32_e64 s1, v2, v5
	v_cmp_gt_u32_e32 vcc_lo, s30, v6
	v_cndmask_b32_e64 v12, 0, 1, s0
	s_and_b32 s0, vcc_lo, exec_lo
	s_waitcnt lgkmcnt(0)
	v_mov_b32_e32 v11, v3
.LBB18_18:
	s_or_b32 exec_lo, exec_lo, s3
	s_and_b32 s3, s0, exec_lo
.LBB18_19:
	s_or_b32 exec_lo, exec_lo, s2
	v_lshlrev_b32_e32 v18, 2, v0
	v_lshlrev_b32_e32 v19, 3, v0
	s_branch .LBB18_28
.LBB18_20:
	v_add_co_u32 v1, s0, s24, v18
	v_add_co_ci_u32_e64 v2, null, s25, 0, s0
	v_add_nc_u32_e32 v3, v18, v19
	v_add_co_u32 v1, vcc_lo, 0x800, v1
	v_add_co_ci_u32_e64 v2, null, 0, v2, vcc_lo
	s_cmp_eq_u64 s[26:27], 0
	s_clause 0x2
	global_load_dword v4, v18, s[24:25]
	global_load_dword v5, v18, s[24:25] offset:1024
	global_load_dword v1, v[1:2], off
	s_waitcnt vmcnt(1)
	ds_write2st64_b32 v18, v4, v5 offset1:4
	s_waitcnt vmcnt(0)
	ds_write_b32 v18, v1 offset:2048
	s_waitcnt lgkmcnt(0)
	s_barrier
	buffer_gl0_inv
	ds_read2_b32 v[1:2], v3 offset1:1
	ds_read_b32 v5, v3 offset:8
	s_cbranch_scc1 .LBB18_25
; %bb.21:
	s_add_u32 s24, s24, -4
	s_addc_u32 s25, s25, -1
	s_andn2_b32 vcc_lo, exec_lo, s29
	s_cbranch_vccnz .LBB18_23
; %bb.22:
	s_lshl_b64 s[0:1], s[26:27], 2
	s_add_u32 s0, s14, s0
	s_addc_u32 s1, s15, s1
	s_add_u32 s24, s0, -4
	s_addc_u32 s25, s1, -1
	s_mov_b32 s0, 0
	s_branch .LBB18_24
.LBB18_23:
	s_mov_b32 s0, -1
.LBB18_24:
	s_andn2_b32 vcc_lo, exec_lo, s0
.LBB18_25:
	s_load_dword s0, s[24:25], 0x0
	v_sub_nc_u32_e32 v4, v3, v19
	s_waitcnt lgkmcnt(0)
	ds_write_b32 v4, v5 offset:3072
	s_waitcnt lgkmcnt(0)
	s_barrier
	buffer_gl0_inv
	v_mov_b32_e32 v6, s0
	s_mov_b32 s0, exec_lo
	v_cmpx_ne_u32_e32 0, v0
; %bb.26:
	v_sub_nc_u32_e32 v4, 0, v19
	v_add_nc_u32_e32 v4, v3, v4
	ds_read_b32 v6, v4 offset:3068
; %bb.27:
	s_or_b32 exec_lo, exec_lo, s0
	v_mov_b32_e32 v4, s7
	s_waitcnt lgkmcnt(0)
	s_barrier
	buffer_gl0_inv
	v_cmp_ne_u32_e32 vcc_lo, v6, v1
	ds_write2st64_b32 v18, v4, v4 offset1:4
	ds_write_b32 v18, v4 offset:2048
	s_waitcnt lgkmcnt(0)
	s_barrier
	buffer_gl0_inv
	ds_read2_b32 v[7:8], v3 offset1:1
	ds_read_b32 v4, v3 offset:8
	v_cndmask_b32_e64 v10, 0, 1, vcc_lo
	v_cmp_ne_u32_e32 vcc_lo, v1, v2
	v_cmp_ne_u32_e64 s1, v2, v5
	s_mov_b32 s3, -1
	v_cndmask_b32_e64 v12, 0, 1, vcc_lo
	s_waitcnt lgkmcnt(1)
	v_mov_b32_e32 v9, v7
	v_mov_b32_e32 v11, v8
.LBB18_28:
	v_mov_b32_e32 v13, 0
	v_mov_b32_e32 v14, 0
	s_and_saveexec_b32 s0, s3
	s_cbranch_execz .LBB18_30
; %bb.29:
	v_cndmask_b32_e64 v14, 0, 1, s1
	s_waitcnt lgkmcnt(0)
	v_mov_b32_e32 v13, v4
.LBB18_30:
	s_or_b32 exec_lo, exec_lo, s0
	v_or_b32_e32 v23, v12, v14
	v_mbcnt_lo_u32_b32 v20, -1, 0
	v_lshrrev_b32_e32 v21, 5, v0
	v_or_b32_e32 v22, 31, v0
	s_cmp_lg_u32 s6, 0
	s_mov_b32 s2, 0
	s_waitcnt lgkmcnt(0)
	s_barrier
	buffer_gl0_inv
	s_cbranch_scc0 .LBB18_56
; %bb.31:
	v_and_b32_e32 v2, 0xff, v23
	v_mov_b32_e32 v1, 0
	s_mov_b32 s3, 1
	v_and_b32_e32 v8, 15, v20
	v_cmp_gt_u64_e64 s0, s[2:3], v[11:12]
	v_cmp_gt_u64_e64 s1, s[2:3], v[13:14]
	v_cmp_eq_u64_e32 vcc_lo, 0, v[1:2]
	v_cndmask_b32_e64 v3, 0, v9, s0
	v_cndmask_b32_e32 v2, 1, v10, vcc_lo
	v_add_nc_u32_e32 v3, v3, v11
	v_and_b32_e32 v4, 0xff, v2
	v_and_b32_e32 v6, 1, v2
	v_cndmask_b32_e64 v3, 0, v3, s1
	v_mov_b32_dpp v5, v4 row_shr:1 row_mask:0xf bank_mask:0xf
	v_cmp_eq_u32_e32 vcc_lo, 1, v6
	v_add_nc_u32_e32 v3, v3, v13
	v_and_b32_e32 v5, 1, v5
	v_mov_b32_dpp v7, v3 row_shr:1 row_mask:0xf bank_mask:0xf
	v_cndmask_b32_e64 v5, v5, 1, vcc_lo
	v_cmp_eq_u16_e32 vcc_lo, 0, v4
	v_cndmask_b32_e32 v6, 0, v7, vcc_lo
	v_cmp_eq_u32_e32 vcc_lo, 0, v8
	v_cndmask_b32_e32 v4, v5, v4, vcc_lo
	v_cndmask_b32_e32 v2, v5, v2, vcc_lo
	v_cndmask_b32_e64 v6, v6, 0, vcc_lo
	v_mov_b32_dpp v5, v4 row_shr:2 row_mask:0xf bank_mask:0xf
	v_and_b32_e32 v7, 1, v2
	v_add_nc_u32_e32 v3, v6, v3
	v_cmp_eq_u16_sdwa s2, v2, v1 src0_sel:BYTE_0 src1_sel:DWORD
	v_and_b32_e32 v5, 1, v5
	v_cmp_eq_u32_e32 vcc_lo, 1, v7
	v_cndmask_b32_e64 v5, v5, 1, vcc_lo
	v_cmp_lt_u32_e32 vcc_lo, 1, v8
	v_cndmask_b32_e32 v7, v2, v5, vcc_lo
	v_cndmask_b32_e32 v4, v4, v5, vcc_lo
	v_mov_b32_dpp v2, v3 row_shr:2 row_mask:0xf bank_mask:0xf
	s_and_b32 vcc_lo, vcc_lo, s2
	v_and_b32_e32 v6, 1, v7
	v_mov_b32_dpp v5, v4 row_shr:4 row_mask:0xf bank_mask:0xf
	v_cndmask_b32_e32 v2, 0, v2, vcc_lo
	v_cmp_eq_u16_sdwa s2, v7, v1 src0_sel:BYTE_0 src1_sel:DWORD
	v_cmp_eq_u32_e32 vcc_lo, 1, v6
	v_and_b32_e32 v5, 1, v5
	v_add_nc_u32_e32 v2, v2, v3
	v_cndmask_b32_e64 v5, v5, 1, vcc_lo
	v_cmp_lt_u32_e32 vcc_lo, 3, v8
	v_cndmask_b32_e32 v3, v7, v5, vcc_lo
	v_cndmask_b32_e32 v4, v4, v5, vcc_lo
	v_mov_b32_dpp v5, v2 row_shr:4 row_mask:0xf bank_mask:0xf
	s_and_b32 vcc_lo, vcc_lo, s2
	v_and_b32_e32 v7, 1, v3
	v_mov_b32_dpp v6, v4 row_shr:8 row_mask:0xf bank_mask:0xf
	v_cndmask_b32_e32 v5, 0, v5, vcc_lo
	v_cmp_eq_u16_sdwa s2, v3, v1 src0_sel:BYTE_0 src1_sel:DWORD
	v_cmp_eq_u32_e32 vcc_lo, 1, v7
	v_and_b32_e32 v6, 1, v6
	v_add_nc_u32_e32 v2, v5, v2
	v_bfe_i32 v7, v20, 4, 1
	v_cndmask_b32_e64 v5, v6, 1, vcc_lo
	v_cmp_lt_u32_e32 vcc_lo, 7, v8
	v_mov_b32_dpp v6, v2 row_shr:8 row_mask:0xf bank_mask:0xf
	s_and_b32 s2, vcc_lo, s2
	v_cndmask_b32_e32 v4, v4, v5, vcc_lo
	v_cndmask_b32_e64 v6, 0, v6, s2
	v_cndmask_b32_e32 v3, v3, v5, vcc_lo
	ds_swizzle_b32 v5, v4 offset:swizzle(BROADCAST,32,15)
	v_add_nc_u32_e32 v2, v6, v2
	v_and_b32_e32 v8, 1, v3
	v_cmp_eq_u16_sdwa vcc_lo, v3, v1 src0_sel:BYTE_0 src1_sel:DWORD
	v_and_b32_e32 v3, 16, v20
	ds_swizzle_b32 v6, v2 offset:swizzle(BROADCAST,32,15)
	v_cmp_eq_u32_e64 s2, 0, v3
	s_waitcnt lgkmcnt(1)
	v_and_b32_e32 v5, 1, v5
	s_waitcnt lgkmcnt(0)
	v_cndmask_b32_e32 v1, 0, v6, vcc_lo
	v_cmp_eq_u32_e32 vcc_lo, 1, v8
	v_and_b32_e32 v1, v7, v1
	v_cndmask_b32_e64 v5, v5, 1, vcc_lo
	v_add_nc_u32_e32 v3, v1, v2
	v_cndmask_b32_e64 v4, v5, v4, s2
	v_lshlrev_b32_e32 v5, 3, v21
	s_mov_b32 s2, exec_lo
	v_cmpx_eq_u32_e64 v0, v22
	s_cbranch_execz .LBB18_33
; %bb.32:
	ds_write_b32 v5, v3
	ds_write_b8 v5, v4 offset:4
.LBB18_33:
	s_or_b32 exec_lo, exec_lo, s2
	s_mov_b32 s2, exec_lo
	s_waitcnt lgkmcnt(0)
	s_barrier
	buffer_gl0_inv
	v_cmpx_gt_u32_e32 8, v0
	s_cbranch_execz .LBB18_39
; %bb.34:
	ds_read_b64 v[1:2], v19
	v_and_b32_e32 v6, 7, v20
	s_mov_b32 s3, exec_lo
	s_waitcnt lgkmcnt(0)
	v_and_b32_e32 v7, 0xffffff00, v2
	v_mov_b32_dpp v15, v1 row_shr:1 row_mask:0xf bank_mask:0xf
	v_mov_b32_dpp v16, v2 row_shr:1 row_mask:0xf bank_mask:0xf
	v_mov_b32_e32 v8, v2
	v_cmpx_ne_u32_e32 0, v6
	s_cbranch_execz .LBB18_36
; %bb.35:
	v_mov_b32_e32 v8, 0
	v_and_b32_e32 v17, 1, v2
	v_and_b32_e32 v16, 1, v16
	v_cmp_eq_u16_sdwa vcc_lo, v2, v8 src0_sel:BYTE_0 src1_sel:DWORD
	v_cndmask_b32_e32 v2, 0, v15, vcc_lo
	v_cmp_eq_u32_e32 vcc_lo, 1, v17
	v_add_nc_u32_e32 v1, v2, v1
	v_cndmask_b32_e64 v15, v16, 1, vcc_lo
	v_or_b32_sdwa v8, v7, v15 dst_sel:DWORD dst_unused:UNUSED_PAD src0_sel:DWORD src1_sel:WORD_0
	v_mov_b32_e32 v2, v15
.LBB18_36:
	s_or_b32 exec_lo, exec_lo, s3
	v_mov_b32_dpp v15, v1 row_shr:2 row_mask:0xf bank_mask:0xf
	v_mov_b32_dpp v16, v8 row_shr:2 row_mask:0xf bank_mask:0xf
	s_mov_b32 s3, exec_lo
	v_cmpx_lt_u32_e32 1, v6
	s_cbranch_execz .LBB18_38
; %bb.37:
	v_mov_b32_e32 v8, 0
	v_and_b32_e32 v17, 1, v2
	v_and_b32_e32 v16, 1, v16
	v_cmp_eq_u16_sdwa vcc_lo, v2, v8 src0_sel:BYTE_0 src1_sel:DWORD
	v_cndmask_b32_e32 v2, 0, v15, vcc_lo
	v_cmp_eq_u32_e32 vcc_lo, 1, v17
	v_add_nc_u32_e32 v1, v2, v1
	v_cndmask_b32_e64 v15, v16, 1, vcc_lo
	v_or_b32_sdwa v8, v7, v15 dst_sel:DWORD dst_unused:UNUSED_PAD src0_sel:DWORD src1_sel:WORD_0
	v_mov_b32_e32 v2, v15
.LBB18_38:
	s_or_b32 exec_lo, exec_lo, s3
	v_mov_b32_dpp v7, v8 row_shr:4 row_mask:0xf bank_mask:0xf
	v_and_b32_e32 v15, 1, v2
	v_mov_b32_e32 v8, 0
	v_and_b32_e32 v7, 1, v7
	v_cmp_eq_u32_e32 vcc_lo, 1, v15
	v_cmp_eq_u16_sdwa s3, v2, v8 src0_sel:BYTE_0 src1_sel:DWORD
	v_cndmask_b32_e64 v7, v7, 1, vcc_lo
	v_cmp_lt_u32_e32 vcc_lo, 3, v6
	v_mov_b32_dpp v6, v1 row_shr:4 row_mask:0xf bank_mask:0xf
	v_cndmask_b32_e32 v2, v2, v7, vcc_lo
	s_and_b32 vcc_lo, vcc_lo, s3
	v_cndmask_b32_e32 v6, 0, v6, vcc_lo
	v_add_nc_u32_e32 v1, v6, v1
	ds_write_b32 v19, v1
	ds_write_b8 v19, v2 offset:4
.LBB18_39:
	s_or_b32 exec_lo, exec_lo, s2
	v_mov_b32_e32 v24, 0
	v_mov_b32_e32 v25, 0
	s_mov_b32 s3, exec_lo
	v_cmp_gt_u32_e32 vcc_lo, 32, v0
	s_waitcnt lgkmcnt(0)
	s_barrier
	buffer_gl0_inv
	v_cmpx_lt_u32_e32 31, v0
	s_cbranch_execz .LBB18_41
; %bb.40:
	v_add_nc_u32_e32 v1, -8, v5
	v_cmp_eq_u32_e64 s2, 0, v4
	v_and_b32_e32 v2, 1, v4
	ds_read_b32 v24, v1
	v_add_nc_u32_e32 v1, -4, v5
	ds_read_u8 v25, v1
	s_waitcnt lgkmcnt(1)
	v_cndmask_b32_e64 v1, 0, v24, s2
	v_cmp_eq_u32_e64 s2, 1, v2
	v_add_nc_u32_e32 v3, v1, v3
	s_waitcnt lgkmcnt(0)
	v_cndmask_b32_e64 v4, v25, 1, s2
.LBB18_41:
	s_or_b32 exec_lo, exec_lo, s3
	v_sub_co_u32 v1, s2, v20, 1
	v_cmp_gt_i32_e64 s3, 0, v1
	v_cndmask_b32_e64 v1, v1, v20, s3
	v_lshlrev_b32_e32 v1, 2, v1
	ds_bpermute_b32 v26, v1, v3
	ds_bpermute_b32 v27, v1, v4
	s_and_saveexec_b32 s7, vcc_lo
	s_cbranch_execz .LBB18_61
; %bb.42:
	v_mov_b32_e32 v4, 0
	ds_read_b64 v[1:2], v4 offset:56
	s_and_saveexec_b32 s3, s2
	s_cbranch_execz .LBB18_44
; %bb.43:
	s_add_i32 s8, s6, 32
	s_mov_b32 s9, 0
	v_mov_b32_e32 v3, 1
	s_lshl_b64 s[8:9], s[8:9], 4
	s_add_u32 s8, s16, s8
	s_addc_u32 s9, s17, s9
	v_mov_b32_e32 v5, s8
	v_mov_b32_e32 v6, s9
	s_waitcnt lgkmcnt(0)
	;;#ASMSTART
	global_store_dwordx4 v[5:6], v[1:4] off	
s_waitcnt vmcnt(0)
	;;#ASMEND
.LBB18_44:
	s_or_b32 exec_lo, exec_lo, s3
	v_xad_u32 v15, v20, -1, s6
	s_mov_b32 s8, 0
	v_add_nc_u32_e32 v3, 32, v15
	v_lshlrev_b64 v[5:6], 4, v[3:4]
	v_add_co_u32 v16, vcc_lo, s16, v5
	v_add_co_ci_u32_e64 v17, null, s17, v6, vcc_lo
	;;#ASMSTART
	global_load_dwordx4 v[5:8], v[16:17] off glc dlc	
s_waitcnt vmcnt(0)
	;;#ASMEND
	v_and_b32_e32 v6, 0xff, v6
	v_cmp_eq_u16_sdwa s9, v7, v4 src0_sel:BYTE_0 src1_sel:DWORD
	s_and_saveexec_b32 s3, s9
	s_cbranch_execz .LBB18_48
; %bb.45:
	v_mov_b32_e32 v3, 0
.LBB18_46:                              ; =>This Inner Loop Header: Depth=1
	;;#ASMSTART
	global_load_dwordx4 v[5:8], v[16:17] off glc dlc	
s_waitcnt vmcnt(0)
	;;#ASMEND
	v_cmp_ne_u16_sdwa s9, v7, v3 src0_sel:BYTE_0 src1_sel:DWORD
	s_or_b32 s8, s9, s8
	s_andn2_b32 exec_lo, exec_lo, s8
	s_cbranch_execnz .LBB18_46
; %bb.47:
	s_or_b32 exec_lo, exec_lo, s8
	v_and_b32_e32 v6, 0xff, v6
.LBB18_48:
	s_or_b32 exec_lo, exec_lo, s3
	v_cmp_ne_u32_e32 vcc_lo, 31, v20
	v_mov_b32_e32 v28, 2
	v_lshlrev_b32_e64 v29, v20, -1
	v_and_b32_e32 v8, 1, v6
	s_mov_b32 s8, 0
	v_add_co_ci_u32_e64 v3, null, 0, v20, vcc_lo
	v_cmp_eq_u16_sdwa s3, v7, v28 src0_sel:BYTE_0 src1_sel:DWORD
	v_cmp_eq_u32_e32 vcc_lo, 1, v8
	s_mov_b32 s9, 1
	v_lshlrev_b32_e32 v17, 2, v3
	v_add_nc_u32_e32 v37, 8, v20
	v_and_or_b32 v4, s3, v29, 0x80000000
	v_cmp_gt_u64_e64 s3, s[8:9], v[5:6]
	v_lshl_or_b32 v38, v20, 2, 64
	ds_bpermute_b32 v3, v17, v6
	ds_bpermute_b32 v16, v17, v5
	v_ffbl_b32_e32 v4, v4
	v_add_nc_u32_e32 v39, 16, v20
	s_waitcnt lgkmcnt(1)
	v_and_b32_e32 v3, 1, v3
	v_cndmask_b32_e64 v3, v3, 1, vcc_lo
	v_cmp_gt_u32_e32 vcc_lo, 30, v20
	v_and_b32_e32 v31, 0xffff, v3
	v_cndmask_b32_e64 v8, 0, 2, vcc_lo
	v_cmp_lt_u32_e32 vcc_lo, v20, v4
	v_add_lshl_u32 v30, v8, v20, 2
	v_cndmask_b32_e32 v8, v6, v31, vcc_lo
	v_cndmask_b32_e32 v3, v6, v3, vcc_lo
	s_and_b32 vcc_lo, vcc_lo, s3
	s_waitcnt lgkmcnt(0)
	v_cndmask_b32_e32 v6, 0, v16, vcc_lo
	ds_bpermute_b32 v31, v30, v8
	v_and_b32_e32 v16, 1, v3
	v_add_nc_u32_e32 v5, v6, v5
	v_cmp_eq_u32_e32 vcc_lo, 1, v16
	v_mov_b32_e32 v16, 0
	ds_bpermute_b32 v6, v30, v5
	v_cmp_eq_u16_sdwa s3, v3, v16 src0_sel:BYTE_0 src1_sel:DWORD
	s_waitcnt lgkmcnt(1)
	v_and_b32_e32 v32, 1, v31
	v_add_nc_u32_e32 v31, 2, v20
	v_cndmask_b32_e64 v33, v32, 1, vcc_lo
	v_cmp_gt_u32_e32 vcc_lo, 28, v20
	v_and_b32_e32 v34, 0xffff, v33
	v_cndmask_b32_e64 v32, 0, 4, vcc_lo
	v_cmp_gt_u32_e32 vcc_lo, v31, v4
	v_add_lshl_u32 v32, v32, v20, 2
	v_cndmask_b32_e32 v8, v34, v8, vcc_lo
	v_cndmask_b32_e32 v35, v33, v3, vcc_lo
	s_waitcnt lgkmcnt(0)
	v_cndmask_b32_e64 v3, 0, v6, s3
	v_add_nc_u32_e32 v33, 4, v20
	ds_bpermute_b32 v6, v32, v8
	v_and_b32_e32 v34, 1, v35
	v_cndmask_b32_e64 v3, v3, 0, vcc_lo
	v_cmp_eq_u16_sdwa s3, v35, v16 src0_sel:BYTE_0 src1_sel:DWORD
	v_cmp_eq_u32_e32 vcc_lo, 1, v34
	v_add_nc_u32_e32 v3, v3, v5
	ds_bpermute_b32 v5, v32, v3
	s_waitcnt lgkmcnt(1)
	v_and_b32_e32 v6, 1, v6
	v_cndmask_b32_e64 v6, v6, 1, vcc_lo
	v_cmp_gt_u32_e32 vcc_lo, 24, v20
	v_and_b32_e32 v36, 0xffff, v6
	v_cndmask_b32_e64 v34, 0, 8, vcc_lo
	v_cmp_gt_u32_e32 vcc_lo, v33, v4
	s_waitcnt lgkmcnt(0)
	v_cndmask_b32_e64 v5, 0, v5, s3
	v_add_lshl_u32 v34, v34, v20, 2
	v_cndmask_b32_e32 v8, v36, v8, vcc_lo
	v_cndmask_b32_e32 v6, v6, v35, vcc_lo
	v_cndmask_b32_e64 v5, v5, 0, vcc_lo
	ds_bpermute_b32 v35, v34, v8
	v_and_b32_e32 v36, 1, v6
	v_add_nc_u32_e32 v3, v5, v3
	v_cmp_eq_u32_e32 vcc_lo, 1, v36
	ds_bpermute_b32 v5, v34, v3
	s_waitcnt lgkmcnt(1)
	v_and_b32_e32 v35, 1, v35
	v_cndmask_b32_e64 v35, v35, 1, vcc_lo
	v_cmp_eq_u16_sdwa vcc_lo, v6, v16 src0_sel:BYTE_0 src1_sel:DWORD
	v_and_b32_e32 v36, 0xffff, v35
	s_waitcnt lgkmcnt(0)
	v_cndmask_b32_e32 v5, 0, v5, vcc_lo
	v_cmp_gt_u32_e32 vcc_lo, v37, v4
	v_cndmask_b32_e64 v5, v5, 0, vcc_lo
	v_cndmask_b32_e32 v8, v36, v8, vcc_lo
	v_cndmask_b32_e32 v6, v35, v6, vcc_lo
	v_add_nc_u32_e32 v3, v5, v3
	ds_bpermute_b32 v5, v38, v8
	v_and_b32_e32 v35, 1, v6
	v_cmp_eq_u16_sdwa vcc_lo, v6, v16 src0_sel:BYTE_0 src1_sel:DWORD
	ds_bpermute_b32 v8, v38, v3
	s_waitcnt lgkmcnt(1)
	v_and_b32_e32 v5, 1, v5
	s_waitcnt lgkmcnt(0)
	v_cndmask_b32_e32 v8, 0, v8, vcc_lo
	v_cmp_eq_u32_e32 vcc_lo, 1, v35
	v_cndmask_b32_e64 v5, v5, 1, vcc_lo
	v_cmp_gt_u32_e32 vcc_lo, v39, v4
	v_cndmask_b32_e32 v4, v5, v6, vcc_lo
	v_cndmask_b32_e64 v5, v8, 0, vcc_lo
	v_add_nc_u32_e32 v3, v5, v3
	s_branch .LBB18_52
.LBB18_49:                              ;   in Loop: Header=BB18_52 Depth=1
	s_or_b32 exec_lo, exec_lo, s14
	v_and_b32_e32 v6, 0xff, v6
.LBB18_50:                              ;   in Loop: Header=BB18_52 Depth=1
	s_or_b32 exec_lo, exec_lo, s3
	ds_bpermute_b32 v3, v17, v6
	v_cmp_eq_u16_sdwa s3, v7, v28 src0_sel:BYTE_0 src1_sel:DWORD
	v_and_b32_e32 v4, 1, v6
	v_subrev_nc_u32_e32 v15, 32, v15
	v_and_or_b32 v8, s3, v29, 0x80000000
	v_cmp_eq_u32_e32 vcc_lo, 1, v4
	v_cmp_gt_u64_e64 s3, s[8:9], v[5:6]
	v_ffbl_b32_e32 v4, v8
	ds_bpermute_b32 v8, v17, v5
	s_waitcnt lgkmcnt(1)
	v_and_b32_e32 v3, 1, v3
	v_cndmask_b32_e64 v3, v3, 1, vcc_lo
	v_cmp_lt_u32_e32 vcc_lo, v20, v4
	v_and_b32_e32 v40, 0xffff, v3
	v_cndmask_b32_e32 v3, v6, v3, vcc_lo
	v_cndmask_b32_e32 v40, v6, v40, vcc_lo
	s_and_b32 vcc_lo, vcc_lo, s3
	v_cmp_eq_u16_sdwa s3, v3, v16 src0_sel:BYTE_0 src1_sel:DWORD
	s_waitcnt lgkmcnt(0)
	v_cndmask_b32_e32 v6, 0, v8, vcc_lo
	v_and_b32_e32 v8, 1, v3
	ds_bpermute_b32 v41, v30, v40
	v_add_nc_u32_e32 v5, v6, v5
	v_cmp_eq_u32_e32 vcc_lo, 1, v8
	ds_bpermute_b32 v6, v30, v5
	s_waitcnt lgkmcnt(1)
	v_and_b32_e32 v41, 1, v41
	v_cndmask_b32_e64 v8, v41, 1, vcc_lo
	v_cmp_gt_u32_e32 vcc_lo, v31, v4
	v_and_b32_e32 v41, 0xffff, v8
	v_cndmask_b32_e32 v8, v8, v3, vcc_lo
	s_waitcnt lgkmcnt(0)
	v_cndmask_b32_e64 v3, 0, v6, s3
	v_cndmask_b32_e32 v40, v41, v40, vcc_lo
	v_and_b32_e32 v41, 1, v8
	v_cndmask_b32_e64 v3, v3, 0, vcc_lo
	v_cmp_eq_u16_sdwa s3, v8, v16 src0_sel:BYTE_0 src1_sel:DWORD
	ds_bpermute_b32 v6, v32, v40
	v_cmp_eq_u32_e32 vcc_lo, 1, v41
	v_add_nc_u32_e32 v3, v3, v5
	ds_bpermute_b32 v5, v32, v3
	s_waitcnt lgkmcnt(1)
	v_and_b32_e32 v6, 1, v6
	v_cndmask_b32_e64 v6, v6, 1, vcc_lo
	v_cmp_gt_u32_e32 vcc_lo, v33, v4
	s_waitcnt lgkmcnt(0)
	v_cndmask_b32_e64 v5, 0, v5, s3
	s_mov_b32 s3, 0
	v_and_b32_e32 v41, 0xffff, v6
	v_cndmask_b32_e32 v6, v6, v8, vcc_lo
	v_cndmask_b32_e64 v5, v5, 0, vcc_lo
	v_cndmask_b32_e32 v8, v41, v40, vcc_lo
	v_and_b32_e32 v41, 1, v6
	v_add_nc_u32_e32 v3, v5, v3
	ds_bpermute_b32 v40, v34, v8
	v_cmp_eq_u32_e32 vcc_lo, 1, v41
	ds_bpermute_b32 v5, v34, v3
	s_waitcnt lgkmcnt(1)
	v_and_b32_e32 v40, 1, v40
	v_cndmask_b32_e64 v40, v40, 1, vcc_lo
	v_cmp_eq_u16_sdwa vcc_lo, v6, v16 src0_sel:BYTE_0 src1_sel:DWORD
	v_and_b32_e32 v41, 0xffff, v40
	s_waitcnt lgkmcnt(0)
	v_cndmask_b32_e32 v5, 0, v5, vcc_lo
	v_cmp_gt_u32_e32 vcc_lo, v37, v4
	v_cndmask_b32_e64 v5, v5, 0, vcc_lo
	v_cndmask_b32_e32 v8, v41, v8, vcc_lo
	v_cndmask_b32_e32 v6, v40, v6, vcc_lo
	v_add_nc_u32_e32 v3, v5, v3
	ds_bpermute_b32 v5, v38, v8
	v_and_b32_e32 v40, 1, v6
	ds_bpermute_b32 v8, v38, v3
	v_cmp_eq_u32_e32 vcc_lo, 1, v40
	s_waitcnt lgkmcnt(1)
	v_cndmask_b32_e64 v5, v5, 1, vcc_lo
	v_cmp_eq_u16_sdwa vcc_lo, v6, v16 src0_sel:BYTE_0 src1_sel:DWORD
	s_waitcnt lgkmcnt(0)
	v_cndmask_b32_e32 v8, 0, v8, vcc_lo
	v_cmp_gt_u32_e32 vcc_lo, v39, v4
	v_cndmask_b32_e32 v4, v5, v6, vcc_lo
	v_cndmask_b32_e64 v5, v8, 0, vcc_lo
	v_cmp_eq_u16_sdwa vcc_lo, v35, v16 src0_sel:BYTE_0 src1_sel:DWORD
	v_and_b32_e32 v4, 1, v4
	v_add_nc_u32_e32 v3, v5, v3
	v_and_b32_e32 v5, 1, v35
	v_cndmask_b32_e32 v3, 0, v3, vcc_lo
	v_cmp_eq_u32_e32 vcc_lo, 1, v5
	v_add_nc_u32_e32 v3, v3, v36
	v_cndmask_b32_e64 v4, v4, 1, vcc_lo
.LBB18_51:                              ;   in Loop: Header=BB18_52 Depth=1
	s_and_b32 vcc_lo, exec_lo, s3
	s_cbranch_vccnz .LBB18_57
.LBB18_52:                              ; =>This Loop Header: Depth=1
                                        ;     Child Loop BB18_55 Depth 2
	v_cmp_ne_u16_sdwa s3, v7, v28 src0_sel:BYTE_0 src1_sel:DWORD
	v_mov_b32_e32 v35, v4
	v_mov_b32_e32 v36, v3
                                        ; implicit-def: $vgpr4
                                        ; implicit-def: $vgpr3
                                        ; implicit-def: $vgpr7
	s_cmp_lg_u32 s3, exec_lo
	s_mov_b32 s3, -1
	s_cbranch_scc1 .LBB18_51
; %bb.53:                               ;   in Loop: Header=BB18_52 Depth=1
	v_lshlrev_b64 v[3:4], 4, v[15:16]
	v_add_co_u32 v3, vcc_lo, s16, v3
	v_add_co_ci_u32_e64 v4, null, s17, v4, vcc_lo
	;;#ASMSTART
	global_load_dwordx4 v[5:8], v[3:4] off glc dlc	
s_waitcnt vmcnt(0)
	;;#ASMEND
	v_and_b32_e32 v6, 0xff, v6
	v_cmp_eq_u16_sdwa s14, v7, v16 src0_sel:BYTE_0 src1_sel:DWORD
	s_and_saveexec_b32 s3, s14
	s_cbranch_execz .LBB18_50
; %bb.54:                               ;   in Loop: Header=BB18_52 Depth=1
	s_mov_b32 s14, 0
.LBB18_55:                              ;   Parent Loop BB18_52 Depth=1
                                        ; =>  This Inner Loop Header: Depth=2
	;;#ASMSTART
	global_load_dwordx4 v[5:8], v[3:4] off glc dlc	
s_waitcnt vmcnt(0)
	;;#ASMEND
	v_cmp_ne_u16_sdwa s15, v7, v16 src0_sel:BYTE_0 src1_sel:DWORD
	s_or_b32 s14, s15, s14
	s_andn2_b32 exec_lo, exec_lo, s14
	s_cbranch_execnz .LBB18_55
	s_branch .LBB18_49
.LBB18_56:
                                        ; implicit-def: $vgpr7
                                        ; implicit-def: $vgpr5
                                        ; implicit-def: $vgpr6
	s_load_dwordx2 s[6:7], s[4:5], 0x20
	s_cbranch_execnz .LBB18_62
	s_branch .LBB18_79
.LBB18_57:
	s_and_saveexec_b32 s3, s2
	s_cbranch_execz .LBB18_59
; %bb.58:
	v_mov_b32_e32 v4, 0
	v_and_b32_e32 v3, 1, v2
	s_mov_b32 s9, 0
	s_add_i32 s8, s6, 32
	v_and_b32_e32 v5, 1, v35
	v_cmp_eq_u32_sdwa vcc_lo, v2, v4 src0_sel:BYTE_0 src1_sel:DWORD
	s_lshl_b64 s[8:9], s[8:9], 4
	s_add_u32 s8, s16, s8
	s_addc_u32 s9, s17, s9
	v_cndmask_b32_e32 v2, 0, v36, vcc_lo
	v_cmp_eq_u32_e32 vcc_lo, 1, v3
	v_mov_b32_e32 v3, 2
	v_add_nc_u32_e32 v1, v2, v1
	v_cndmask_b32_e64 v2, v5, 1, vcc_lo
	v_mov_b32_e32 v5, s8
	v_mov_b32_e32 v6, s9
	;;#ASMSTART
	global_store_dwordx4 v[5:6], v[1:4] off	
s_waitcnt vmcnt(0)
	;;#ASMEND
.LBB18_59:
	s_or_b32 exec_lo, exec_lo, s3
	v_cmp_eq_u32_e32 vcc_lo, 0, v0
	s_and_b32 exec_lo, exec_lo, vcc_lo
	s_cbranch_execz .LBB18_61
; %bb.60:
	v_mov_b32_e32 v1, 0
	ds_write_b32 v1, v36 offset:56
	ds_write_b8 v1, v35 offset:60
.LBB18_61:
	s_or_b32 exec_lo, exec_lo, s7
	s_waitcnt lgkmcnt(0)
	v_cndmask_b32_e64 v2, v27, v25, s2
	v_and_b32_e32 v4, 1, v10
	v_mov_b32_e32 v1, 0
	v_cndmask_b32_e64 v5, v26, v24, s2
	s_mov_b32 s2, 0
	v_and_b32_e32 v2, 1, v2
	v_cmp_eq_u32_e32 vcc_lo, 1, v4
	s_mov_b32 s3, 1
	s_barrier
	buffer_gl0_inv
	v_cndmask_b32_e64 v2, v2, 1, vcc_lo
	v_cmp_gt_u64_e32 vcc_lo, s[2:3], v[9:10]
	ds_read_b32 v3, v1 offset:56
	v_cndmask_b32_e32 v4, 0, v5, vcc_lo
	v_cmp_eq_u32_e32 vcc_lo, 0, v0
	v_cndmask_b32_e32 v2, v2, v10, vcc_lo
	v_cndmask_b32_e64 v4, v4, 0, vcc_lo
	v_cmp_eq_u16_sdwa vcc_lo, v2, v1 src0_sel:BYTE_0 src1_sel:DWORD
	s_waitcnt lgkmcnt(0)
	v_cndmask_b32_e32 v1, 0, v3, vcc_lo
	v_add3_u32 v7, v4, v9, v1
	v_cndmask_b32_e64 v1, 0, v7, s0
	v_add_nc_u32_e32 v5, v1, v11
	v_cndmask_b32_e64 v1, 0, v5, s1
	v_add_nc_u32_e32 v6, v1, v13
	s_load_dwordx2 s[6:7], s[4:5], 0x20
	s_branch .LBB18_79
.LBB18_62:
	s_cmp_lg_u64 s[22:23], 0
	v_cmp_eq_u32_e32 vcc_lo, 0, v0
	s_cselect_b32 s1, -1, 0
	s_cmp_lg_u64 s[10:11], 0
	v_cmp_ne_u32_e64 s0, 0, v0
	s_cselect_b32 s2, -1, 0
	s_mov_b32 s4, 0
	s_and_b32 s1, s1, s2
	s_and_b32 s1, vcc_lo, s1
	s_and_saveexec_b32 s2, s1
	s_cbranch_execz .LBB18_64
; %bb.63:
	v_mov_b32_e32 v1, 0
	s_mov_b32 s5, 1
	s_clause 0x1
	global_load_dword v2, v1, s[10:11]
	global_load_ubyte v3, v1, s[10:11] offset:4
	v_cmp_gt_u64_e64 s1, s[4:5], v[9:10]
	s_waitcnt vmcnt(1)
	v_cndmask_b32_e64 v4, 0, v2, s1
	v_and_b32_e32 v2, 1, v10
	s_waitcnt vmcnt(0)
	v_and_b32_e32 v3, 1, v3
	v_add_nc_u32_e32 v9, v4, v9
	v_cmp_eq_u64_e64 s1, 0, v[1:2]
	v_cndmask_b32_e64 v10, 1, v3, s1
.LBB18_64:
	s_or_b32 exec_lo, exec_lo, s2
	v_and_b32_e32 v2, 0xff, v23
	v_mov_b32_e32 v1, 0
	s_mov_b32 s5, 1
	v_and_b32_e32 v7, 15, v20
	v_cmp_eq_u64_e64 s1, 0, v[1:2]
	v_cmp_eq_u32_e64 s3, 0, v7
	v_cndmask_b32_e64 v2, 1, v10, s1
	v_cmp_gt_u64_e64 s1, s[4:5], v[11:12]
	v_and_b32_e32 v3, 0xff, v2
	v_and_b32_e32 v6, 1, v2
	v_cndmask_b32_e64 v5, 0, v9, s1
	v_mov_b32_dpp v4, v3 row_shr:1 row_mask:0xf bank_mask:0xf
	v_cmp_eq_u32_e64 s2, 1, v6
	v_add_nc_u32_e32 v5, v5, v11
	v_and_b32_e32 v4, 1, v4
	v_cndmask_b32_e64 v4, v4, 1, s2
	v_cmp_gt_u64_e64 s2, s[4:5], v[13:14]
	v_cmp_eq_u16_e64 s4, 0, v3
	v_cndmask_b32_e64 v8, v4, v3, s3
	v_cndmask_b32_e64 v2, v4, v2, s3
	;; [unrolled: 1-line block ×3, first 2 shown]
	v_mov_b32_dpp v4, v8 row_shr:2 row_mask:0xf bank_mask:0xf
	v_and_b32_e32 v14, 1, v2
	v_add_nc_u32_e32 v6, v6, v13
	v_and_b32_e32 v4, 1, v4
	v_mov_b32_dpp v12, v6 row_shr:1 row_mask:0xf bank_mask:0xf
	v_cndmask_b32_e64 v3, 0, v12, s4
	v_cmp_eq_u32_e64 s4, 1, v14
	v_cndmask_b32_e64 v3, v3, 0, s3
	v_cndmask_b32_e64 v4, v4, 1, s4
	v_cmp_lt_u32_e64 s4, 1, v7
	v_cmp_eq_u16_sdwa s3, v2, v1 src0_sel:BYTE_0 src1_sel:DWORD
	v_add_nc_u32_e32 v3, v3, v6
	v_cndmask_b32_e64 v12, v2, v4, s4
	v_cndmask_b32_e64 v4, v8, v4, s4
	s_and_b32 s3, s4, s3
	v_mov_b32_dpp v2, v3 row_shr:2 row_mask:0xf bank_mask:0xf
	v_and_b32_e32 v14, 1, v12
	v_mov_b32_dpp v8, v4 row_shr:4 row_mask:0xf bank_mask:0xf
	v_cmp_eq_u16_sdwa s4, v12, v1 src0_sel:BYTE_0 src1_sel:DWORD
	v_cndmask_b32_e64 v2, 0, v2, s3
	v_cmp_eq_u32_e64 s3, 1, v14
	v_and_b32_e32 v8, 1, v8
	v_add_nc_u32_e32 v2, v2, v3
	v_cndmask_b32_e64 v8, v8, 1, s3
	v_cmp_lt_u32_e64 s3, 3, v7
	v_cndmask_b32_e64 v3, v12, v8, s3
	v_cndmask_b32_e64 v4, v4, v8, s3
	v_mov_b32_dpp v8, v2 row_shr:4 row_mask:0xf bank_mask:0xf
	s_and_b32 s3, s3, s4
	v_and_b32_e32 v14, 1, v3
	v_mov_b32_dpp v12, v4 row_shr:8 row_mask:0xf bank_mask:0xf
	v_cndmask_b32_e64 v8, 0, v8, s3
	v_cmp_eq_u16_sdwa s4, v3, v1 src0_sel:BYTE_0 src1_sel:DWORD
	v_cmp_eq_u32_e64 s3, 1, v14
	v_and_b32_e32 v12, 1, v12
	v_add_nc_u32_e32 v2, v8, v2
	v_cndmask_b32_e64 v8, v12, 1, s3
	v_cmp_lt_u32_e64 s3, 7, v7
	v_mov_b32_dpp v7, v2 row_shr:8 row_mask:0xf bank_mask:0xf
	v_bfe_i32 v12, v20, 4, 1
	s_and_b32 s4, s3, s4
	v_cndmask_b32_e64 v4, v4, v8, s3
	v_cndmask_b32_e64 v7, 0, v7, s4
	;; [unrolled: 1-line block ×3, first 2 shown]
	s_mov_b32 s4, exec_lo
	v_add_nc_u32_e32 v2, v7, v2
	ds_swizzle_b32 v7, v4 offset:swizzle(BROADCAST,32,15)
	v_and_b32_e32 v14, 1, v3
	v_cmp_eq_u16_sdwa s3, v3, v1 src0_sel:BYTE_0 src1_sel:DWORD
	v_and_b32_e32 v3, 16, v20
	ds_swizzle_b32 v8, v2 offset:swizzle(BROADCAST,32,15)
	s_waitcnt lgkmcnt(0)
	v_and_b32_e32 v7, 1, v7
	v_cndmask_b32_e64 v1, 0, v8, s3
	v_cmp_eq_u32_e64 s3, 1, v14
	v_and_b32_e32 v1, v12, v1
	v_cndmask_b32_e64 v7, v7, 1, s3
	v_cmp_eq_u32_e64 s3, 0, v3
	v_add_nc_u32_e32 v3, v1, v2
	v_cndmask_b32_e64 v4, v7, v4, s3
	v_cmpx_eq_u32_e64 v0, v22
	s_cbranch_execz .LBB18_66
; %bb.65:
	v_lshlrev_b32_e32 v1, 3, v21
	ds_write_b32 v1, v3
	ds_write_b8 v1, v4 offset:4
.LBB18_66:
	s_or_b32 exec_lo, exec_lo, s4
	s_mov_b32 s4, exec_lo
	s_waitcnt lgkmcnt(0)
	s_barrier
	buffer_gl0_inv
	v_cmpx_gt_u32_e32 8, v0
	s_cbranch_execz .LBB18_72
; %bb.67:
	ds_read_b64 v[1:2], v19
	v_and_b32_e32 v7, 7, v20
	s_mov_b32 s5, exec_lo
	s_waitcnt lgkmcnt(0)
	v_and_b32_e32 v8, 0xffffff00, v2
	v_mov_b32_dpp v14, v1 row_shr:1 row_mask:0xf bank_mask:0xf
	v_mov_b32_dpp v15, v2 row_shr:1 row_mask:0xf bank_mask:0xf
	v_mov_b32_e32 v12, v2
	v_cmpx_ne_u32_e32 0, v7
	s_cbranch_execz .LBB18_69
; %bb.68:
	v_mov_b32_e32 v12, 0
	v_and_b32_e32 v16, 1, v2
	v_and_b32_e32 v15, 1, v15
	v_cmp_eq_u16_sdwa s3, v2, v12 src0_sel:BYTE_0 src1_sel:DWORD
	v_cndmask_b32_e64 v2, 0, v14, s3
	v_cmp_eq_u32_e64 s3, 1, v16
	v_add_nc_u32_e32 v1, v2, v1
	v_cndmask_b32_e64 v14, v15, 1, s3
	v_or_b32_sdwa v12, v8, v14 dst_sel:DWORD dst_unused:UNUSED_PAD src0_sel:DWORD src1_sel:WORD_0
	v_mov_b32_e32 v2, v14
.LBB18_69:
	s_or_b32 exec_lo, exec_lo, s5
	v_mov_b32_dpp v14, v1 row_shr:2 row_mask:0xf bank_mask:0xf
	v_mov_b32_dpp v15, v12 row_shr:2 row_mask:0xf bank_mask:0xf
	s_mov_b32 s5, exec_lo
	v_cmpx_lt_u32_e32 1, v7
	s_cbranch_execz .LBB18_71
; %bb.70:
	v_mov_b32_e32 v12, 0
	v_and_b32_e32 v16, 1, v2
	v_and_b32_e32 v15, 1, v15
	v_cmp_eq_u16_sdwa s3, v2, v12 src0_sel:BYTE_0 src1_sel:DWORD
	v_cndmask_b32_e64 v2, 0, v14, s3
	v_cmp_eq_u32_e64 s3, 1, v16
	v_add_nc_u32_e32 v1, v2, v1
	v_cndmask_b32_e64 v14, v15, 1, s3
	v_or_b32_sdwa v12, v8, v14 dst_sel:DWORD dst_unused:UNUSED_PAD src0_sel:DWORD src1_sel:WORD_0
	v_mov_b32_e32 v2, v14
.LBB18_71:
	s_or_b32 exec_lo, exec_lo, s5
	v_mov_b32_dpp v8, v12 row_shr:4 row_mask:0xf bank_mask:0xf
	v_and_b32_e32 v14, 1, v2
	v_mov_b32_e32 v12, 0
	v_and_b32_e32 v8, 1, v8
	v_cmp_eq_u32_e64 s3, 1, v14
	v_cmp_eq_u16_sdwa s5, v2, v12 src0_sel:BYTE_0 src1_sel:DWORD
	v_cndmask_b32_e64 v8, v8, 1, s3
	v_cmp_lt_u32_e64 s3, 3, v7
	v_mov_b32_dpp v7, v1 row_shr:4 row_mask:0xf bank_mask:0xf
	v_cndmask_b32_e64 v2, v2, v8, s3
	s_and_b32 s3, s3, s5
	v_cndmask_b32_e64 v7, 0, v7, s3
	v_add_nc_u32_e32 v1, v7, v1
	ds_write_b32 v19, v1
	ds_write_b8 v19, v2 offset:4
.LBB18_72:
	s_or_b32 exec_lo, exec_lo, s4
	v_mov_b32_e32 v1, 0
	s_mov_b32 s4, exec_lo
	s_waitcnt lgkmcnt(0)
	s_barrier
	buffer_gl0_inv
	v_cmpx_lt_u32_e32 31, v0
	s_cbranch_execz .LBB18_74
; %bb.73:
	v_lshl_add_u32 v1, v21, 3, -8
	v_cmp_eq_u32_e64 s3, 0, v4
	ds_read_b32 v1, v1
	s_waitcnt lgkmcnt(0)
	v_cndmask_b32_e64 v2, 0, v1, s3
	v_add_nc_u32_e32 v3, v2, v3
.LBB18_74:
	s_or_b32 exec_lo, exec_lo, s4
	v_add_nc_u32_e32 v2, -1, v20
	s_mov_b32 s4, 0
	v_cmp_gt_i32_e64 s3, 0, v2
	v_cndmask_b32_e64 v2, v2, v20, s3
	v_lshlrev_b32_e32 v2, 2, v2
	ds_bpermute_b32 v2, v2, v3
	s_and_saveexec_b32 s3, s0
	s_cbranch_execz .LBB18_76
; %bb.75:
	v_cmp_eq_u32_e64 s0, 0, v20
	s_mov_b32 s5, 1
	;;#ASMSTART
	;;#ASMEND
	s_waitcnt lgkmcnt(0)
	v_cndmask_b32_e64 v1, v2, v1, s0
	v_cmp_gt_u64_e64 s0, s[4:5], v[9:10]
	v_cndmask_b32_e64 v1, 0, v1, s0
	v_add_nc_u32_e32 v9, v1, v9
	v_cndmask_b32_e64 v1, 0, v9, s1
	v_add_nc_u32_e32 v5, v1, v11
	;; [unrolled: 2-line block ×3, first 2 shown]
.LBB18_76:
	s_or_b32 exec_lo, exec_lo, s3
	s_and_saveexec_b32 s0, vcc_lo
	s_cbranch_execz .LBB18_78
; %bb.77:
	v_mov_b32_e32 v4, 0
	s_add_u32 s2, s16, 0x200
	s_addc_u32 s3, s17, 0
	v_mov_b32_e32 v3, 2
	v_mov_b32_e32 v8, s3
	ds_read_b32 v1, v4 offset:56
	s_waitcnt lgkmcnt(1)
	ds_read_u8 v2, v4 offset:60
	v_mov_b32_e32 v7, s2
	s_waitcnt lgkmcnt(0)
	;;#ASMSTART
	global_store_dwordx4 v[7:8], v[1:4] off	
s_waitcnt vmcnt(0)
	;;#ASMEND
.LBB18_78:
	s_or_b32 exec_lo, exec_lo, s0
	v_mov_b32_e32 v7, v9
.LBB18_79:
	s_waitcnt lgkmcnt(0)
	s_add_u32 s0, s6, s20
	v_mov_b32_e32 v3, 0
	s_addc_u32 s1, s7, s21
	s_add_u32 s0, s0, s12
	s_addc_u32 s1, s1, s13
	s_and_b32 vcc_lo, exec_lo, s19
	s_cbranch_vccz .LBB18_91
; %bb.80:
	v_mul_u32_u24_e32 v1, 3, v0
	v_mov_b32_e32 v4, 0
	v_mov_b32_e32 v2, 0
	s_add_i32 s28, s28, s18
	s_mov_b32 s2, exec_lo
	v_cmpx_gt_u32_e64 s28, v1
	s_cbranch_execz .LBB18_86
; %bb.81:
	v_add_nc_u32_e32 v3, 1, v1
	v_mov_b32_e32 v2, 0
	v_mov_b32_e32 v4, 0
	s_mov_b32 s3, exec_lo
	v_cmpx_gt_u32_e64 s28, v3
	s_cbranch_execz .LBB18_85
; %bb.82:
	v_add_nc_u32_e32 v2, 2, v1
	v_cmp_gt_u32_e32 vcc_lo, s28, v2
	v_mov_b32_e32 v2, 0
	s_and_saveexec_b32 s4, vcc_lo
; %bb.83:
	v_mov_b32_e32 v2, v6
; %bb.84:
	s_or_b32 exec_lo, exec_lo, s4
	v_mov_b32_e32 v4, v5
.LBB18_85:
	s_or_b32 exec_lo, exec_lo, s3
	v_mov_b32_e32 v3, v7
.LBB18_86:
	s_or_b32 exec_lo, exec_lo, s2
	v_lshlrev_b32_e32 v8, 2, v1
	s_barrier
	buffer_gl0_inv
	v_sub_nc_u32_e32 v1, v8, v19
	ds_write2_b32 v8, v3, v4 offset1:1
	ds_write_b32 v8, v2 offset:8
	s_waitcnt lgkmcnt(0)
	s_barrier
	buffer_gl0_inv
	ds_read2st64_b32 v[1:2], v1 offset0:4 offset1:8
	v_add_co_u32 v3, s2, s0, v18
	v_add_co_ci_u32_e64 v4, null, s1, 0, s2
	s_mov_b32 s2, exec_lo
	v_cmpx_gt_u32_e64 s28, v0
	s_cbranch_execz .LBB18_88
; %bb.87:
	v_sub_nc_u32_e32 v9, 0, v19
	v_add_nc_u32_e32 v8, v8, v9
	ds_read_b32 v8, v8
	s_waitcnt lgkmcnt(0)
	global_store_dword v[3:4], v8, off
.LBB18_88:
	s_or_b32 exec_lo, exec_lo, s2
	v_or_b32_e32 v8, 0x100, v0
	s_mov_b32 s2, exec_lo
	v_cmpx_gt_u32_e64 s28, v8
	s_cbranch_execz .LBB18_90
; %bb.89:
	s_waitcnt lgkmcnt(0)
	global_store_dword v[3:4], v1, off offset:1024
.LBB18_90:
	s_or_b32 exec_lo, exec_lo, s2
	s_waitcnt lgkmcnt(0)
	v_or_b32_e32 v1, 0x200, v0
	v_cmp_gt_u32_e64 s2, s28, v1
	s_branch .LBB18_93
.LBB18_91:
	s_mov_b32 s2, 0
                                        ; implicit-def: $vgpr2
	s_cbranch_execz .LBB18_93
; %bb.92:
	v_mul_u32_u24_e32 v1, 12, v0
	s_waitcnt_vscnt null, 0x0
	s_barrier
	buffer_gl0_inv
	s_or_b32 s2, s2, exec_lo
	v_sub_nc_u32_e32 v2, v1, v19
	ds_write2_b32 v1, v7, v5 offset1:1
	ds_write_b32 v1, v6 offset:8
	s_waitcnt lgkmcnt(0)
	s_barrier
	buffer_gl0_inv
	ds_read2st64_b32 v[3:4], v2 offset1:4
	ds_read_b32 v2, v2 offset:2048
	s_waitcnt lgkmcnt(1)
	global_store_dword v18, v3, s[0:1]
	global_store_dword v18, v4, s[0:1] offset:1024
.LBB18_93:
	s_and_saveexec_b32 s3, s2
	s_cbranch_execnz .LBB18_95
; %bb.94:
	s_endpgm
.LBB18_95:
	v_lshlrev_b32_e32 v0, 2, v0
	v_add_co_u32 v0, s0, s0, v0
	v_add_co_ci_u32_e64 v1, null, s1, 0, s0
	v_add_co_u32 v0, vcc_lo, 0x800, v0
	v_add_co_ci_u32_e64 v1, null, 0, v1, vcc_lo
	s_waitcnt lgkmcnt(0)
	global_store_dword v[0:1], v2, off
	s_endpgm
	.section	.rodata,"a",@progbits
	.p2align	6, 0x0
	.amdhsa_kernel _ZN7rocprim17ROCPRIM_400000_NS6detail17trampoline_kernelINS0_14default_configENS1_27scan_by_key_config_selectorIiiEEZZNS1_16scan_by_key_implILNS1_25lookback_scan_determinismE0ELb0ES3_PKiN6hipcub16HIPCUB_304000_NS21ConstantInputIteratorIilEEPiiNSB_3SumENSB_8EqualityEiEE10hipError_tPvRmT2_T3_T4_T5_mT6_T7_P12ihipStream_tbENKUlT_T0_E_clISt17integral_constantIbLb0EESX_EEDaSS_ST_EUlSS_E_NS1_11comp_targetILNS1_3genE8ELNS1_11target_archE1030ELNS1_3gpuE2ELNS1_3repE0EEENS1_30default_config_static_selectorELNS0_4arch9wavefront6targetE0EEEvT1_
		.amdhsa_group_segment_fixed_size 5120
		.amdhsa_private_segment_fixed_size 0
		.amdhsa_kernarg_size 120
		.amdhsa_user_sgpr_count 6
		.amdhsa_user_sgpr_private_segment_buffer 1
		.amdhsa_user_sgpr_dispatch_ptr 0
		.amdhsa_user_sgpr_queue_ptr 0
		.amdhsa_user_sgpr_kernarg_segment_ptr 1
		.amdhsa_user_sgpr_dispatch_id 0
		.amdhsa_user_sgpr_flat_scratch_init 0
		.amdhsa_user_sgpr_private_segment_size 0
		.amdhsa_wavefront_size32 1
		.amdhsa_uses_dynamic_stack 0
		.amdhsa_system_sgpr_private_segment_wavefront_offset 0
		.amdhsa_system_sgpr_workgroup_id_x 1
		.amdhsa_system_sgpr_workgroup_id_y 0
		.amdhsa_system_sgpr_workgroup_id_z 0
		.amdhsa_system_sgpr_workgroup_info 0
		.amdhsa_system_vgpr_workitem_id 0
		.amdhsa_next_free_vgpr 42
		.amdhsa_next_free_sgpr 31
		.amdhsa_reserve_vcc 1
		.amdhsa_reserve_flat_scratch 0
		.amdhsa_float_round_mode_32 0
		.amdhsa_float_round_mode_16_64 0
		.amdhsa_float_denorm_mode_32 3
		.amdhsa_float_denorm_mode_16_64 3
		.amdhsa_dx10_clamp 1
		.amdhsa_ieee_mode 1
		.amdhsa_fp16_overflow 0
		.amdhsa_workgroup_processor_mode 1
		.amdhsa_memory_ordered 1
		.amdhsa_forward_progress 1
		.amdhsa_shared_vgpr_count 0
		.amdhsa_exception_fp_ieee_invalid_op 0
		.amdhsa_exception_fp_denorm_src 0
		.amdhsa_exception_fp_ieee_div_zero 0
		.amdhsa_exception_fp_ieee_overflow 0
		.amdhsa_exception_fp_ieee_underflow 0
		.amdhsa_exception_fp_ieee_inexact 0
		.amdhsa_exception_int_div_zero 0
	.end_amdhsa_kernel
	.section	.text._ZN7rocprim17ROCPRIM_400000_NS6detail17trampoline_kernelINS0_14default_configENS1_27scan_by_key_config_selectorIiiEEZZNS1_16scan_by_key_implILNS1_25lookback_scan_determinismE0ELb0ES3_PKiN6hipcub16HIPCUB_304000_NS21ConstantInputIteratorIilEEPiiNSB_3SumENSB_8EqualityEiEE10hipError_tPvRmT2_T3_T4_T5_mT6_T7_P12ihipStream_tbENKUlT_T0_E_clISt17integral_constantIbLb0EESX_EEDaSS_ST_EUlSS_E_NS1_11comp_targetILNS1_3genE8ELNS1_11target_archE1030ELNS1_3gpuE2ELNS1_3repE0EEENS1_30default_config_static_selectorELNS0_4arch9wavefront6targetE0EEEvT1_,"axG",@progbits,_ZN7rocprim17ROCPRIM_400000_NS6detail17trampoline_kernelINS0_14default_configENS1_27scan_by_key_config_selectorIiiEEZZNS1_16scan_by_key_implILNS1_25lookback_scan_determinismE0ELb0ES3_PKiN6hipcub16HIPCUB_304000_NS21ConstantInputIteratorIilEEPiiNSB_3SumENSB_8EqualityEiEE10hipError_tPvRmT2_T3_T4_T5_mT6_T7_P12ihipStream_tbENKUlT_T0_E_clISt17integral_constantIbLb0EESX_EEDaSS_ST_EUlSS_E_NS1_11comp_targetILNS1_3genE8ELNS1_11target_archE1030ELNS1_3gpuE2ELNS1_3repE0EEENS1_30default_config_static_selectorELNS0_4arch9wavefront6targetE0EEEvT1_,comdat
.Lfunc_end18:
	.size	_ZN7rocprim17ROCPRIM_400000_NS6detail17trampoline_kernelINS0_14default_configENS1_27scan_by_key_config_selectorIiiEEZZNS1_16scan_by_key_implILNS1_25lookback_scan_determinismE0ELb0ES3_PKiN6hipcub16HIPCUB_304000_NS21ConstantInputIteratorIilEEPiiNSB_3SumENSB_8EqualityEiEE10hipError_tPvRmT2_T3_T4_T5_mT6_T7_P12ihipStream_tbENKUlT_T0_E_clISt17integral_constantIbLb0EESX_EEDaSS_ST_EUlSS_E_NS1_11comp_targetILNS1_3genE8ELNS1_11target_archE1030ELNS1_3gpuE2ELNS1_3repE0EEENS1_30default_config_static_selectorELNS0_4arch9wavefront6targetE0EEEvT1_, .Lfunc_end18-_ZN7rocprim17ROCPRIM_400000_NS6detail17trampoline_kernelINS0_14default_configENS1_27scan_by_key_config_selectorIiiEEZZNS1_16scan_by_key_implILNS1_25lookback_scan_determinismE0ELb0ES3_PKiN6hipcub16HIPCUB_304000_NS21ConstantInputIteratorIilEEPiiNSB_3SumENSB_8EqualityEiEE10hipError_tPvRmT2_T3_T4_T5_mT6_T7_P12ihipStream_tbENKUlT_T0_E_clISt17integral_constantIbLb0EESX_EEDaSS_ST_EUlSS_E_NS1_11comp_targetILNS1_3genE8ELNS1_11target_archE1030ELNS1_3gpuE2ELNS1_3repE0EEENS1_30default_config_static_selectorELNS0_4arch9wavefront6targetE0EEEvT1_
                                        ; -- End function
	.set _ZN7rocprim17ROCPRIM_400000_NS6detail17trampoline_kernelINS0_14default_configENS1_27scan_by_key_config_selectorIiiEEZZNS1_16scan_by_key_implILNS1_25lookback_scan_determinismE0ELb0ES3_PKiN6hipcub16HIPCUB_304000_NS21ConstantInputIteratorIilEEPiiNSB_3SumENSB_8EqualityEiEE10hipError_tPvRmT2_T3_T4_T5_mT6_T7_P12ihipStream_tbENKUlT_T0_E_clISt17integral_constantIbLb0EESX_EEDaSS_ST_EUlSS_E_NS1_11comp_targetILNS1_3genE8ELNS1_11target_archE1030ELNS1_3gpuE2ELNS1_3repE0EEENS1_30default_config_static_selectorELNS0_4arch9wavefront6targetE0EEEvT1_.num_vgpr, 42
	.set _ZN7rocprim17ROCPRIM_400000_NS6detail17trampoline_kernelINS0_14default_configENS1_27scan_by_key_config_selectorIiiEEZZNS1_16scan_by_key_implILNS1_25lookback_scan_determinismE0ELb0ES3_PKiN6hipcub16HIPCUB_304000_NS21ConstantInputIteratorIilEEPiiNSB_3SumENSB_8EqualityEiEE10hipError_tPvRmT2_T3_T4_T5_mT6_T7_P12ihipStream_tbENKUlT_T0_E_clISt17integral_constantIbLb0EESX_EEDaSS_ST_EUlSS_E_NS1_11comp_targetILNS1_3genE8ELNS1_11target_archE1030ELNS1_3gpuE2ELNS1_3repE0EEENS1_30default_config_static_selectorELNS0_4arch9wavefront6targetE0EEEvT1_.num_agpr, 0
	.set _ZN7rocprim17ROCPRIM_400000_NS6detail17trampoline_kernelINS0_14default_configENS1_27scan_by_key_config_selectorIiiEEZZNS1_16scan_by_key_implILNS1_25lookback_scan_determinismE0ELb0ES3_PKiN6hipcub16HIPCUB_304000_NS21ConstantInputIteratorIilEEPiiNSB_3SumENSB_8EqualityEiEE10hipError_tPvRmT2_T3_T4_T5_mT6_T7_P12ihipStream_tbENKUlT_T0_E_clISt17integral_constantIbLb0EESX_EEDaSS_ST_EUlSS_E_NS1_11comp_targetILNS1_3genE8ELNS1_11target_archE1030ELNS1_3gpuE2ELNS1_3repE0EEENS1_30default_config_static_selectorELNS0_4arch9wavefront6targetE0EEEvT1_.numbered_sgpr, 31
	.set _ZN7rocprim17ROCPRIM_400000_NS6detail17trampoline_kernelINS0_14default_configENS1_27scan_by_key_config_selectorIiiEEZZNS1_16scan_by_key_implILNS1_25lookback_scan_determinismE0ELb0ES3_PKiN6hipcub16HIPCUB_304000_NS21ConstantInputIteratorIilEEPiiNSB_3SumENSB_8EqualityEiEE10hipError_tPvRmT2_T3_T4_T5_mT6_T7_P12ihipStream_tbENKUlT_T0_E_clISt17integral_constantIbLb0EESX_EEDaSS_ST_EUlSS_E_NS1_11comp_targetILNS1_3genE8ELNS1_11target_archE1030ELNS1_3gpuE2ELNS1_3repE0EEENS1_30default_config_static_selectorELNS0_4arch9wavefront6targetE0EEEvT1_.num_named_barrier, 0
	.set _ZN7rocprim17ROCPRIM_400000_NS6detail17trampoline_kernelINS0_14default_configENS1_27scan_by_key_config_selectorIiiEEZZNS1_16scan_by_key_implILNS1_25lookback_scan_determinismE0ELb0ES3_PKiN6hipcub16HIPCUB_304000_NS21ConstantInputIteratorIilEEPiiNSB_3SumENSB_8EqualityEiEE10hipError_tPvRmT2_T3_T4_T5_mT6_T7_P12ihipStream_tbENKUlT_T0_E_clISt17integral_constantIbLb0EESX_EEDaSS_ST_EUlSS_E_NS1_11comp_targetILNS1_3genE8ELNS1_11target_archE1030ELNS1_3gpuE2ELNS1_3repE0EEENS1_30default_config_static_selectorELNS0_4arch9wavefront6targetE0EEEvT1_.private_seg_size, 0
	.set _ZN7rocprim17ROCPRIM_400000_NS6detail17trampoline_kernelINS0_14default_configENS1_27scan_by_key_config_selectorIiiEEZZNS1_16scan_by_key_implILNS1_25lookback_scan_determinismE0ELb0ES3_PKiN6hipcub16HIPCUB_304000_NS21ConstantInputIteratorIilEEPiiNSB_3SumENSB_8EqualityEiEE10hipError_tPvRmT2_T3_T4_T5_mT6_T7_P12ihipStream_tbENKUlT_T0_E_clISt17integral_constantIbLb0EESX_EEDaSS_ST_EUlSS_E_NS1_11comp_targetILNS1_3genE8ELNS1_11target_archE1030ELNS1_3gpuE2ELNS1_3repE0EEENS1_30default_config_static_selectorELNS0_4arch9wavefront6targetE0EEEvT1_.uses_vcc, 1
	.set _ZN7rocprim17ROCPRIM_400000_NS6detail17trampoline_kernelINS0_14default_configENS1_27scan_by_key_config_selectorIiiEEZZNS1_16scan_by_key_implILNS1_25lookback_scan_determinismE0ELb0ES3_PKiN6hipcub16HIPCUB_304000_NS21ConstantInputIteratorIilEEPiiNSB_3SumENSB_8EqualityEiEE10hipError_tPvRmT2_T3_T4_T5_mT6_T7_P12ihipStream_tbENKUlT_T0_E_clISt17integral_constantIbLb0EESX_EEDaSS_ST_EUlSS_E_NS1_11comp_targetILNS1_3genE8ELNS1_11target_archE1030ELNS1_3gpuE2ELNS1_3repE0EEENS1_30default_config_static_selectorELNS0_4arch9wavefront6targetE0EEEvT1_.uses_flat_scratch, 0
	.set _ZN7rocprim17ROCPRIM_400000_NS6detail17trampoline_kernelINS0_14default_configENS1_27scan_by_key_config_selectorIiiEEZZNS1_16scan_by_key_implILNS1_25lookback_scan_determinismE0ELb0ES3_PKiN6hipcub16HIPCUB_304000_NS21ConstantInputIteratorIilEEPiiNSB_3SumENSB_8EqualityEiEE10hipError_tPvRmT2_T3_T4_T5_mT6_T7_P12ihipStream_tbENKUlT_T0_E_clISt17integral_constantIbLb0EESX_EEDaSS_ST_EUlSS_E_NS1_11comp_targetILNS1_3genE8ELNS1_11target_archE1030ELNS1_3gpuE2ELNS1_3repE0EEENS1_30default_config_static_selectorELNS0_4arch9wavefront6targetE0EEEvT1_.has_dyn_sized_stack, 0
	.set _ZN7rocprim17ROCPRIM_400000_NS6detail17trampoline_kernelINS0_14default_configENS1_27scan_by_key_config_selectorIiiEEZZNS1_16scan_by_key_implILNS1_25lookback_scan_determinismE0ELb0ES3_PKiN6hipcub16HIPCUB_304000_NS21ConstantInputIteratorIilEEPiiNSB_3SumENSB_8EqualityEiEE10hipError_tPvRmT2_T3_T4_T5_mT6_T7_P12ihipStream_tbENKUlT_T0_E_clISt17integral_constantIbLb0EESX_EEDaSS_ST_EUlSS_E_NS1_11comp_targetILNS1_3genE8ELNS1_11target_archE1030ELNS1_3gpuE2ELNS1_3repE0EEENS1_30default_config_static_selectorELNS0_4arch9wavefront6targetE0EEEvT1_.has_recursion, 0
	.set _ZN7rocprim17ROCPRIM_400000_NS6detail17trampoline_kernelINS0_14default_configENS1_27scan_by_key_config_selectorIiiEEZZNS1_16scan_by_key_implILNS1_25lookback_scan_determinismE0ELb0ES3_PKiN6hipcub16HIPCUB_304000_NS21ConstantInputIteratorIilEEPiiNSB_3SumENSB_8EqualityEiEE10hipError_tPvRmT2_T3_T4_T5_mT6_T7_P12ihipStream_tbENKUlT_T0_E_clISt17integral_constantIbLb0EESX_EEDaSS_ST_EUlSS_E_NS1_11comp_targetILNS1_3genE8ELNS1_11target_archE1030ELNS1_3gpuE2ELNS1_3repE0EEENS1_30default_config_static_selectorELNS0_4arch9wavefront6targetE0EEEvT1_.has_indirect_call, 0
	.section	.AMDGPU.csdata,"",@progbits
; Kernel info:
; codeLenInByte = 5932
; TotalNumSgprs: 33
; NumVgprs: 42
; ScratchSize: 0
; MemoryBound: 0
; FloatMode: 240
; IeeeMode: 1
; LDSByteSize: 5120 bytes/workgroup (compile time only)
; SGPRBlocks: 0
; VGPRBlocks: 5
; NumSGPRsForWavesPerEU: 33
; NumVGPRsForWavesPerEU: 42
; Occupancy: 16
; WaveLimiterHint : 1
; COMPUTE_PGM_RSRC2:SCRATCH_EN: 0
; COMPUTE_PGM_RSRC2:USER_SGPR: 6
; COMPUTE_PGM_RSRC2:TRAP_HANDLER: 0
; COMPUTE_PGM_RSRC2:TGID_X_EN: 1
; COMPUTE_PGM_RSRC2:TGID_Y_EN: 0
; COMPUTE_PGM_RSRC2:TGID_Z_EN: 0
; COMPUTE_PGM_RSRC2:TIDIG_COMP_CNT: 0
	.section	.text._ZN7rocprim17ROCPRIM_400000_NS6detail30init_device_scan_by_key_kernelINS1_19lookback_scan_stateINS0_5tupleIJibEEELb1ELb1EEEPKijNS1_16block_id_wrapperIjLb1EEEEEvT_jjPNSB_10value_typeET0_PNSt15iterator_traitsISE_E10value_typeEmT1_T2_,"axG",@progbits,_ZN7rocprim17ROCPRIM_400000_NS6detail30init_device_scan_by_key_kernelINS1_19lookback_scan_stateINS0_5tupleIJibEEELb1ELb1EEEPKijNS1_16block_id_wrapperIjLb1EEEEEvT_jjPNSB_10value_typeET0_PNSt15iterator_traitsISE_E10value_typeEmT1_T2_,comdat
	.protected	_ZN7rocprim17ROCPRIM_400000_NS6detail30init_device_scan_by_key_kernelINS1_19lookback_scan_stateINS0_5tupleIJibEEELb1ELb1EEEPKijNS1_16block_id_wrapperIjLb1EEEEEvT_jjPNSB_10value_typeET0_PNSt15iterator_traitsISE_E10value_typeEmT1_T2_ ; -- Begin function _ZN7rocprim17ROCPRIM_400000_NS6detail30init_device_scan_by_key_kernelINS1_19lookback_scan_stateINS0_5tupleIJibEEELb1ELb1EEEPKijNS1_16block_id_wrapperIjLb1EEEEEvT_jjPNSB_10value_typeET0_PNSt15iterator_traitsISE_E10value_typeEmT1_T2_
	.globl	_ZN7rocprim17ROCPRIM_400000_NS6detail30init_device_scan_by_key_kernelINS1_19lookback_scan_stateINS0_5tupleIJibEEELb1ELb1EEEPKijNS1_16block_id_wrapperIjLb1EEEEEvT_jjPNSB_10value_typeET0_PNSt15iterator_traitsISE_E10value_typeEmT1_T2_
	.p2align	8
	.type	_ZN7rocprim17ROCPRIM_400000_NS6detail30init_device_scan_by_key_kernelINS1_19lookback_scan_stateINS0_5tupleIJibEEELb1ELb1EEEPKijNS1_16block_id_wrapperIjLb1EEEEEvT_jjPNSB_10value_typeET0_PNSt15iterator_traitsISE_E10value_typeEmT1_T2_,@function
_ZN7rocprim17ROCPRIM_400000_NS6detail30init_device_scan_by_key_kernelINS1_19lookback_scan_stateINS0_5tupleIJibEEELb1ELb1EEEPKijNS1_16block_id_wrapperIjLb1EEEEEvT_jjPNSB_10value_typeET0_PNSt15iterator_traitsISE_E10value_typeEmT1_T2_: ; @_ZN7rocprim17ROCPRIM_400000_NS6detail30init_device_scan_by_key_kernelINS1_19lookback_scan_stateINS0_5tupleIJibEEELb1ELb1EEEPKijNS1_16block_id_wrapperIjLb1EEEEEvT_jjPNSB_10value_typeET0_PNSt15iterator_traitsISE_E10value_typeEmT1_T2_
; %bb.0:
	s_clause 0x2
	s_load_dword s0, s[4:5], 0x4c
	s_load_dwordx8 s[8:15], s[4:5], 0x0
	s_load_dword s7, s[4:5], 0x40
	s_waitcnt lgkmcnt(0)
	s_and_b32 s16, s0, 0xffff
	s_cmp_eq_u64 s[12:13], 0
	v_mad_u64_u32 v[4:5], null, s6, s16, v[0:1]
	s_cbranch_scc1 .LBB19_10
; %bb.1:
	s_cmp_lt_u32 s11, s10
	s_mov_b32 s1, 0
	s_cselect_b32 s0, s11, 0
	s_mov_b32 s2, exec_lo
	v_cmpx_eq_u32_e64 s0, v4
	s_cbranch_execz .LBB19_9
; %bb.2:
	s_add_i32 s0, s11, 32
	v_mov_b32_e32 v6, 0
	s_lshl_b64 s[0:1], s[0:1], 4
	s_mov_b32 s3, exec_lo
	s_add_u32 s0, s8, s0
	s_addc_u32 s1, s9, s1
	v_mov_b32_e32 v0, s0
	v_mov_b32_e32 v1, s1
	;;#ASMSTART
	global_load_dwordx4 v[0:3], v[0:1] off glc dlc	
s_waitcnt vmcnt(0)
	;;#ASMEND
	v_and_b32_e32 v5, 0xff, v2
	v_cmpx_eq_u64_e32 0, v[5:6]
	s_cbranch_execz .LBB19_8
; %bb.3:
	v_mov_b32_e32 v8, s1
	v_mov_b32_e32 v7, s0
	s_mov_b32 s1, 1
	s_mov_b32 s0, 0
	.p2align	6
.LBB19_4:                               ; =>This Loop Header: Depth=1
                                        ;     Child Loop BB19_5 Depth 2
	s_mov_b32 s6, s1
.LBB19_5:                               ;   Parent Loop BB19_4 Depth=1
                                        ; =>  This Inner Loop Header: Depth=2
	s_add_i32 s6, s6, -1
	s_sleep 1
	s_cmp_eq_u32 s6, 0
	s_cbranch_scc0 .LBB19_5
; %bb.6:                                ;   in Loop: Header=BB19_4 Depth=1
	;;#ASMSTART
	global_load_dwordx4 v[0:3], v[7:8] off glc dlc	
s_waitcnt vmcnt(0)
	;;#ASMEND
	v_and_b32_e32 v5, 0xff, v2
	s_cmp_lt_u32 s1, 32
	s_cselect_b32 s6, -1, 0
	v_cmp_ne_u64_e32 vcc_lo, 0, v[5:6]
	s_cmp_lg_u32 s6, 0
	s_addc_u32 s1, s1, 0
	s_or_b32 s0, vcc_lo, s0
	s_andn2_b32 exec_lo, exec_lo, s0
	s_cbranch_execnz .LBB19_4
; %bb.7:
	s_or_b32 exec_lo, exec_lo, s0
.LBB19_8:
	s_or_b32 exec_lo, exec_lo, s3
	v_mov_b32_e32 v2, 0
	global_store_dword v2, v0, s[12:13]
	global_store_byte v2, v1, s[12:13] offset:4
.LBB19_9:
	s_or_b32 exec_lo, exec_lo, s2
.LBB19_10:
	s_mov_b32 s0, exec_lo
	v_cmpx_eq_u32_e32 0, v4
	s_cbranch_execz .LBB19_12
; %bb.11:
	s_load_dwordx2 s[2:3], s[4:5], 0x38
	v_mov_b32_e32 v0, 0
	s_waitcnt lgkmcnt(0)
	global_store_dword v0, v0, s[2:3]
.LBB19_12:
	s_or_b32 exec_lo, exec_lo, s0
	s_mov_b32 s0, exec_lo
	v_cmpx_gt_u32_e64 s10, v4
	s_cbranch_execz .LBB19_14
; %bb.13:
	v_add_nc_u32_e32 v0, 32, v4
	v_mov_b32_e32 v1, 0
	v_lshlrev_b64 v[5:6], 4, v[0:1]
	v_mov_b32_e32 v0, v1
	v_mov_b32_e32 v2, v1
	;; [unrolled: 1-line block ×3, first 2 shown]
	v_add_co_u32 v5, vcc_lo, s8, v5
	v_add_co_ci_u32_e64 v6, null, s9, v6, vcc_lo
	global_store_dwordx4 v[5:6], v[0:3], off
.LBB19_14:
	s_or_b32 exec_lo, exec_lo, s0
	v_mov_b32_e32 v5, 0
	s_mov_b32 s0, exec_lo
	v_cmpx_gt_u32_e32 32, v4
	s_cbranch_execz .LBB19_16
; %bb.15:
	v_lshlrev_b64 v[6:7], 4, v[4:5]
	v_mov_b32_e32 v2, 0xff
	v_mov_b32_e32 v0, v5
	;; [unrolled: 1-line block ×4, first 2 shown]
	v_add_co_u32 v6, vcc_lo, s8, v6
	v_add_co_ci_u32_e64 v7, null, s9, v7, vcc_lo
	global_store_dwordx4 v[6:7], v[0:3], off
.LBB19_16:
	s_or_b32 exec_lo, exec_lo, s0
	s_load_dwordx2 s[2:3], s[4:5], 0x28
	s_mov_b32 s0, exec_lo
	s_waitcnt lgkmcnt(0)
	v_cmpx_gt_u64_e64 s[2:3], v[4:5]
	s_cbranch_execz .LBB19_19
; %bb.17:
	s_clause 0x1
	s_load_dword s6, s[4:5], 0x30
	s_load_dwordx2 s[8:9], s[4:5], 0x20
	s_mov_b32 s1, 0
	v_lshlrev_b64 v[2:3], 2, v[4:5]
	s_mul_i32 s4, s7, s16
	s_waitcnt lgkmcnt(0)
	v_mad_u64_u32 v[0:1], null, s6, v4, 0
	s_add_i32 s0, s6, -1
	s_mul_hi_u32 s7, s6, s4
	s_lshl_b64 s[10:11], s[0:1], 2
	s_mul_i32 s6, s6, s4
	s_add_u32 s0, s14, s10
	s_addc_u32 s5, s15, s11
	v_lshlrev_b64 v[0:1], 2, v[0:1]
	s_lshl_b64 s[6:7], s[6:7], 2
	v_add_co_u32 v0, vcc_lo, s0, v0
	v_add_co_ci_u32_e64 v1, null, s5, v1, vcc_lo
	v_add_co_u32 v2, vcc_lo, s8, v2
	v_add_co_ci_u32_e64 v3, null, s9, v3, vcc_lo
	s_mov_b32 s5, s1
	s_lshl_b64 s[8:9], s[4:5], 2
	.p2align	6
.LBB19_18:                              ; =>This Inner Loop Header: Depth=1
	global_load_dword v6, v[0:1], off
	v_add_co_u32 v4, vcc_lo, v4, s4
	v_add_co_ci_u32_e64 v5, null, 0, v5, vcc_lo
	v_add_co_u32 v0, vcc_lo, v0, s6
	v_add_co_ci_u32_e64 v1, null, s7, v1, vcc_lo
	v_cmp_le_u64_e32 vcc_lo, s[2:3], v[4:5]
	s_or_b32 s1, vcc_lo, s1
	s_waitcnt vmcnt(0)
	global_store_dword v[2:3], v6, off
	v_add_co_u32 v2, s0, v2, s8
	v_add_co_ci_u32_e64 v3, null, s9, v3, s0
	s_andn2_b32 exec_lo, exec_lo, s1
	s_cbranch_execnz .LBB19_18
.LBB19_19:
	s_endpgm
	.section	.rodata,"a",@progbits
	.p2align	6, 0x0
	.amdhsa_kernel _ZN7rocprim17ROCPRIM_400000_NS6detail30init_device_scan_by_key_kernelINS1_19lookback_scan_stateINS0_5tupleIJibEEELb1ELb1EEEPKijNS1_16block_id_wrapperIjLb1EEEEEvT_jjPNSB_10value_typeET0_PNSt15iterator_traitsISE_E10value_typeEmT1_T2_
		.amdhsa_group_segment_fixed_size 0
		.amdhsa_private_segment_fixed_size 0
		.amdhsa_kernarg_size 320
		.amdhsa_user_sgpr_count 6
		.amdhsa_user_sgpr_private_segment_buffer 1
		.amdhsa_user_sgpr_dispatch_ptr 0
		.amdhsa_user_sgpr_queue_ptr 0
		.amdhsa_user_sgpr_kernarg_segment_ptr 1
		.amdhsa_user_sgpr_dispatch_id 0
		.amdhsa_user_sgpr_flat_scratch_init 0
		.amdhsa_user_sgpr_private_segment_size 0
		.amdhsa_wavefront_size32 1
		.amdhsa_uses_dynamic_stack 0
		.amdhsa_system_sgpr_private_segment_wavefront_offset 0
		.amdhsa_system_sgpr_workgroup_id_x 1
		.amdhsa_system_sgpr_workgroup_id_y 0
		.amdhsa_system_sgpr_workgroup_id_z 0
		.amdhsa_system_sgpr_workgroup_info 0
		.amdhsa_system_vgpr_workitem_id 0
		.amdhsa_next_free_vgpr 9
		.amdhsa_next_free_sgpr 17
		.amdhsa_reserve_vcc 1
		.amdhsa_reserve_flat_scratch 0
		.amdhsa_float_round_mode_32 0
		.amdhsa_float_round_mode_16_64 0
		.amdhsa_float_denorm_mode_32 3
		.amdhsa_float_denorm_mode_16_64 3
		.amdhsa_dx10_clamp 1
		.amdhsa_ieee_mode 1
		.amdhsa_fp16_overflow 0
		.amdhsa_workgroup_processor_mode 1
		.amdhsa_memory_ordered 1
		.amdhsa_forward_progress 1
		.amdhsa_shared_vgpr_count 0
		.amdhsa_exception_fp_ieee_invalid_op 0
		.amdhsa_exception_fp_denorm_src 0
		.amdhsa_exception_fp_ieee_div_zero 0
		.amdhsa_exception_fp_ieee_overflow 0
		.amdhsa_exception_fp_ieee_underflow 0
		.amdhsa_exception_fp_ieee_inexact 0
		.amdhsa_exception_int_div_zero 0
	.end_amdhsa_kernel
	.section	.text._ZN7rocprim17ROCPRIM_400000_NS6detail30init_device_scan_by_key_kernelINS1_19lookback_scan_stateINS0_5tupleIJibEEELb1ELb1EEEPKijNS1_16block_id_wrapperIjLb1EEEEEvT_jjPNSB_10value_typeET0_PNSt15iterator_traitsISE_E10value_typeEmT1_T2_,"axG",@progbits,_ZN7rocprim17ROCPRIM_400000_NS6detail30init_device_scan_by_key_kernelINS1_19lookback_scan_stateINS0_5tupleIJibEEELb1ELb1EEEPKijNS1_16block_id_wrapperIjLb1EEEEEvT_jjPNSB_10value_typeET0_PNSt15iterator_traitsISE_E10value_typeEmT1_T2_,comdat
.Lfunc_end19:
	.size	_ZN7rocprim17ROCPRIM_400000_NS6detail30init_device_scan_by_key_kernelINS1_19lookback_scan_stateINS0_5tupleIJibEEELb1ELb1EEEPKijNS1_16block_id_wrapperIjLb1EEEEEvT_jjPNSB_10value_typeET0_PNSt15iterator_traitsISE_E10value_typeEmT1_T2_, .Lfunc_end19-_ZN7rocprim17ROCPRIM_400000_NS6detail30init_device_scan_by_key_kernelINS1_19lookback_scan_stateINS0_5tupleIJibEEELb1ELb1EEEPKijNS1_16block_id_wrapperIjLb1EEEEEvT_jjPNSB_10value_typeET0_PNSt15iterator_traitsISE_E10value_typeEmT1_T2_
                                        ; -- End function
	.set _ZN7rocprim17ROCPRIM_400000_NS6detail30init_device_scan_by_key_kernelINS1_19lookback_scan_stateINS0_5tupleIJibEEELb1ELb1EEEPKijNS1_16block_id_wrapperIjLb1EEEEEvT_jjPNSB_10value_typeET0_PNSt15iterator_traitsISE_E10value_typeEmT1_T2_.num_vgpr, 9
	.set _ZN7rocprim17ROCPRIM_400000_NS6detail30init_device_scan_by_key_kernelINS1_19lookback_scan_stateINS0_5tupleIJibEEELb1ELb1EEEPKijNS1_16block_id_wrapperIjLb1EEEEEvT_jjPNSB_10value_typeET0_PNSt15iterator_traitsISE_E10value_typeEmT1_T2_.num_agpr, 0
	.set _ZN7rocprim17ROCPRIM_400000_NS6detail30init_device_scan_by_key_kernelINS1_19lookback_scan_stateINS0_5tupleIJibEEELb1ELb1EEEPKijNS1_16block_id_wrapperIjLb1EEEEEvT_jjPNSB_10value_typeET0_PNSt15iterator_traitsISE_E10value_typeEmT1_T2_.numbered_sgpr, 17
	.set _ZN7rocprim17ROCPRIM_400000_NS6detail30init_device_scan_by_key_kernelINS1_19lookback_scan_stateINS0_5tupleIJibEEELb1ELb1EEEPKijNS1_16block_id_wrapperIjLb1EEEEEvT_jjPNSB_10value_typeET0_PNSt15iterator_traitsISE_E10value_typeEmT1_T2_.num_named_barrier, 0
	.set _ZN7rocprim17ROCPRIM_400000_NS6detail30init_device_scan_by_key_kernelINS1_19lookback_scan_stateINS0_5tupleIJibEEELb1ELb1EEEPKijNS1_16block_id_wrapperIjLb1EEEEEvT_jjPNSB_10value_typeET0_PNSt15iterator_traitsISE_E10value_typeEmT1_T2_.private_seg_size, 0
	.set _ZN7rocprim17ROCPRIM_400000_NS6detail30init_device_scan_by_key_kernelINS1_19lookback_scan_stateINS0_5tupleIJibEEELb1ELb1EEEPKijNS1_16block_id_wrapperIjLb1EEEEEvT_jjPNSB_10value_typeET0_PNSt15iterator_traitsISE_E10value_typeEmT1_T2_.uses_vcc, 1
	.set _ZN7rocprim17ROCPRIM_400000_NS6detail30init_device_scan_by_key_kernelINS1_19lookback_scan_stateINS0_5tupleIJibEEELb1ELb1EEEPKijNS1_16block_id_wrapperIjLb1EEEEEvT_jjPNSB_10value_typeET0_PNSt15iterator_traitsISE_E10value_typeEmT1_T2_.uses_flat_scratch, 0
	.set _ZN7rocprim17ROCPRIM_400000_NS6detail30init_device_scan_by_key_kernelINS1_19lookback_scan_stateINS0_5tupleIJibEEELb1ELb1EEEPKijNS1_16block_id_wrapperIjLb1EEEEEvT_jjPNSB_10value_typeET0_PNSt15iterator_traitsISE_E10value_typeEmT1_T2_.has_dyn_sized_stack, 0
	.set _ZN7rocprim17ROCPRIM_400000_NS6detail30init_device_scan_by_key_kernelINS1_19lookback_scan_stateINS0_5tupleIJibEEELb1ELb1EEEPKijNS1_16block_id_wrapperIjLb1EEEEEvT_jjPNSB_10value_typeET0_PNSt15iterator_traitsISE_E10value_typeEmT1_T2_.has_recursion, 0
	.set _ZN7rocprim17ROCPRIM_400000_NS6detail30init_device_scan_by_key_kernelINS1_19lookback_scan_stateINS0_5tupleIJibEEELb1ELb1EEEPKijNS1_16block_id_wrapperIjLb1EEEEEvT_jjPNSB_10value_typeET0_PNSt15iterator_traitsISE_E10value_typeEmT1_T2_.has_indirect_call, 0
	.section	.AMDGPU.csdata,"",@progbits
; Kernel info:
; codeLenInByte = 792
; TotalNumSgprs: 19
; NumVgprs: 9
; ScratchSize: 0
; MemoryBound: 0
; FloatMode: 240
; IeeeMode: 1
; LDSByteSize: 0 bytes/workgroup (compile time only)
; SGPRBlocks: 0
; VGPRBlocks: 1
; NumSGPRsForWavesPerEU: 19
; NumVGPRsForWavesPerEU: 9
; Occupancy: 16
; WaveLimiterHint : 0
; COMPUTE_PGM_RSRC2:SCRATCH_EN: 0
; COMPUTE_PGM_RSRC2:USER_SGPR: 6
; COMPUTE_PGM_RSRC2:TRAP_HANDLER: 0
; COMPUTE_PGM_RSRC2:TGID_X_EN: 1
; COMPUTE_PGM_RSRC2:TGID_Y_EN: 0
; COMPUTE_PGM_RSRC2:TGID_Z_EN: 0
; COMPUTE_PGM_RSRC2:TIDIG_COMP_CNT: 0
	.section	.text._ZN7rocprim17ROCPRIM_400000_NS6detail30init_device_scan_by_key_kernelINS1_19lookback_scan_stateINS0_5tupleIJibEEELb1ELb1EEENS1_16block_id_wrapperIjLb1EEEEEvT_jjPNS9_10value_typeET0_,"axG",@progbits,_ZN7rocprim17ROCPRIM_400000_NS6detail30init_device_scan_by_key_kernelINS1_19lookback_scan_stateINS0_5tupleIJibEEELb1ELb1EEENS1_16block_id_wrapperIjLb1EEEEEvT_jjPNS9_10value_typeET0_,comdat
	.protected	_ZN7rocprim17ROCPRIM_400000_NS6detail30init_device_scan_by_key_kernelINS1_19lookback_scan_stateINS0_5tupleIJibEEELb1ELb1EEENS1_16block_id_wrapperIjLb1EEEEEvT_jjPNS9_10value_typeET0_ ; -- Begin function _ZN7rocprim17ROCPRIM_400000_NS6detail30init_device_scan_by_key_kernelINS1_19lookback_scan_stateINS0_5tupleIJibEEELb1ELb1EEENS1_16block_id_wrapperIjLb1EEEEEvT_jjPNS9_10value_typeET0_
	.globl	_ZN7rocprim17ROCPRIM_400000_NS6detail30init_device_scan_by_key_kernelINS1_19lookback_scan_stateINS0_5tupleIJibEEELb1ELb1EEENS1_16block_id_wrapperIjLb1EEEEEvT_jjPNS9_10value_typeET0_
	.p2align	8
	.type	_ZN7rocprim17ROCPRIM_400000_NS6detail30init_device_scan_by_key_kernelINS1_19lookback_scan_stateINS0_5tupleIJibEEELb1ELb1EEENS1_16block_id_wrapperIjLb1EEEEEvT_jjPNS9_10value_typeET0_,@function
_ZN7rocprim17ROCPRIM_400000_NS6detail30init_device_scan_by_key_kernelINS1_19lookback_scan_stateINS0_5tupleIJibEEELb1ELb1EEENS1_16block_id_wrapperIjLb1EEEEEvT_jjPNS9_10value_typeET0_: ; @_ZN7rocprim17ROCPRIM_400000_NS6detail30init_device_scan_by_key_kernelINS1_19lookback_scan_stateINS0_5tupleIJibEEELb1ELb1EEENS1_16block_id_wrapperIjLb1EEEEEvT_jjPNS9_10value_typeET0_
; %bb.0:
	s_clause 0x1
	s_load_dword s0, s[4:5], 0x2c
	s_load_dwordx8 s[8:15], s[4:5], 0x0
	s_waitcnt lgkmcnt(0)
	s_and_b32 s0, s0, 0xffff
	s_cmp_eq_u64 s[12:13], 0
	v_mad_u64_u32 v[0:1], null, s6, s0, v[0:1]
	s_cbranch_scc1 .LBB20_10
; %bb.1:
	s_cmp_lt_u32 s11, s10
	s_mov_b32 s1, 0
	s_cselect_b32 s0, s11, 0
	s_mov_b32 s2, exec_lo
	v_cmpx_eq_u32_e64 s0, v0
	s_cbranch_execz .LBB20_9
; %bb.2:
	s_add_i32 s0, s11, 32
	v_mov_b32_e32 v5, 0
	s_lshl_b64 s[0:1], s[0:1], 4
	s_mov_b32 s3, exec_lo
	s_add_u32 s0, s8, s0
	s_addc_u32 s1, s9, s1
	v_mov_b32_e32 v2, s1
	v_mov_b32_e32 v1, s0
	;;#ASMSTART
	global_load_dwordx4 v[1:4], v[1:2] off glc dlc	
s_waitcnt vmcnt(0)
	;;#ASMEND
	v_and_b32_e32 v4, 0xff, v3
	v_cmpx_eq_u64_e32 0, v[4:5]
	s_cbranch_execz .LBB20_8
; %bb.3:
	v_mov_b32_e32 v7, s1
	v_mov_b32_e32 v6, s0
	s_mov_b32 s1, 1
	s_mov_b32 s0, 0
	.p2align	6
.LBB20_4:                               ; =>This Loop Header: Depth=1
                                        ;     Child Loop BB20_5 Depth 2
	s_mov_b32 s4, s1
.LBB20_5:                               ;   Parent Loop BB20_4 Depth=1
                                        ; =>  This Inner Loop Header: Depth=2
	s_add_i32 s4, s4, -1
	s_sleep 1
	s_cmp_eq_u32 s4, 0
	s_cbranch_scc0 .LBB20_5
; %bb.6:                                ;   in Loop: Header=BB20_4 Depth=1
	;;#ASMSTART
	global_load_dwordx4 v[1:4], v[6:7] off glc dlc	
s_waitcnt vmcnt(0)
	;;#ASMEND
	v_and_b32_e32 v4, 0xff, v3
	s_cmp_lt_u32 s1, 32
	s_cselect_b32 s4, -1, 0
	s_cmp_lg_u32 s4, 0
	v_cmp_ne_u64_e32 vcc_lo, 0, v[4:5]
	s_addc_u32 s1, s1, 0
	s_or_b32 s0, vcc_lo, s0
	s_andn2_b32 exec_lo, exec_lo, s0
	s_cbranch_execnz .LBB20_4
; %bb.7:
	s_or_b32 exec_lo, exec_lo, s0
.LBB20_8:
	s_or_b32 exec_lo, exec_lo, s3
	v_mov_b32_e32 v3, 0
	global_store_dword v3, v1, s[12:13]
	global_store_byte v3, v2, s[12:13] offset:4
.LBB20_9:
	s_or_b32 exec_lo, exec_lo, s2
.LBB20_10:
	s_mov_b32 s0, exec_lo
	v_cmpx_eq_u32_e32 0, v0
	s_cbranch_execz .LBB20_12
; %bb.11:
	v_mov_b32_e32 v1, 0
	global_store_dword v1, v1, s[14:15]
.LBB20_12:
	s_or_b32 exec_lo, exec_lo, s0
	s_mov_b32 s0, exec_lo
	v_cmpx_gt_u32_e64 s10, v0
	s_cbranch_execz .LBB20_14
; %bb.13:
	v_add_nc_u32_e32 v1, 32, v0
	v_mov_b32_e32 v2, 0
	v_lshlrev_b64 v[4:5], 4, v[1:2]
	v_mov_b32_e32 v1, v2
	v_mov_b32_e32 v3, v2
	v_add_co_u32 v6, vcc_lo, s8, v4
	v_add_co_ci_u32_e64 v7, null, s9, v5, vcc_lo
	v_mov_b32_e32 v4, v2
	global_store_dwordx4 v[6:7], v[1:4], off
.LBB20_14:
	s_or_b32 exec_lo, exec_lo, s0
	s_mov_b32 s0, exec_lo
	v_cmpx_gt_u32_e32 32, v0
	s_cbranch_execz .LBB20_16
; %bb.15:
	v_mov_b32_e32 v1, 0
	v_mov_b32_e32 v2, 0xff
	v_lshlrev_b64 v[3:4], 4, v[0:1]
	v_mov_b32_e32 v0, v1
	v_add_co_u32 v5, vcc_lo, s8, v3
	v_add_co_ci_u32_e64 v6, null, s9, v4, vcc_lo
	v_mov_b32_e32 v3, v1
	global_store_dwordx4 v[5:6], v[0:3], off
.LBB20_16:
	s_endpgm
	.section	.rodata,"a",@progbits
	.p2align	6, 0x0
	.amdhsa_kernel _ZN7rocprim17ROCPRIM_400000_NS6detail30init_device_scan_by_key_kernelINS1_19lookback_scan_stateINS0_5tupleIJibEEELb1ELb1EEENS1_16block_id_wrapperIjLb1EEEEEvT_jjPNS9_10value_typeET0_
		.amdhsa_group_segment_fixed_size 0
		.amdhsa_private_segment_fixed_size 0
		.amdhsa_kernarg_size 288
		.amdhsa_user_sgpr_count 6
		.amdhsa_user_sgpr_private_segment_buffer 1
		.amdhsa_user_sgpr_dispatch_ptr 0
		.amdhsa_user_sgpr_queue_ptr 0
		.amdhsa_user_sgpr_kernarg_segment_ptr 1
		.amdhsa_user_sgpr_dispatch_id 0
		.amdhsa_user_sgpr_flat_scratch_init 0
		.amdhsa_user_sgpr_private_segment_size 0
		.amdhsa_wavefront_size32 1
		.amdhsa_uses_dynamic_stack 0
		.amdhsa_system_sgpr_private_segment_wavefront_offset 0
		.amdhsa_system_sgpr_workgroup_id_x 1
		.amdhsa_system_sgpr_workgroup_id_y 0
		.amdhsa_system_sgpr_workgroup_id_z 0
		.amdhsa_system_sgpr_workgroup_info 0
		.amdhsa_system_vgpr_workitem_id 0
		.amdhsa_next_free_vgpr 8
		.amdhsa_next_free_sgpr 16
		.amdhsa_reserve_vcc 1
		.amdhsa_reserve_flat_scratch 0
		.amdhsa_float_round_mode_32 0
		.amdhsa_float_round_mode_16_64 0
		.amdhsa_float_denorm_mode_32 3
		.amdhsa_float_denorm_mode_16_64 3
		.amdhsa_dx10_clamp 1
		.amdhsa_ieee_mode 1
		.amdhsa_fp16_overflow 0
		.amdhsa_workgroup_processor_mode 1
		.amdhsa_memory_ordered 1
		.amdhsa_forward_progress 1
		.amdhsa_shared_vgpr_count 0
		.amdhsa_exception_fp_ieee_invalid_op 0
		.amdhsa_exception_fp_denorm_src 0
		.amdhsa_exception_fp_ieee_div_zero 0
		.amdhsa_exception_fp_ieee_overflow 0
		.amdhsa_exception_fp_ieee_underflow 0
		.amdhsa_exception_fp_ieee_inexact 0
		.amdhsa_exception_int_div_zero 0
	.end_amdhsa_kernel
	.section	.text._ZN7rocprim17ROCPRIM_400000_NS6detail30init_device_scan_by_key_kernelINS1_19lookback_scan_stateINS0_5tupleIJibEEELb1ELb1EEENS1_16block_id_wrapperIjLb1EEEEEvT_jjPNS9_10value_typeET0_,"axG",@progbits,_ZN7rocprim17ROCPRIM_400000_NS6detail30init_device_scan_by_key_kernelINS1_19lookback_scan_stateINS0_5tupleIJibEEELb1ELb1EEENS1_16block_id_wrapperIjLb1EEEEEvT_jjPNS9_10value_typeET0_,comdat
.Lfunc_end20:
	.size	_ZN7rocprim17ROCPRIM_400000_NS6detail30init_device_scan_by_key_kernelINS1_19lookback_scan_stateINS0_5tupleIJibEEELb1ELb1EEENS1_16block_id_wrapperIjLb1EEEEEvT_jjPNS9_10value_typeET0_, .Lfunc_end20-_ZN7rocprim17ROCPRIM_400000_NS6detail30init_device_scan_by_key_kernelINS1_19lookback_scan_stateINS0_5tupleIJibEEELb1ELb1EEENS1_16block_id_wrapperIjLb1EEEEEvT_jjPNS9_10value_typeET0_
                                        ; -- End function
	.set _ZN7rocprim17ROCPRIM_400000_NS6detail30init_device_scan_by_key_kernelINS1_19lookback_scan_stateINS0_5tupleIJibEEELb1ELb1EEENS1_16block_id_wrapperIjLb1EEEEEvT_jjPNS9_10value_typeET0_.num_vgpr, 8
	.set _ZN7rocprim17ROCPRIM_400000_NS6detail30init_device_scan_by_key_kernelINS1_19lookback_scan_stateINS0_5tupleIJibEEELb1ELb1EEENS1_16block_id_wrapperIjLb1EEEEEvT_jjPNS9_10value_typeET0_.num_agpr, 0
	.set _ZN7rocprim17ROCPRIM_400000_NS6detail30init_device_scan_by_key_kernelINS1_19lookback_scan_stateINS0_5tupleIJibEEELb1ELb1EEENS1_16block_id_wrapperIjLb1EEEEEvT_jjPNS9_10value_typeET0_.numbered_sgpr, 16
	.set _ZN7rocprim17ROCPRIM_400000_NS6detail30init_device_scan_by_key_kernelINS1_19lookback_scan_stateINS0_5tupleIJibEEELb1ELb1EEENS1_16block_id_wrapperIjLb1EEEEEvT_jjPNS9_10value_typeET0_.num_named_barrier, 0
	.set _ZN7rocprim17ROCPRIM_400000_NS6detail30init_device_scan_by_key_kernelINS1_19lookback_scan_stateINS0_5tupleIJibEEELb1ELb1EEENS1_16block_id_wrapperIjLb1EEEEEvT_jjPNS9_10value_typeET0_.private_seg_size, 0
	.set _ZN7rocprim17ROCPRIM_400000_NS6detail30init_device_scan_by_key_kernelINS1_19lookback_scan_stateINS0_5tupleIJibEEELb1ELb1EEENS1_16block_id_wrapperIjLb1EEEEEvT_jjPNS9_10value_typeET0_.uses_vcc, 1
	.set _ZN7rocprim17ROCPRIM_400000_NS6detail30init_device_scan_by_key_kernelINS1_19lookback_scan_stateINS0_5tupleIJibEEELb1ELb1EEENS1_16block_id_wrapperIjLb1EEEEEvT_jjPNS9_10value_typeET0_.uses_flat_scratch, 0
	.set _ZN7rocprim17ROCPRIM_400000_NS6detail30init_device_scan_by_key_kernelINS1_19lookback_scan_stateINS0_5tupleIJibEEELb1ELb1EEENS1_16block_id_wrapperIjLb1EEEEEvT_jjPNS9_10value_typeET0_.has_dyn_sized_stack, 0
	.set _ZN7rocprim17ROCPRIM_400000_NS6detail30init_device_scan_by_key_kernelINS1_19lookback_scan_stateINS0_5tupleIJibEEELb1ELb1EEENS1_16block_id_wrapperIjLb1EEEEEvT_jjPNS9_10value_typeET0_.has_recursion, 0
	.set _ZN7rocprim17ROCPRIM_400000_NS6detail30init_device_scan_by_key_kernelINS1_19lookback_scan_stateINS0_5tupleIJibEEELb1ELb1EEENS1_16block_id_wrapperIjLb1EEEEEvT_jjPNS9_10value_typeET0_.has_indirect_call, 0
	.section	.AMDGPU.csdata,"",@progbits
; Kernel info:
; codeLenInByte = 492
; TotalNumSgprs: 18
; NumVgprs: 8
; ScratchSize: 0
; MemoryBound: 0
; FloatMode: 240
; IeeeMode: 1
; LDSByteSize: 0 bytes/workgroup (compile time only)
; SGPRBlocks: 0
; VGPRBlocks: 0
; NumSGPRsForWavesPerEU: 18
; NumVGPRsForWavesPerEU: 8
; Occupancy: 16
; WaveLimiterHint : 0
; COMPUTE_PGM_RSRC2:SCRATCH_EN: 0
; COMPUTE_PGM_RSRC2:USER_SGPR: 6
; COMPUTE_PGM_RSRC2:TRAP_HANDLER: 0
; COMPUTE_PGM_RSRC2:TGID_X_EN: 1
; COMPUTE_PGM_RSRC2:TGID_Y_EN: 0
; COMPUTE_PGM_RSRC2:TGID_Z_EN: 0
; COMPUTE_PGM_RSRC2:TIDIG_COMP_CNT: 0
	.section	.text._ZN7rocprim17ROCPRIM_400000_NS6detail17trampoline_kernelINS0_14default_configENS1_27scan_by_key_config_selectorIiiEEZZNS1_16scan_by_key_implILNS1_25lookback_scan_determinismE0ELb0ES3_PKiN6hipcub16HIPCUB_304000_NS21ConstantInputIteratorIilEEPiiNSB_3SumENSB_8EqualityEiEE10hipError_tPvRmT2_T3_T4_T5_mT6_T7_P12ihipStream_tbENKUlT_T0_E_clISt17integral_constantIbLb1EESX_EEDaSS_ST_EUlSS_E_NS1_11comp_targetILNS1_3genE0ELNS1_11target_archE4294967295ELNS1_3gpuE0ELNS1_3repE0EEENS1_30default_config_static_selectorELNS0_4arch9wavefront6targetE0EEEvT1_,"axG",@progbits,_ZN7rocprim17ROCPRIM_400000_NS6detail17trampoline_kernelINS0_14default_configENS1_27scan_by_key_config_selectorIiiEEZZNS1_16scan_by_key_implILNS1_25lookback_scan_determinismE0ELb0ES3_PKiN6hipcub16HIPCUB_304000_NS21ConstantInputIteratorIilEEPiiNSB_3SumENSB_8EqualityEiEE10hipError_tPvRmT2_T3_T4_T5_mT6_T7_P12ihipStream_tbENKUlT_T0_E_clISt17integral_constantIbLb1EESX_EEDaSS_ST_EUlSS_E_NS1_11comp_targetILNS1_3genE0ELNS1_11target_archE4294967295ELNS1_3gpuE0ELNS1_3repE0EEENS1_30default_config_static_selectorELNS0_4arch9wavefront6targetE0EEEvT1_,comdat
	.protected	_ZN7rocprim17ROCPRIM_400000_NS6detail17trampoline_kernelINS0_14default_configENS1_27scan_by_key_config_selectorIiiEEZZNS1_16scan_by_key_implILNS1_25lookback_scan_determinismE0ELb0ES3_PKiN6hipcub16HIPCUB_304000_NS21ConstantInputIteratorIilEEPiiNSB_3SumENSB_8EqualityEiEE10hipError_tPvRmT2_T3_T4_T5_mT6_T7_P12ihipStream_tbENKUlT_T0_E_clISt17integral_constantIbLb1EESX_EEDaSS_ST_EUlSS_E_NS1_11comp_targetILNS1_3genE0ELNS1_11target_archE4294967295ELNS1_3gpuE0ELNS1_3repE0EEENS1_30default_config_static_selectorELNS0_4arch9wavefront6targetE0EEEvT1_ ; -- Begin function _ZN7rocprim17ROCPRIM_400000_NS6detail17trampoline_kernelINS0_14default_configENS1_27scan_by_key_config_selectorIiiEEZZNS1_16scan_by_key_implILNS1_25lookback_scan_determinismE0ELb0ES3_PKiN6hipcub16HIPCUB_304000_NS21ConstantInputIteratorIilEEPiiNSB_3SumENSB_8EqualityEiEE10hipError_tPvRmT2_T3_T4_T5_mT6_T7_P12ihipStream_tbENKUlT_T0_E_clISt17integral_constantIbLb1EESX_EEDaSS_ST_EUlSS_E_NS1_11comp_targetILNS1_3genE0ELNS1_11target_archE4294967295ELNS1_3gpuE0ELNS1_3repE0EEENS1_30default_config_static_selectorELNS0_4arch9wavefront6targetE0EEEvT1_
	.globl	_ZN7rocprim17ROCPRIM_400000_NS6detail17trampoline_kernelINS0_14default_configENS1_27scan_by_key_config_selectorIiiEEZZNS1_16scan_by_key_implILNS1_25lookback_scan_determinismE0ELb0ES3_PKiN6hipcub16HIPCUB_304000_NS21ConstantInputIteratorIilEEPiiNSB_3SumENSB_8EqualityEiEE10hipError_tPvRmT2_T3_T4_T5_mT6_T7_P12ihipStream_tbENKUlT_T0_E_clISt17integral_constantIbLb1EESX_EEDaSS_ST_EUlSS_E_NS1_11comp_targetILNS1_3genE0ELNS1_11target_archE4294967295ELNS1_3gpuE0ELNS1_3repE0EEENS1_30default_config_static_selectorELNS0_4arch9wavefront6targetE0EEEvT1_
	.p2align	8
	.type	_ZN7rocprim17ROCPRIM_400000_NS6detail17trampoline_kernelINS0_14default_configENS1_27scan_by_key_config_selectorIiiEEZZNS1_16scan_by_key_implILNS1_25lookback_scan_determinismE0ELb0ES3_PKiN6hipcub16HIPCUB_304000_NS21ConstantInputIteratorIilEEPiiNSB_3SumENSB_8EqualityEiEE10hipError_tPvRmT2_T3_T4_T5_mT6_T7_P12ihipStream_tbENKUlT_T0_E_clISt17integral_constantIbLb1EESX_EEDaSS_ST_EUlSS_E_NS1_11comp_targetILNS1_3genE0ELNS1_11target_archE4294967295ELNS1_3gpuE0ELNS1_3repE0EEENS1_30default_config_static_selectorELNS0_4arch9wavefront6targetE0EEEvT1_,@function
_ZN7rocprim17ROCPRIM_400000_NS6detail17trampoline_kernelINS0_14default_configENS1_27scan_by_key_config_selectorIiiEEZZNS1_16scan_by_key_implILNS1_25lookback_scan_determinismE0ELb0ES3_PKiN6hipcub16HIPCUB_304000_NS21ConstantInputIteratorIilEEPiiNSB_3SumENSB_8EqualityEiEE10hipError_tPvRmT2_T3_T4_T5_mT6_T7_P12ihipStream_tbENKUlT_T0_E_clISt17integral_constantIbLb1EESX_EEDaSS_ST_EUlSS_E_NS1_11comp_targetILNS1_3genE0ELNS1_11target_archE4294967295ELNS1_3gpuE0ELNS1_3repE0EEENS1_30default_config_static_selectorELNS0_4arch9wavefront6targetE0EEEvT1_: ; @_ZN7rocprim17ROCPRIM_400000_NS6detail17trampoline_kernelINS0_14default_configENS1_27scan_by_key_config_selectorIiiEEZZNS1_16scan_by_key_implILNS1_25lookback_scan_determinismE0ELb0ES3_PKiN6hipcub16HIPCUB_304000_NS21ConstantInputIteratorIilEEPiiNSB_3SumENSB_8EqualityEiEE10hipError_tPvRmT2_T3_T4_T5_mT6_T7_P12ihipStream_tbENKUlT_T0_E_clISt17integral_constantIbLb1EESX_EEDaSS_ST_EUlSS_E_NS1_11comp_targetILNS1_3genE0ELNS1_11target_archE4294967295ELNS1_3gpuE0ELNS1_3repE0EEENS1_30default_config_static_selectorELNS0_4arch9wavefront6targetE0EEEvT1_
; %bb.0:
	.section	.rodata,"a",@progbits
	.p2align	6, 0x0
	.amdhsa_kernel _ZN7rocprim17ROCPRIM_400000_NS6detail17trampoline_kernelINS0_14default_configENS1_27scan_by_key_config_selectorIiiEEZZNS1_16scan_by_key_implILNS1_25lookback_scan_determinismE0ELb0ES3_PKiN6hipcub16HIPCUB_304000_NS21ConstantInputIteratorIilEEPiiNSB_3SumENSB_8EqualityEiEE10hipError_tPvRmT2_T3_T4_T5_mT6_T7_P12ihipStream_tbENKUlT_T0_E_clISt17integral_constantIbLb1EESX_EEDaSS_ST_EUlSS_E_NS1_11comp_targetILNS1_3genE0ELNS1_11target_archE4294967295ELNS1_3gpuE0ELNS1_3repE0EEENS1_30default_config_static_selectorELNS0_4arch9wavefront6targetE0EEEvT1_
		.amdhsa_group_segment_fixed_size 0
		.amdhsa_private_segment_fixed_size 0
		.amdhsa_kernarg_size 120
		.amdhsa_user_sgpr_count 6
		.amdhsa_user_sgpr_private_segment_buffer 1
		.amdhsa_user_sgpr_dispatch_ptr 0
		.amdhsa_user_sgpr_queue_ptr 0
		.amdhsa_user_sgpr_kernarg_segment_ptr 1
		.amdhsa_user_sgpr_dispatch_id 0
		.amdhsa_user_sgpr_flat_scratch_init 0
		.amdhsa_user_sgpr_private_segment_size 0
		.amdhsa_wavefront_size32 1
		.amdhsa_uses_dynamic_stack 0
		.amdhsa_system_sgpr_private_segment_wavefront_offset 0
		.amdhsa_system_sgpr_workgroup_id_x 1
		.amdhsa_system_sgpr_workgroup_id_y 0
		.amdhsa_system_sgpr_workgroup_id_z 0
		.amdhsa_system_sgpr_workgroup_info 0
		.amdhsa_system_vgpr_workitem_id 0
		.amdhsa_next_free_vgpr 1
		.amdhsa_next_free_sgpr 1
		.amdhsa_reserve_vcc 0
		.amdhsa_reserve_flat_scratch 0
		.amdhsa_float_round_mode_32 0
		.amdhsa_float_round_mode_16_64 0
		.amdhsa_float_denorm_mode_32 3
		.amdhsa_float_denorm_mode_16_64 3
		.amdhsa_dx10_clamp 1
		.amdhsa_ieee_mode 1
		.amdhsa_fp16_overflow 0
		.amdhsa_workgroup_processor_mode 1
		.amdhsa_memory_ordered 1
		.amdhsa_forward_progress 1
		.amdhsa_shared_vgpr_count 0
		.amdhsa_exception_fp_ieee_invalid_op 0
		.amdhsa_exception_fp_denorm_src 0
		.amdhsa_exception_fp_ieee_div_zero 0
		.amdhsa_exception_fp_ieee_overflow 0
		.amdhsa_exception_fp_ieee_underflow 0
		.amdhsa_exception_fp_ieee_inexact 0
		.amdhsa_exception_int_div_zero 0
	.end_amdhsa_kernel
	.section	.text._ZN7rocprim17ROCPRIM_400000_NS6detail17trampoline_kernelINS0_14default_configENS1_27scan_by_key_config_selectorIiiEEZZNS1_16scan_by_key_implILNS1_25lookback_scan_determinismE0ELb0ES3_PKiN6hipcub16HIPCUB_304000_NS21ConstantInputIteratorIilEEPiiNSB_3SumENSB_8EqualityEiEE10hipError_tPvRmT2_T3_T4_T5_mT6_T7_P12ihipStream_tbENKUlT_T0_E_clISt17integral_constantIbLb1EESX_EEDaSS_ST_EUlSS_E_NS1_11comp_targetILNS1_3genE0ELNS1_11target_archE4294967295ELNS1_3gpuE0ELNS1_3repE0EEENS1_30default_config_static_selectorELNS0_4arch9wavefront6targetE0EEEvT1_,"axG",@progbits,_ZN7rocprim17ROCPRIM_400000_NS6detail17trampoline_kernelINS0_14default_configENS1_27scan_by_key_config_selectorIiiEEZZNS1_16scan_by_key_implILNS1_25lookback_scan_determinismE0ELb0ES3_PKiN6hipcub16HIPCUB_304000_NS21ConstantInputIteratorIilEEPiiNSB_3SumENSB_8EqualityEiEE10hipError_tPvRmT2_T3_T4_T5_mT6_T7_P12ihipStream_tbENKUlT_T0_E_clISt17integral_constantIbLb1EESX_EEDaSS_ST_EUlSS_E_NS1_11comp_targetILNS1_3genE0ELNS1_11target_archE4294967295ELNS1_3gpuE0ELNS1_3repE0EEENS1_30default_config_static_selectorELNS0_4arch9wavefront6targetE0EEEvT1_,comdat
.Lfunc_end21:
	.size	_ZN7rocprim17ROCPRIM_400000_NS6detail17trampoline_kernelINS0_14default_configENS1_27scan_by_key_config_selectorIiiEEZZNS1_16scan_by_key_implILNS1_25lookback_scan_determinismE0ELb0ES3_PKiN6hipcub16HIPCUB_304000_NS21ConstantInputIteratorIilEEPiiNSB_3SumENSB_8EqualityEiEE10hipError_tPvRmT2_T3_T4_T5_mT6_T7_P12ihipStream_tbENKUlT_T0_E_clISt17integral_constantIbLb1EESX_EEDaSS_ST_EUlSS_E_NS1_11comp_targetILNS1_3genE0ELNS1_11target_archE4294967295ELNS1_3gpuE0ELNS1_3repE0EEENS1_30default_config_static_selectorELNS0_4arch9wavefront6targetE0EEEvT1_, .Lfunc_end21-_ZN7rocprim17ROCPRIM_400000_NS6detail17trampoline_kernelINS0_14default_configENS1_27scan_by_key_config_selectorIiiEEZZNS1_16scan_by_key_implILNS1_25lookback_scan_determinismE0ELb0ES3_PKiN6hipcub16HIPCUB_304000_NS21ConstantInputIteratorIilEEPiiNSB_3SumENSB_8EqualityEiEE10hipError_tPvRmT2_T3_T4_T5_mT6_T7_P12ihipStream_tbENKUlT_T0_E_clISt17integral_constantIbLb1EESX_EEDaSS_ST_EUlSS_E_NS1_11comp_targetILNS1_3genE0ELNS1_11target_archE4294967295ELNS1_3gpuE0ELNS1_3repE0EEENS1_30default_config_static_selectorELNS0_4arch9wavefront6targetE0EEEvT1_
                                        ; -- End function
	.set _ZN7rocprim17ROCPRIM_400000_NS6detail17trampoline_kernelINS0_14default_configENS1_27scan_by_key_config_selectorIiiEEZZNS1_16scan_by_key_implILNS1_25lookback_scan_determinismE0ELb0ES3_PKiN6hipcub16HIPCUB_304000_NS21ConstantInputIteratorIilEEPiiNSB_3SumENSB_8EqualityEiEE10hipError_tPvRmT2_T3_T4_T5_mT6_T7_P12ihipStream_tbENKUlT_T0_E_clISt17integral_constantIbLb1EESX_EEDaSS_ST_EUlSS_E_NS1_11comp_targetILNS1_3genE0ELNS1_11target_archE4294967295ELNS1_3gpuE0ELNS1_3repE0EEENS1_30default_config_static_selectorELNS0_4arch9wavefront6targetE0EEEvT1_.num_vgpr, 0
	.set _ZN7rocprim17ROCPRIM_400000_NS6detail17trampoline_kernelINS0_14default_configENS1_27scan_by_key_config_selectorIiiEEZZNS1_16scan_by_key_implILNS1_25lookback_scan_determinismE0ELb0ES3_PKiN6hipcub16HIPCUB_304000_NS21ConstantInputIteratorIilEEPiiNSB_3SumENSB_8EqualityEiEE10hipError_tPvRmT2_T3_T4_T5_mT6_T7_P12ihipStream_tbENKUlT_T0_E_clISt17integral_constantIbLb1EESX_EEDaSS_ST_EUlSS_E_NS1_11comp_targetILNS1_3genE0ELNS1_11target_archE4294967295ELNS1_3gpuE0ELNS1_3repE0EEENS1_30default_config_static_selectorELNS0_4arch9wavefront6targetE0EEEvT1_.num_agpr, 0
	.set _ZN7rocprim17ROCPRIM_400000_NS6detail17trampoline_kernelINS0_14default_configENS1_27scan_by_key_config_selectorIiiEEZZNS1_16scan_by_key_implILNS1_25lookback_scan_determinismE0ELb0ES3_PKiN6hipcub16HIPCUB_304000_NS21ConstantInputIteratorIilEEPiiNSB_3SumENSB_8EqualityEiEE10hipError_tPvRmT2_T3_T4_T5_mT6_T7_P12ihipStream_tbENKUlT_T0_E_clISt17integral_constantIbLb1EESX_EEDaSS_ST_EUlSS_E_NS1_11comp_targetILNS1_3genE0ELNS1_11target_archE4294967295ELNS1_3gpuE0ELNS1_3repE0EEENS1_30default_config_static_selectorELNS0_4arch9wavefront6targetE0EEEvT1_.numbered_sgpr, 0
	.set _ZN7rocprim17ROCPRIM_400000_NS6detail17trampoline_kernelINS0_14default_configENS1_27scan_by_key_config_selectorIiiEEZZNS1_16scan_by_key_implILNS1_25lookback_scan_determinismE0ELb0ES3_PKiN6hipcub16HIPCUB_304000_NS21ConstantInputIteratorIilEEPiiNSB_3SumENSB_8EqualityEiEE10hipError_tPvRmT2_T3_T4_T5_mT6_T7_P12ihipStream_tbENKUlT_T0_E_clISt17integral_constantIbLb1EESX_EEDaSS_ST_EUlSS_E_NS1_11comp_targetILNS1_3genE0ELNS1_11target_archE4294967295ELNS1_3gpuE0ELNS1_3repE0EEENS1_30default_config_static_selectorELNS0_4arch9wavefront6targetE0EEEvT1_.num_named_barrier, 0
	.set _ZN7rocprim17ROCPRIM_400000_NS6detail17trampoline_kernelINS0_14default_configENS1_27scan_by_key_config_selectorIiiEEZZNS1_16scan_by_key_implILNS1_25lookback_scan_determinismE0ELb0ES3_PKiN6hipcub16HIPCUB_304000_NS21ConstantInputIteratorIilEEPiiNSB_3SumENSB_8EqualityEiEE10hipError_tPvRmT2_T3_T4_T5_mT6_T7_P12ihipStream_tbENKUlT_T0_E_clISt17integral_constantIbLb1EESX_EEDaSS_ST_EUlSS_E_NS1_11comp_targetILNS1_3genE0ELNS1_11target_archE4294967295ELNS1_3gpuE0ELNS1_3repE0EEENS1_30default_config_static_selectorELNS0_4arch9wavefront6targetE0EEEvT1_.private_seg_size, 0
	.set _ZN7rocprim17ROCPRIM_400000_NS6detail17trampoline_kernelINS0_14default_configENS1_27scan_by_key_config_selectorIiiEEZZNS1_16scan_by_key_implILNS1_25lookback_scan_determinismE0ELb0ES3_PKiN6hipcub16HIPCUB_304000_NS21ConstantInputIteratorIilEEPiiNSB_3SumENSB_8EqualityEiEE10hipError_tPvRmT2_T3_T4_T5_mT6_T7_P12ihipStream_tbENKUlT_T0_E_clISt17integral_constantIbLb1EESX_EEDaSS_ST_EUlSS_E_NS1_11comp_targetILNS1_3genE0ELNS1_11target_archE4294967295ELNS1_3gpuE0ELNS1_3repE0EEENS1_30default_config_static_selectorELNS0_4arch9wavefront6targetE0EEEvT1_.uses_vcc, 0
	.set _ZN7rocprim17ROCPRIM_400000_NS6detail17trampoline_kernelINS0_14default_configENS1_27scan_by_key_config_selectorIiiEEZZNS1_16scan_by_key_implILNS1_25lookback_scan_determinismE0ELb0ES3_PKiN6hipcub16HIPCUB_304000_NS21ConstantInputIteratorIilEEPiiNSB_3SumENSB_8EqualityEiEE10hipError_tPvRmT2_T3_T4_T5_mT6_T7_P12ihipStream_tbENKUlT_T0_E_clISt17integral_constantIbLb1EESX_EEDaSS_ST_EUlSS_E_NS1_11comp_targetILNS1_3genE0ELNS1_11target_archE4294967295ELNS1_3gpuE0ELNS1_3repE0EEENS1_30default_config_static_selectorELNS0_4arch9wavefront6targetE0EEEvT1_.uses_flat_scratch, 0
	.set _ZN7rocprim17ROCPRIM_400000_NS6detail17trampoline_kernelINS0_14default_configENS1_27scan_by_key_config_selectorIiiEEZZNS1_16scan_by_key_implILNS1_25lookback_scan_determinismE0ELb0ES3_PKiN6hipcub16HIPCUB_304000_NS21ConstantInputIteratorIilEEPiiNSB_3SumENSB_8EqualityEiEE10hipError_tPvRmT2_T3_T4_T5_mT6_T7_P12ihipStream_tbENKUlT_T0_E_clISt17integral_constantIbLb1EESX_EEDaSS_ST_EUlSS_E_NS1_11comp_targetILNS1_3genE0ELNS1_11target_archE4294967295ELNS1_3gpuE0ELNS1_3repE0EEENS1_30default_config_static_selectorELNS0_4arch9wavefront6targetE0EEEvT1_.has_dyn_sized_stack, 0
	.set _ZN7rocprim17ROCPRIM_400000_NS6detail17trampoline_kernelINS0_14default_configENS1_27scan_by_key_config_selectorIiiEEZZNS1_16scan_by_key_implILNS1_25lookback_scan_determinismE0ELb0ES3_PKiN6hipcub16HIPCUB_304000_NS21ConstantInputIteratorIilEEPiiNSB_3SumENSB_8EqualityEiEE10hipError_tPvRmT2_T3_T4_T5_mT6_T7_P12ihipStream_tbENKUlT_T0_E_clISt17integral_constantIbLb1EESX_EEDaSS_ST_EUlSS_E_NS1_11comp_targetILNS1_3genE0ELNS1_11target_archE4294967295ELNS1_3gpuE0ELNS1_3repE0EEENS1_30default_config_static_selectorELNS0_4arch9wavefront6targetE0EEEvT1_.has_recursion, 0
	.set _ZN7rocprim17ROCPRIM_400000_NS6detail17trampoline_kernelINS0_14default_configENS1_27scan_by_key_config_selectorIiiEEZZNS1_16scan_by_key_implILNS1_25lookback_scan_determinismE0ELb0ES3_PKiN6hipcub16HIPCUB_304000_NS21ConstantInputIteratorIilEEPiiNSB_3SumENSB_8EqualityEiEE10hipError_tPvRmT2_T3_T4_T5_mT6_T7_P12ihipStream_tbENKUlT_T0_E_clISt17integral_constantIbLb1EESX_EEDaSS_ST_EUlSS_E_NS1_11comp_targetILNS1_3genE0ELNS1_11target_archE4294967295ELNS1_3gpuE0ELNS1_3repE0EEENS1_30default_config_static_selectorELNS0_4arch9wavefront6targetE0EEEvT1_.has_indirect_call, 0
	.section	.AMDGPU.csdata,"",@progbits
; Kernel info:
; codeLenInByte = 0
; TotalNumSgprs: 0
; NumVgprs: 0
; ScratchSize: 0
; MemoryBound: 0
; FloatMode: 240
; IeeeMode: 1
; LDSByteSize: 0 bytes/workgroup (compile time only)
; SGPRBlocks: 0
; VGPRBlocks: 0
; NumSGPRsForWavesPerEU: 1
; NumVGPRsForWavesPerEU: 1
; Occupancy: 16
; WaveLimiterHint : 0
; COMPUTE_PGM_RSRC2:SCRATCH_EN: 0
; COMPUTE_PGM_RSRC2:USER_SGPR: 6
; COMPUTE_PGM_RSRC2:TRAP_HANDLER: 0
; COMPUTE_PGM_RSRC2:TGID_X_EN: 1
; COMPUTE_PGM_RSRC2:TGID_Y_EN: 0
; COMPUTE_PGM_RSRC2:TGID_Z_EN: 0
; COMPUTE_PGM_RSRC2:TIDIG_COMP_CNT: 0
	.section	.text._ZN7rocprim17ROCPRIM_400000_NS6detail17trampoline_kernelINS0_14default_configENS1_27scan_by_key_config_selectorIiiEEZZNS1_16scan_by_key_implILNS1_25lookback_scan_determinismE0ELb0ES3_PKiN6hipcub16HIPCUB_304000_NS21ConstantInputIteratorIilEEPiiNSB_3SumENSB_8EqualityEiEE10hipError_tPvRmT2_T3_T4_T5_mT6_T7_P12ihipStream_tbENKUlT_T0_E_clISt17integral_constantIbLb1EESX_EEDaSS_ST_EUlSS_E_NS1_11comp_targetILNS1_3genE10ELNS1_11target_archE1201ELNS1_3gpuE5ELNS1_3repE0EEENS1_30default_config_static_selectorELNS0_4arch9wavefront6targetE0EEEvT1_,"axG",@progbits,_ZN7rocprim17ROCPRIM_400000_NS6detail17trampoline_kernelINS0_14default_configENS1_27scan_by_key_config_selectorIiiEEZZNS1_16scan_by_key_implILNS1_25lookback_scan_determinismE0ELb0ES3_PKiN6hipcub16HIPCUB_304000_NS21ConstantInputIteratorIilEEPiiNSB_3SumENSB_8EqualityEiEE10hipError_tPvRmT2_T3_T4_T5_mT6_T7_P12ihipStream_tbENKUlT_T0_E_clISt17integral_constantIbLb1EESX_EEDaSS_ST_EUlSS_E_NS1_11comp_targetILNS1_3genE10ELNS1_11target_archE1201ELNS1_3gpuE5ELNS1_3repE0EEENS1_30default_config_static_selectorELNS0_4arch9wavefront6targetE0EEEvT1_,comdat
	.protected	_ZN7rocprim17ROCPRIM_400000_NS6detail17trampoline_kernelINS0_14default_configENS1_27scan_by_key_config_selectorIiiEEZZNS1_16scan_by_key_implILNS1_25lookback_scan_determinismE0ELb0ES3_PKiN6hipcub16HIPCUB_304000_NS21ConstantInputIteratorIilEEPiiNSB_3SumENSB_8EqualityEiEE10hipError_tPvRmT2_T3_T4_T5_mT6_T7_P12ihipStream_tbENKUlT_T0_E_clISt17integral_constantIbLb1EESX_EEDaSS_ST_EUlSS_E_NS1_11comp_targetILNS1_3genE10ELNS1_11target_archE1201ELNS1_3gpuE5ELNS1_3repE0EEENS1_30default_config_static_selectorELNS0_4arch9wavefront6targetE0EEEvT1_ ; -- Begin function _ZN7rocprim17ROCPRIM_400000_NS6detail17trampoline_kernelINS0_14default_configENS1_27scan_by_key_config_selectorIiiEEZZNS1_16scan_by_key_implILNS1_25lookback_scan_determinismE0ELb0ES3_PKiN6hipcub16HIPCUB_304000_NS21ConstantInputIteratorIilEEPiiNSB_3SumENSB_8EqualityEiEE10hipError_tPvRmT2_T3_T4_T5_mT6_T7_P12ihipStream_tbENKUlT_T0_E_clISt17integral_constantIbLb1EESX_EEDaSS_ST_EUlSS_E_NS1_11comp_targetILNS1_3genE10ELNS1_11target_archE1201ELNS1_3gpuE5ELNS1_3repE0EEENS1_30default_config_static_selectorELNS0_4arch9wavefront6targetE0EEEvT1_
	.globl	_ZN7rocprim17ROCPRIM_400000_NS6detail17trampoline_kernelINS0_14default_configENS1_27scan_by_key_config_selectorIiiEEZZNS1_16scan_by_key_implILNS1_25lookback_scan_determinismE0ELb0ES3_PKiN6hipcub16HIPCUB_304000_NS21ConstantInputIteratorIilEEPiiNSB_3SumENSB_8EqualityEiEE10hipError_tPvRmT2_T3_T4_T5_mT6_T7_P12ihipStream_tbENKUlT_T0_E_clISt17integral_constantIbLb1EESX_EEDaSS_ST_EUlSS_E_NS1_11comp_targetILNS1_3genE10ELNS1_11target_archE1201ELNS1_3gpuE5ELNS1_3repE0EEENS1_30default_config_static_selectorELNS0_4arch9wavefront6targetE0EEEvT1_
	.p2align	8
	.type	_ZN7rocprim17ROCPRIM_400000_NS6detail17trampoline_kernelINS0_14default_configENS1_27scan_by_key_config_selectorIiiEEZZNS1_16scan_by_key_implILNS1_25lookback_scan_determinismE0ELb0ES3_PKiN6hipcub16HIPCUB_304000_NS21ConstantInputIteratorIilEEPiiNSB_3SumENSB_8EqualityEiEE10hipError_tPvRmT2_T3_T4_T5_mT6_T7_P12ihipStream_tbENKUlT_T0_E_clISt17integral_constantIbLb1EESX_EEDaSS_ST_EUlSS_E_NS1_11comp_targetILNS1_3genE10ELNS1_11target_archE1201ELNS1_3gpuE5ELNS1_3repE0EEENS1_30default_config_static_selectorELNS0_4arch9wavefront6targetE0EEEvT1_,@function
_ZN7rocprim17ROCPRIM_400000_NS6detail17trampoline_kernelINS0_14default_configENS1_27scan_by_key_config_selectorIiiEEZZNS1_16scan_by_key_implILNS1_25lookback_scan_determinismE0ELb0ES3_PKiN6hipcub16HIPCUB_304000_NS21ConstantInputIteratorIilEEPiiNSB_3SumENSB_8EqualityEiEE10hipError_tPvRmT2_T3_T4_T5_mT6_T7_P12ihipStream_tbENKUlT_T0_E_clISt17integral_constantIbLb1EESX_EEDaSS_ST_EUlSS_E_NS1_11comp_targetILNS1_3genE10ELNS1_11target_archE1201ELNS1_3gpuE5ELNS1_3repE0EEENS1_30default_config_static_selectorELNS0_4arch9wavefront6targetE0EEEvT1_: ; @_ZN7rocprim17ROCPRIM_400000_NS6detail17trampoline_kernelINS0_14default_configENS1_27scan_by_key_config_selectorIiiEEZZNS1_16scan_by_key_implILNS1_25lookback_scan_determinismE0ELb0ES3_PKiN6hipcub16HIPCUB_304000_NS21ConstantInputIteratorIilEEPiiNSB_3SumENSB_8EqualityEiEE10hipError_tPvRmT2_T3_T4_T5_mT6_T7_P12ihipStream_tbENKUlT_T0_E_clISt17integral_constantIbLb1EESX_EEDaSS_ST_EUlSS_E_NS1_11comp_targetILNS1_3genE10ELNS1_11target_archE1201ELNS1_3gpuE5ELNS1_3repE0EEENS1_30default_config_static_selectorELNS0_4arch9wavefront6targetE0EEEvT1_
; %bb.0:
	.section	.rodata,"a",@progbits
	.p2align	6, 0x0
	.amdhsa_kernel _ZN7rocprim17ROCPRIM_400000_NS6detail17trampoline_kernelINS0_14default_configENS1_27scan_by_key_config_selectorIiiEEZZNS1_16scan_by_key_implILNS1_25lookback_scan_determinismE0ELb0ES3_PKiN6hipcub16HIPCUB_304000_NS21ConstantInputIteratorIilEEPiiNSB_3SumENSB_8EqualityEiEE10hipError_tPvRmT2_T3_T4_T5_mT6_T7_P12ihipStream_tbENKUlT_T0_E_clISt17integral_constantIbLb1EESX_EEDaSS_ST_EUlSS_E_NS1_11comp_targetILNS1_3genE10ELNS1_11target_archE1201ELNS1_3gpuE5ELNS1_3repE0EEENS1_30default_config_static_selectorELNS0_4arch9wavefront6targetE0EEEvT1_
		.amdhsa_group_segment_fixed_size 0
		.amdhsa_private_segment_fixed_size 0
		.amdhsa_kernarg_size 120
		.amdhsa_user_sgpr_count 6
		.amdhsa_user_sgpr_private_segment_buffer 1
		.amdhsa_user_sgpr_dispatch_ptr 0
		.amdhsa_user_sgpr_queue_ptr 0
		.amdhsa_user_sgpr_kernarg_segment_ptr 1
		.amdhsa_user_sgpr_dispatch_id 0
		.amdhsa_user_sgpr_flat_scratch_init 0
		.amdhsa_user_sgpr_private_segment_size 0
		.amdhsa_wavefront_size32 1
		.amdhsa_uses_dynamic_stack 0
		.amdhsa_system_sgpr_private_segment_wavefront_offset 0
		.amdhsa_system_sgpr_workgroup_id_x 1
		.amdhsa_system_sgpr_workgroup_id_y 0
		.amdhsa_system_sgpr_workgroup_id_z 0
		.amdhsa_system_sgpr_workgroup_info 0
		.amdhsa_system_vgpr_workitem_id 0
		.amdhsa_next_free_vgpr 1
		.amdhsa_next_free_sgpr 1
		.amdhsa_reserve_vcc 0
		.amdhsa_reserve_flat_scratch 0
		.amdhsa_float_round_mode_32 0
		.amdhsa_float_round_mode_16_64 0
		.amdhsa_float_denorm_mode_32 3
		.amdhsa_float_denorm_mode_16_64 3
		.amdhsa_dx10_clamp 1
		.amdhsa_ieee_mode 1
		.amdhsa_fp16_overflow 0
		.amdhsa_workgroup_processor_mode 1
		.amdhsa_memory_ordered 1
		.amdhsa_forward_progress 1
		.amdhsa_shared_vgpr_count 0
		.amdhsa_exception_fp_ieee_invalid_op 0
		.amdhsa_exception_fp_denorm_src 0
		.amdhsa_exception_fp_ieee_div_zero 0
		.amdhsa_exception_fp_ieee_overflow 0
		.amdhsa_exception_fp_ieee_underflow 0
		.amdhsa_exception_fp_ieee_inexact 0
		.amdhsa_exception_int_div_zero 0
	.end_amdhsa_kernel
	.section	.text._ZN7rocprim17ROCPRIM_400000_NS6detail17trampoline_kernelINS0_14default_configENS1_27scan_by_key_config_selectorIiiEEZZNS1_16scan_by_key_implILNS1_25lookback_scan_determinismE0ELb0ES3_PKiN6hipcub16HIPCUB_304000_NS21ConstantInputIteratorIilEEPiiNSB_3SumENSB_8EqualityEiEE10hipError_tPvRmT2_T3_T4_T5_mT6_T7_P12ihipStream_tbENKUlT_T0_E_clISt17integral_constantIbLb1EESX_EEDaSS_ST_EUlSS_E_NS1_11comp_targetILNS1_3genE10ELNS1_11target_archE1201ELNS1_3gpuE5ELNS1_3repE0EEENS1_30default_config_static_selectorELNS0_4arch9wavefront6targetE0EEEvT1_,"axG",@progbits,_ZN7rocprim17ROCPRIM_400000_NS6detail17trampoline_kernelINS0_14default_configENS1_27scan_by_key_config_selectorIiiEEZZNS1_16scan_by_key_implILNS1_25lookback_scan_determinismE0ELb0ES3_PKiN6hipcub16HIPCUB_304000_NS21ConstantInputIteratorIilEEPiiNSB_3SumENSB_8EqualityEiEE10hipError_tPvRmT2_T3_T4_T5_mT6_T7_P12ihipStream_tbENKUlT_T0_E_clISt17integral_constantIbLb1EESX_EEDaSS_ST_EUlSS_E_NS1_11comp_targetILNS1_3genE10ELNS1_11target_archE1201ELNS1_3gpuE5ELNS1_3repE0EEENS1_30default_config_static_selectorELNS0_4arch9wavefront6targetE0EEEvT1_,comdat
.Lfunc_end22:
	.size	_ZN7rocprim17ROCPRIM_400000_NS6detail17trampoline_kernelINS0_14default_configENS1_27scan_by_key_config_selectorIiiEEZZNS1_16scan_by_key_implILNS1_25lookback_scan_determinismE0ELb0ES3_PKiN6hipcub16HIPCUB_304000_NS21ConstantInputIteratorIilEEPiiNSB_3SumENSB_8EqualityEiEE10hipError_tPvRmT2_T3_T4_T5_mT6_T7_P12ihipStream_tbENKUlT_T0_E_clISt17integral_constantIbLb1EESX_EEDaSS_ST_EUlSS_E_NS1_11comp_targetILNS1_3genE10ELNS1_11target_archE1201ELNS1_3gpuE5ELNS1_3repE0EEENS1_30default_config_static_selectorELNS0_4arch9wavefront6targetE0EEEvT1_, .Lfunc_end22-_ZN7rocprim17ROCPRIM_400000_NS6detail17trampoline_kernelINS0_14default_configENS1_27scan_by_key_config_selectorIiiEEZZNS1_16scan_by_key_implILNS1_25lookback_scan_determinismE0ELb0ES3_PKiN6hipcub16HIPCUB_304000_NS21ConstantInputIteratorIilEEPiiNSB_3SumENSB_8EqualityEiEE10hipError_tPvRmT2_T3_T4_T5_mT6_T7_P12ihipStream_tbENKUlT_T0_E_clISt17integral_constantIbLb1EESX_EEDaSS_ST_EUlSS_E_NS1_11comp_targetILNS1_3genE10ELNS1_11target_archE1201ELNS1_3gpuE5ELNS1_3repE0EEENS1_30default_config_static_selectorELNS0_4arch9wavefront6targetE0EEEvT1_
                                        ; -- End function
	.set _ZN7rocprim17ROCPRIM_400000_NS6detail17trampoline_kernelINS0_14default_configENS1_27scan_by_key_config_selectorIiiEEZZNS1_16scan_by_key_implILNS1_25lookback_scan_determinismE0ELb0ES3_PKiN6hipcub16HIPCUB_304000_NS21ConstantInputIteratorIilEEPiiNSB_3SumENSB_8EqualityEiEE10hipError_tPvRmT2_T3_T4_T5_mT6_T7_P12ihipStream_tbENKUlT_T0_E_clISt17integral_constantIbLb1EESX_EEDaSS_ST_EUlSS_E_NS1_11comp_targetILNS1_3genE10ELNS1_11target_archE1201ELNS1_3gpuE5ELNS1_3repE0EEENS1_30default_config_static_selectorELNS0_4arch9wavefront6targetE0EEEvT1_.num_vgpr, 0
	.set _ZN7rocprim17ROCPRIM_400000_NS6detail17trampoline_kernelINS0_14default_configENS1_27scan_by_key_config_selectorIiiEEZZNS1_16scan_by_key_implILNS1_25lookback_scan_determinismE0ELb0ES3_PKiN6hipcub16HIPCUB_304000_NS21ConstantInputIteratorIilEEPiiNSB_3SumENSB_8EqualityEiEE10hipError_tPvRmT2_T3_T4_T5_mT6_T7_P12ihipStream_tbENKUlT_T0_E_clISt17integral_constantIbLb1EESX_EEDaSS_ST_EUlSS_E_NS1_11comp_targetILNS1_3genE10ELNS1_11target_archE1201ELNS1_3gpuE5ELNS1_3repE0EEENS1_30default_config_static_selectorELNS0_4arch9wavefront6targetE0EEEvT1_.num_agpr, 0
	.set _ZN7rocprim17ROCPRIM_400000_NS6detail17trampoline_kernelINS0_14default_configENS1_27scan_by_key_config_selectorIiiEEZZNS1_16scan_by_key_implILNS1_25lookback_scan_determinismE0ELb0ES3_PKiN6hipcub16HIPCUB_304000_NS21ConstantInputIteratorIilEEPiiNSB_3SumENSB_8EqualityEiEE10hipError_tPvRmT2_T3_T4_T5_mT6_T7_P12ihipStream_tbENKUlT_T0_E_clISt17integral_constantIbLb1EESX_EEDaSS_ST_EUlSS_E_NS1_11comp_targetILNS1_3genE10ELNS1_11target_archE1201ELNS1_3gpuE5ELNS1_3repE0EEENS1_30default_config_static_selectorELNS0_4arch9wavefront6targetE0EEEvT1_.numbered_sgpr, 0
	.set _ZN7rocprim17ROCPRIM_400000_NS6detail17trampoline_kernelINS0_14default_configENS1_27scan_by_key_config_selectorIiiEEZZNS1_16scan_by_key_implILNS1_25lookback_scan_determinismE0ELb0ES3_PKiN6hipcub16HIPCUB_304000_NS21ConstantInputIteratorIilEEPiiNSB_3SumENSB_8EqualityEiEE10hipError_tPvRmT2_T3_T4_T5_mT6_T7_P12ihipStream_tbENKUlT_T0_E_clISt17integral_constantIbLb1EESX_EEDaSS_ST_EUlSS_E_NS1_11comp_targetILNS1_3genE10ELNS1_11target_archE1201ELNS1_3gpuE5ELNS1_3repE0EEENS1_30default_config_static_selectorELNS0_4arch9wavefront6targetE0EEEvT1_.num_named_barrier, 0
	.set _ZN7rocprim17ROCPRIM_400000_NS6detail17trampoline_kernelINS0_14default_configENS1_27scan_by_key_config_selectorIiiEEZZNS1_16scan_by_key_implILNS1_25lookback_scan_determinismE0ELb0ES3_PKiN6hipcub16HIPCUB_304000_NS21ConstantInputIteratorIilEEPiiNSB_3SumENSB_8EqualityEiEE10hipError_tPvRmT2_T3_T4_T5_mT6_T7_P12ihipStream_tbENKUlT_T0_E_clISt17integral_constantIbLb1EESX_EEDaSS_ST_EUlSS_E_NS1_11comp_targetILNS1_3genE10ELNS1_11target_archE1201ELNS1_3gpuE5ELNS1_3repE0EEENS1_30default_config_static_selectorELNS0_4arch9wavefront6targetE0EEEvT1_.private_seg_size, 0
	.set _ZN7rocprim17ROCPRIM_400000_NS6detail17trampoline_kernelINS0_14default_configENS1_27scan_by_key_config_selectorIiiEEZZNS1_16scan_by_key_implILNS1_25lookback_scan_determinismE0ELb0ES3_PKiN6hipcub16HIPCUB_304000_NS21ConstantInputIteratorIilEEPiiNSB_3SumENSB_8EqualityEiEE10hipError_tPvRmT2_T3_T4_T5_mT6_T7_P12ihipStream_tbENKUlT_T0_E_clISt17integral_constantIbLb1EESX_EEDaSS_ST_EUlSS_E_NS1_11comp_targetILNS1_3genE10ELNS1_11target_archE1201ELNS1_3gpuE5ELNS1_3repE0EEENS1_30default_config_static_selectorELNS0_4arch9wavefront6targetE0EEEvT1_.uses_vcc, 0
	.set _ZN7rocprim17ROCPRIM_400000_NS6detail17trampoline_kernelINS0_14default_configENS1_27scan_by_key_config_selectorIiiEEZZNS1_16scan_by_key_implILNS1_25lookback_scan_determinismE0ELb0ES3_PKiN6hipcub16HIPCUB_304000_NS21ConstantInputIteratorIilEEPiiNSB_3SumENSB_8EqualityEiEE10hipError_tPvRmT2_T3_T4_T5_mT6_T7_P12ihipStream_tbENKUlT_T0_E_clISt17integral_constantIbLb1EESX_EEDaSS_ST_EUlSS_E_NS1_11comp_targetILNS1_3genE10ELNS1_11target_archE1201ELNS1_3gpuE5ELNS1_3repE0EEENS1_30default_config_static_selectorELNS0_4arch9wavefront6targetE0EEEvT1_.uses_flat_scratch, 0
	.set _ZN7rocprim17ROCPRIM_400000_NS6detail17trampoline_kernelINS0_14default_configENS1_27scan_by_key_config_selectorIiiEEZZNS1_16scan_by_key_implILNS1_25lookback_scan_determinismE0ELb0ES3_PKiN6hipcub16HIPCUB_304000_NS21ConstantInputIteratorIilEEPiiNSB_3SumENSB_8EqualityEiEE10hipError_tPvRmT2_T3_T4_T5_mT6_T7_P12ihipStream_tbENKUlT_T0_E_clISt17integral_constantIbLb1EESX_EEDaSS_ST_EUlSS_E_NS1_11comp_targetILNS1_3genE10ELNS1_11target_archE1201ELNS1_3gpuE5ELNS1_3repE0EEENS1_30default_config_static_selectorELNS0_4arch9wavefront6targetE0EEEvT1_.has_dyn_sized_stack, 0
	.set _ZN7rocprim17ROCPRIM_400000_NS6detail17trampoline_kernelINS0_14default_configENS1_27scan_by_key_config_selectorIiiEEZZNS1_16scan_by_key_implILNS1_25lookback_scan_determinismE0ELb0ES3_PKiN6hipcub16HIPCUB_304000_NS21ConstantInputIteratorIilEEPiiNSB_3SumENSB_8EqualityEiEE10hipError_tPvRmT2_T3_T4_T5_mT6_T7_P12ihipStream_tbENKUlT_T0_E_clISt17integral_constantIbLb1EESX_EEDaSS_ST_EUlSS_E_NS1_11comp_targetILNS1_3genE10ELNS1_11target_archE1201ELNS1_3gpuE5ELNS1_3repE0EEENS1_30default_config_static_selectorELNS0_4arch9wavefront6targetE0EEEvT1_.has_recursion, 0
	.set _ZN7rocprim17ROCPRIM_400000_NS6detail17trampoline_kernelINS0_14default_configENS1_27scan_by_key_config_selectorIiiEEZZNS1_16scan_by_key_implILNS1_25lookback_scan_determinismE0ELb0ES3_PKiN6hipcub16HIPCUB_304000_NS21ConstantInputIteratorIilEEPiiNSB_3SumENSB_8EqualityEiEE10hipError_tPvRmT2_T3_T4_T5_mT6_T7_P12ihipStream_tbENKUlT_T0_E_clISt17integral_constantIbLb1EESX_EEDaSS_ST_EUlSS_E_NS1_11comp_targetILNS1_3genE10ELNS1_11target_archE1201ELNS1_3gpuE5ELNS1_3repE0EEENS1_30default_config_static_selectorELNS0_4arch9wavefront6targetE0EEEvT1_.has_indirect_call, 0
	.section	.AMDGPU.csdata,"",@progbits
; Kernel info:
; codeLenInByte = 0
; TotalNumSgprs: 0
; NumVgprs: 0
; ScratchSize: 0
; MemoryBound: 0
; FloatMode: 240
; IeeeMode: 1
; LDSByteSize: 0 bytes/workgroup (compile time only)
; SGPRBlocks: 0
; VGPRBlocks: 0
; NumSGPRsForWavesPerEU: 1
; NumVGPRsForWavesPerEU: 1
; Occupancy: 16
; WaveLimiterHint : 0
; COMPUTE_PGM_RSRC2:SCRATCH_EN: 0
; COMPUTE_PGM_RSRC2:USER_SGPR: 6
; COMPUTE_PGM_RSRC2:TRAP_HANDLER: 0
; COMPUTE_PGM_RSRC2:TGID_X_EN: 1
; COMPUTE_PGM_RSRC2:TGID_Y_EN: 0
; COMPUTE_PGM_RSRC2:TGID_Z_EN: 0
; COMPUTE_PGM_RSRC2:TIDIG_COMP_CNT: 0
	.section	.text._ZN7rocprim17ROCPRIM_400000_NS6detail17trampoline_kernelINS0_14default_configENS1_27scan_by_key_config_selectorIiiEEZZNS1_16scan_by_key_implILNS1_25lookback_scan_determinismE0ELb0ES3_PKiN6hipcub16HIPCUB_304000_NS21ConstantInputIteratorIilEEPiiNSB_3SumENSB_8EqualityEiEE10hipError_tPvRmT2_T3_T4_T5_mT6_T7_P12ihipStream_tbENKUlT_T0_E_clISt17integral_constantIbLb1EESX_EEDaSS_ST_EUlSS_E_NS1_11comp_targetILNS1_3genE5ELNS1_11target_archE942ELNS1_3gpuE9ELNS1_3repE0EEENS1_30default_config_static_selectorELNS0_4arch9wavefront6targetE0EEEvT1_,"axG",@progbits,_ZN7rocprim17ROCPRIM_400000_NS6detail17trampoline_kernelINS0_14default_configENS1_27scan_by_key_config_selectorIiiEEZZNS1_16scan_by_key_implILNS1_25lookback_scan_determinismE0ELb0ES3_PKiN6hipcub16HIPCUB_304000_NS21ConstantInputIteratorIilEEPiiNSB_3SumENSB_8EqualityEiEE10hipError_tPvRmT2_T3_T4_T5_mT6_T7_P12ihipStream_tbENKUlT_T0_E_clISt17integral_constantIbLb1EESX_EEDaSS_ST_EUlSS_E_NS1_11comp_targetILNS1_3genE5ELNS1_11target_archE942ELNS1_3gpuE9ELNS1_3repE0EEENS1_30default_config_static_selectorELNS0_4arch9wavefront6targetE0EEEvT1_,comdat
	.protected	_ZN7rocprim17ROCPRIM_400000_NS6detail17trampoline_kernelINS0_14default_configENS1_27scan_by_key_config_selectorIiiEEZZNS1_16scan_by_key_implILNS1_25lookback_scan_determinismE0ELb0ES3_PKiN6hipcub16HIPCUB_304000_NS21ConstantInputIteratorIilEEPiiNSB_3SumENSB_8EqualityEiEE10hipError_tPvRmT2_T3_T4_T5_mT6_T7_P12ihipStream_tbENKUlT_T0_E_clISt17integral_constantIbLb1EESX_EEDaSS_ST_EUlSS_E_NS1_11comp_targetILNS1_3genE5ELNS1_11target_archE942ELNS1_3gpuE9ELNS1_3repE0EEENS1_30default_config_static_selectorELNS0_4arch9wavefront6targetE0EEEvT1_ ; -- Begin function _ZN7rocprim17ROCPRIM_400000_NS6detail17trampoline_kernelINS0_14default_configENS1_27scan_by_key_config_selectorIiiEEZZNS1_16scan_by_key_implILNS1_25lookback_scan_determinismE0ELb0ES3_PKiN6hipcub16HIPCUB_304000_NS21ConstantInputIteratorIilEEPiiNSB_3SumENSB_8EqualityEiEE10hipError_tPvRmT2_T3_T4_T5_mT6_T7_P12ihipStream_tbENKUlT_T0_E_clISt17integral_constantIbLb1EESX_EEDaSS_ST_EUlSS_E_NS1_11comp_targetILNS1_3genE5ELNS1_11target_archE942ELNS1_3gpuE9ELNS1_3repE0EEENS1_30default_config_static_selectorELNS0_4arch9wavefront6targetE0EEEvT1_
	.globl	_ZN7rocprim17ROCPRIM_400000_NS6detail17trampoline_kernelINS0_14default_configENS1_27scan_by_key_config_selectorIiiEEZZNS1_16scan_by_key_implILNS1_25lookback_scan_determinismE0ELb0ES3_PKiN6hipcub16HIPCUB_304000_NS21ConstantInputIteratorIilEEPiiNSB_3SumENSB_8EqualityEiEE10hipError_tPvRmT2_T3_T4_T5_mT6_T7_P12ihipStream_tbENKUlT_T0_E_clISt17integral_constantIbLb1EESX_EEDaSS_ST_EUlSS_E_NS1_11comp_targetILNS1_3genE5ELNS1_11target_archE942ELNS1_3gpuE9ELNS1_3repE0EEENS1_30default_config_static_selectorELNS0_4arch9wavefront6targetE0EEEvT1_
	.p2align	8
	.type	_ZN7rocprim17ROCPRIM_400000_NS6detail17trampoline_kernelINS0_14default_configENS1_27scan_by_key_config_selectorIiiEEZZNS1_16scan_by_key_implILNS1_25lookback_scan_determinismE0ELb0ES3_PKiN6hipcub16HIPCUB_304000_NS21ConstantInputIteratorIilEEPiiNSB_3SumENSB_8EqualityEiEE10hipError_tPvRmT2_T3_T4_T5_mT6_T7_P12ihipStream_tbENKUlT_T0_E_clISt17integral_constantIbLb1EESX_EEDaSS_ST_EUlSS_E_NS1_11comp_targetILNS1_3genE5ELNS1_11target_archE942ELNS1_3gpuE9ELNS1_3repE0EEENS1_30default_config_static_selectorELNS0_4arch9wavefront6targetE0EEEvT1_,@function
_ZN7rocprim17ROCPRIM_400000_NS6detail17trampoline_kernelINS0_14default_configENS1_27scan_by_key_config_selectorIiiEEZZNS1_16scan_by_key_implILNS1_25lookback_scan_determinismE0ELb0ES3_PKiN6hipcub16HIPCUB_304000_NS21ConstantInputIteratorIilEEPiiNSB_3SumENSB_8EqualityEiEE10hipError_tPvRmT2_T3_T4_T5_mT6_T7_P12ihipStream_tbENKUlT_T0_E_clISt17integral_constantIbLb1EESX_EEDaSS_ST_EUlSS_E_NS1_11comp_targetILNS1_3genE5ELNS1_11target_archE942ELNS1_3gpuE9ELNS1_3repE0EEENS1_30default_config_static_selectorELNS0_4arch9wavefront6targetE0EEEvT1_: ; @_ZN7rocprim17ROCPRIM_400000_NS6detail17trampoline_kernelINS0_14default_configENS1_27scan_by_key_config_selectorIiiEEZZNS1_16scan_by_key_implILNS1_25lookback_scan_determinismE0ELb0ES3_PKiN6hipcub16HIPCUB_304000_NS21ConstantInputIteratorIilEEPiiNSB_3SumENSB_8EqualityEiEE10hipError_tPvRmT2_T3_T4_T5_mT6_T7_P12ihipStream_tbENKUlT_T0_E_clISt17integral_constantIbLb1EESX_EEDaSS_ST_EUlSS_E_NS1_11comp_targetILNS1_3genE5ELNS1_11target_archE942ELNS1_3gpuE9ELNS1_3repE0EEENS1_30default_config_static_selectorELNS0_4arch9wavefront6targetE0EEEvT1_
; %bb.0:
	.section	.rodata,"a",@progbits
	.p2align	6, 0x0
	.amdhsa_kernel _ZN7rocprim17ROCPRIM_400000_NS6detail17trampoline_kernelINS0_14default_configENS1_27scan_by_key_config_selectorIiiEEZZNS1_16scan_by_key_implILNS1_25lookback_scan_determinismE0ELb0ES3_PKiN6hipcub16HIPCUB_304000_NS21ConstantInputIteratorIilEEPiiNSB_3SumENSB_8EqualityEiEE10hipError_tPvRmT2_T3_T4_T5_mT6_T7_P12ihipStream_tbENKUlT_T0_E_clISt17integral_constantIbLb1EESX_EEDaSS_ST_EUlSS_E_NS1_11comp_targetILNS1_3genE5ELNS1_11target_archE942ELNS1_3gpuE9ELNS1_3repE0EEENS1_30default_config_static_selectorELNS0_4arch9wavefront6targetE0EEEvT1_
		.amdhsa_group_segment_fixed_size 0
		.amdhsa_private_segment_fixed_size 0
		.amdhsa_kernarg_size 120
		.amdhsa_user_sgpr_count 6
		.amdhsa_user_sgpr_private_segment_buffer 1
		.amdhsa_user_sgpr_dispatch_ptr 0
		.amdhsa_user_sgpr_queue_ptr 0
		.amdhsa_user_sgpr_kernarg_segment_ptr 1
		.amdhsa_user_sgpr_dispatch_id 0
		.amdhsa_user_sgpr_flat_scratch_init 0
		.amdhsa_user_sgpr_private_segment_size 0
		.amdhsa_wavefront_size32 1
		.amdhsa_uses_dynamic_stack 0
		.amdhsa_system_sgpr_private_segment_wavefront_offset 0
		.amdhsa_system_sgpr_workgroup_id_x 1
		.amdhsa_system_sgpr_workgroup_id_y 0
		.amdhsa_system_sgpr_workgroup_id_z 0
		.amdhsa_system_sgpr_workgroup_info 0
		.amdhsa_system_vgpr_workitem_id 0
		.amdhsa_next_free_vgpr 1
		.amdhsa_next_free_sgpr 1
		.amdhsa_reserve_vcc 0
		.amdhsa_reserve_flat_scratch 0
		.amdhsa_float_round_mode_32 0
		.amdhsa_float_round_mode_16_64 0
		.amdhsa_float_denorm_mode_32 3
		.amdhsa_float_denorm_mode_16_64 3
		.amdhsa_dx10_clamp 1
		.amdhsa_ieee_mode 1
		.amdhsa_fp16_overflow 0
		.amdhsa_workgroup_processor_mode 1
		.amdhsa_memory_ordered 1
		.amdhsa_forward_progress 1
		.amdhsa_shared_vgpr_count 0
		.amdhsa_exception_fp_ieee_invalid_op 0
		.amdhsa_exception_fp_denorm_src 0
		.amdhsa_exception_fp_ieee_div_zero 0
		.amdhsa_exception_fp_ieee_overflow 0
		.amdhsa_exception_fp_ieee_underflow 0
		.amdhsa_exception_fp_ieee_inexact 0
		.amdhsa_exception_int_div_zero 0
	.end_amdhsa_kernel
	.section	.text._ZN7rocprim17ROCPRIM_400000_NS6detail17trampoline_kernelINS0_14default_configENS1_27scan_by_key_config_selectorIiiEEZZNS1_16scan_by_key_implILNS1_25lookback_scan_determinismE0ELb0ES3_PKiN6hipcub16HIPCUB_304000_NS21ConstantInputIteratorIilEEPiiNSB_3SumENSB_8EqualityEiEE10hipError_tPvRmT2_T3_T4_T5_mT6_T7_P12ihipStream_tbENKUlT_T0_E_clISt17integral_constantIbLb1EESX_EEDaSS_ST_EUlSS_E_NS1_11comp_targetILNS1_3genE5ELNS1_11target_archE942ELNS1_3gpuE9ELNS1_3repE0EEENS1_30default_config_static_selectorELNS0_4arch9wavefront6targetE0EEEvT1_,"axG",@progbits,_ZN7rocprim17ROCPRIM_400000_NS6detail17trampoline_kernelINS0_14default_configENS1_27scan_by_key_config_selectorIiiEEZZNS1_16scan_by_key_implILNS1_25lookback_scan_determinismE0ELb0ES3_PKiN6hipcub16HIPCUB_304000_NS21ConstantInputIteratorIilEEPiiNSB_3SumENSB_8EqualityEiEE10hipError_tPvRmT2_T3_T4_T5_mT6_T7_P12ihipStream_tbENKUlT_T0_E_clISt17integral_constantIbLb1EESX_EEDaSS_ST_EUlSS_E_NS1_11comp_targetILNS1_3genE5ELNS1_11target_archE942ELNS1_3gpuE9ELNS1_3repE0EEENS1_30default_config_static_selectorELNS0_4arch9wavefront6targetE0EEEvT1_,comdat
.Lfunc_end23:
	.size	_ZN7rocprim17ROCPRIM_400000_NS6detail17trampoline_kernelINS0_14default_configENS1_27scan_by_key_config_selectorIiiEEZZNS1_16scan_by_key_implILNS1_25lookback_scan_determinismE0ELb0ES3_PKiN6hipcub16HIPCUB_304000_NS21ConstantInputIteratorIilEEPiiNSB_3SumENSB_8EqualityEiEE10hipError_tPvRmT2_T3_T4_T5_mT6_T7_P12ihipStream_tbENKUlT_T0_E_clISt17integral_constantIbLb1EESX_EEDaSS_ST_EUlSS_E_NS1_11comp_targetILNS1_3genE5ELNS1_11target_archE942ELNS1_3gpuE9ELNS1_3repE0EEENS1_30default_config_static_selectorELNS0_4arch9wavefront6targetE0EEEvT1_, .Lfunc_end23-_ZN7rocprim17ROCPRIM_400000_NS6detail17trampoline_kernelINS0_14default_configENS1_27scan_by_key_config_selectorIiiEEZZNS1_16scan_by_key_implILNS1_25lookback_scan_determinismE0ELb0ES3_PKiN6hipcub16HIPCUB_304000_NS21ConstantInputIteratorIilEEPiiNSB_3SumENSB_8EqualityEiEE10hipError_tPvRmT2_T3_T4_T5_mT6_T7_P12ihipStream_tbENKUlT_T0_E_clISt17integral_constantIbLb1EESX_EEDaSS_ST_EUlSS_E_NS1_11comp_targetILNS1_3genE5ELNS1_11target_archE942ELNS1_3gpuE9ELNS1_3repE0EEENS1_30default_config_static_selectorELNS0_4arch9wavefront6targetE0EEEvT1_
                                        ; -- End function
	.set _ZN7rocprim17ROCPRIM_400000_NS6detail17trampoline_kernelINS0_14default_configENS1_27scan_by_key_config_selectorIiiEEZZNS1_16scan_by_key_implILNS1_25lookback_scan_determinismE0ELb0ES3_PKiN6hipcub16HIPCUB_304000_NS21ConstantInputIteratorIilEEPiiNSB_3SumENSB_8EqualityEiEE10hipError_tPvRmT2_T3_T4_T5_mT6_T7_P12ihipStream_tbENKUlT_T0_E_clISt17integral_constantIbLb1EESX_EEDaSS_ST_EUlSS_E_NS1_11comp_targetILNS1_3genE5ELNS1_11target_archE942ELNS1_3gpuE9ELNS1_3repE0EEENS1_30default_config_static_selectorELNS0_4arch9wavefront6targetE0EEEvT1_.num_vgpr, 0
	.set _ZN7rocprim17ROCPRIM_400000_NS6detail17trampoline_kernelINS0_14default_configENS1_27scan_by_key_config_selectorIiiEEZZNS1_16scan_by_key_implILNS1_25lookback_scan_determinismE0ELb0ES3_PKiN6hipcub16HIPCUB_304000_NS21ConstantInputIteratorIilEEPiiNSB_3SumENSB_8EqualityEiEE10hipError_tPvRmT2_T3_T4_T5_mT6_T7_P12ihipStream_tbENKUlT_T0_E_clISt17integral_constantIbLb1EESX_EEDaSS_ST_EUlSS_E_NS1_11comp_targetILNS1_3genE5ELNS1_11target_archE942ELNS1_3gpuE9ELNS1_3repE0EEENS1_30default_config_static_selectorELNS0_4arch9wavefront6targetE0EEEvT1_.num_agpr, 0
	.set _ZN7rocprim17ROCPRIM_400000_NS6detail17trampoline_kernelINS0_14default_configENS1_27scan_by_key_config_selectorIiiEEZZNS1_16scan_by_key_implILNS1_25lookback_scan_determinismE0ELb0ES3_PKiN6hipcub16HIPCUB_304000_NS21ConstantInputIteratorIilEEPiiNSB_3SumENSB_8EqualityEiEE10hipError_tPvRmT2_T3_T4_T5_mT6_T7_P12ihipStream_tbENKUlT_T0_E_clISt17integral_constantIbLb1EESX_EEDaSS_ST_EUlSS_E_NS1_11comp_targetILNS1_3genE5ELNS1_11target_archE942ELNS1_3gpuE9ELNS1_3repE0EEENS1_30default_config_static_selectorELNS0_4arch9wavefront6targetE0EEEvT1_.numbered_sgpr, 0
	.set _ZN7rocprim17ROCPRIM_400000_NS6detail17trampoline_kernelINS0_14default_configENS1_27scan_by_key_config_selectorIiiEEZZNS1_16scan_by_key_implILNS1_25lookback_scan_determinismE0ELb0ES3_PKiN6hipcub16HIPCUB_304000_NS21ConstantInputIteratorIilEEPiiNSB_3SumENSB_8EqualityEiEE10hipError_tPvRmT2_T3_T4_T5_mT6_T7_P12ihipStream_tbENKUlT_T0_E_clISt17integral_constantIbLb1EESX_EEDaSS_ST_EUlSS_E_NS1_11comp_targetILNS1_3genE5ELNS1_11target_archE942ELNS1_3gpuE9ELNS1_3repE0EEENS1_30default_config_static_selectorELNS0_4arch9wavefront6targetE0EEEvT1_.num_named_barrier, 0
	.set _ZN7rocprim17ROCPRIM_400000_NS6detail17trampoline_kernelINS0_14default_configENS1_27scan_by_key_config_selectorIiiEEZZNS1_16scan_by_key_implILNS1_25lookback_scan_determinismE0ELb0ES3_PKiN6hipcub16HIPCUB_304000_NS21ConstantInputIteratorIilEEPiiNSB_3SumENSB_8EqualityEiEE10hipError_tPvRmT2_T3_T4_T5_mT6_T7_P12ihipStream_tbENKUlT_T0_E_clISt17integral_constantIbLb1EESX_EEDaSS_ST_EUlSS_E_NS1_11comp_targetILNS1_3genE5ELNS1_11target_archE942ELNS1_3gpuE9ELNS1_3repE0EEENS1_30default_config_static_selectorELNS0_4arch9wavefront6targetE0EEEvT1_.private_seg_size, 0
	.set _ZN7rocprim17ROCPRIM_400000_NS6detail17trampoline_kernelINS0_14default_configENS1_27scan_by_key_config_selectorIiiEEZZNS1_16scan_by_key_implILNS1_25lookback_scan_determinismE0ELb0ES3_PKiN6hipcub16HIPCUB_304000_NS21ConstantInputIteratorIilEEPiiNSB_3SumENSB_8EqualityEiEE10hipError_tPvRmT2_T3_T4_T5_mT6_T7_P12ihipStream_tbENKUlT_T0_E_clISt17integral_constantIbLb1EESX_EEDaSS_ST_EUlSS_E_NS1_11comp_targetILNS1_3genE5ELNS1_11target_archE942ELNS1_3gpuE9ELNS1_3repE0EEENS1_30default_config_static_selectorELNS0_4arch9wavefront6targetE0EEEvT1_.uses_vcc, 0
	.set _ZN7rocprim17ROCPRIM_400000_NS6detail17trampoline_kernelINS0_14default_configENS1_27scan_by_key_config_selectorIiiEEZZNS1_16scan_by_key_implILNS1_25lookback_scan_determinismE0ELb0ES3_PKiN6hipcub16HIPCUB_304000_NS21ConstantInputIteratorIilEEPiiNSB_3SumENSB_8EqualityEiEE10hipError_tPvRmT2_T3_T4_T5_mT6_T7_P12ihipStream_tbENKUlT_T0_E_clISt17integral_constantIbLb1EESX_EEDaSS_ST_EUlSS_E_NS1_11comp_targetILNS1_3genE5ELNS1_11target_archE942ELNS1_3gpuE9ELNS1_3repE0EEENS1_30default_config_static_selectorELNS0_4arch9wavefront6targetE0EEEvT1_.uses_flat_scratch, 0
	.set _ZN7rocprim17ROCPRIM_400000_NS6detail17trampoline_kernelINS0_14default_configENS1_27scan_by_key_config_selectorIiiEEZZNS1_16scan_by_key_implILNS1_25lookback_scan_determinismE0ELb0ES3_PKiN6hipcub16HIPCUB_304000_NS21ConstantInputIteratorIilEEPiiNSB_3SumENSB_8EqualityEiEE10hipError_tPvRmT2_T3_T4_T5_mT6_T7_P12ihipStream_tbENKUlT_T0_E_clISt17integral_constantIbLb1EESX_EEDaSS_ST_EUlSS_E_NS1_11comp_targetILNS1_3genE5ELNS1_11target_archE942ELNS1_3gpuE9ELNS1_3repE0EEENS1_30default_config_static_selectorELNS0_4arch9wavefront6targetE0EEEvT1_.has_dyn_sized_stack, 0
	.set _ZN7rocprim17ROCPRIM_400000_NS6detail17trampoline_kernelINS0_14default_configENS1_27scan_by_key_config_selectorIiiEEZZNS1_16scan_by_key_implILNS1_25lookback_scan_determinismE0ELb0ES3_PKiN6hipcub16HIPCUB_304000_NS21ConstantInputIteratorIilEEPiiNSB_3SumENSB_8EqualityEiEE10hipError_tPvRmT2_T3_T4_T5_mT6_T7_P12ihipStream_tbENKUlT_T0_E_clISt17integral_constantIbLb1EESX_EEDaSS_ST_EUlSS_E_NS1_11comp_targetILNS1_3genE5ELNS1_11target_archE942ELNS1_3gpuE9ELNS1_3repE0EEENS1_30default_config_static_selectorELNS0_4arch9wavefront6targetE0EEEvT1_.has_recursion, 0
	.set _ZN7rocprim17ROCPRIM_400000_NS6detail17trampoline_kernelINS0_14default_configENS1_27scan_by_key_config_selectorIiiEEZZNS1_16scan_by_key_implILNS1_25lookback_scan_determinismE0ELb0ES3_PKiN6hipcub16HIPCUB_304000_NS21ConstantInputIteratorIilEEPiiNSB_3SumENSB_8EqualityEiEE10hipError_tPvRmT2_T3_T4_T5_mT6_T7_P12ihipStream_tbENKUlT_T0_E_clISt17integral_constantIbLb1EESX_EEDaSS_ST_EUlSS_E_NS1_11comp_targetILNS1_3genE5ELNS1_11target_archE942ELNS1_3gpuE9ELNS1_3repE0EEENS1_30default_config_static_selectorELNS0_4arch9wavefront6targetE0EEEvT1_.has_indirect_call, 0
	.section	.AMDGPU.csdata,"",@progbits
; Kernel info:
; codeLenInByte = 0
; TotalNumSgprs: 0
; NumVgprs: 0
; ScratchSize: 0
; MemoryBound: 0
; FloatMode: 240
; IeeeMode: 1
; LDSByteSize: 0 bytes/workgroup (compile time only)
; SGPRBlocks: 0
; VGPRBlocks: 0
; NumSGPRsForWavesPerEU: 1
; NumVGPRsForWavesPerEU: 1
; Occupancy: 16
; WaveLimiterHint : 0
; COMPUTE_PGM_RSRC2:SCRATCH_EN: 0
; COMPUTE_PGM_RSRC2:USER_SGPR: 6
; COMPUTE_PGM_RSRC2:TRAP_HANDLER: 0
; COMPUTE_PGM_RSRC2:TGID_X_EN: 1
; COMPUTE_PGM_RSRC2:TGID_Y_EN: 0
; COMPUTE_PGM_RSRC2:TGID_Z_EN: 0
; COMPUTE_PGM_RSRC2:TIDIG_COMP_CNT: 0
	.section	.text._ZN7rocprim17ROCPRIM_400000_NS6detail17trampoline_kernelINS0_14default_configENS1_27scan_by_key_config_selectorIiiEEZZNS1_16scan_by_key_implILNS1_25lookback_scan_determinismE0ELb0ES3_PKiN6hipcub16HIPCUB_304000_NS21ConstantInputIteratorIilEEPiiNSB_3SumENSB_8EqualityEiEE10hipError_tPvRmT2_T3_T4_T5_mT6_T7_P12ihipStream_tbENKUlT_T0_E_clISt17integral_constantIbLb1EESX_EEDaSS_ST_EUlSS_E_NS1_11comp_targetILNS1_3genE4ELNS1_11target_archE910ELNS1_3gpuE8ELNS1_3repE0EEENS1_30default_config_static_selectorELNS0_4arch9wavefront6targetE0EEEvT1_,"axG",@progbits,_ZN7rocprim17ROCPRIM_400000_NS6detail17trampoline_kernelINS0_14default_configENS1_27scan_by_key_config_selectorIiiEEZZNS1_16scan_by_key_implILNS1_25lookback_scan_determinismE0ELb0ES3_PKiN6hipcub16HIPCUB_304000_NS21ConstantInputIteratorIilEEPiiNSB_3SumENSB_8EqualityEiEE10hipError_tPvRmT2_T3_T4_T5_mT6_T7_P12ihipStream_tbENKUlT_T0_E_clISt17integral_constantIbLb1EESX_EEDaSS_ST_EUlSS_E_NS1_11comp_targetILNS1_3genE4ELNS1_11target_archE910ELNS1_3gpuE8ELNS1_3repE0EEENS1_30default_config_static_selectorELNS0_4arch9wavefront6targetE0EEEvT1_,comdat
	.protected	_ZN7rocprim17ROCPRIM_400000_NS6detail17trampoline_kernelINS0_14default_configENS1_27scan_by_key_config_selectorIiiEEZZNS1_16scan_by_key_implILNS1_25lookback_scan_determinismE0ELb0ES3_PKiN6hipcub16HIPCUB_304000_NS21ConstantInputIteratorIilEEPiiNSB_3SumENSB_8EqualityEiEE10hipError_tPvRmT2_T3_T4_T5_mT6_T7_P12ihipStream_tbENKUlT_T0_E_clISt17integral_constantIbLb1EESX_EEDaSS_ST_EUlSS_E_NS1_11comp_targetILNS1_3genE4ELNS1_11target_archE910ELNS1_3gpuE8ELNS1_3repE0EEENS1_30default_config_static_selectorELNS0_4arch9wavefront6targetE0EEEvT1_ ; -- Begin function _ZN7rocprim17ROCPRIM_400000_NS6detail17trampoline_kernelINS0_14default_configENS1_27scan_by_key_config_selectorIiiEEZZNS1_16scan_by_key_implILNS1_25lookback_scan_determinismE0ELb0ES3_PKiN6hipcub16HIPCUB_304000_NS21ConstantInputIteratorIilEEPiiNSB_3SumENSB_8EqualityEiEE10hipError_tPvRmT2_T3_T4_T5_mT6_T7_P12ihipStream_tbENKUlT_T0_E_clISt17integral_constantIbLb1EESX_EEDaSS_ST_EUlSS_E_NS1_11comp_targetILNS1_3genE4ELNS1_11target_archE910ELNS1_3gpuE8ELNS1_3repE0EEENS1_30default_config_static_selectorELNS0_4arch9wavefront6targetE0EEEvT1_
	.globl	_ZN7rocprim17ROCPRIM_400000_NS6detail17trampoline_kernelINS0_14default_configENS1_27scan_by_key_config_selectorIiiEEZZNS1_16scan_by_key_implILNS1_25lookback_scan_determinismE0ELb0ES3_PKiN6hipcub16HIPCUB_304000_NS21ConstantInputIteratorIilEEPiiNSB_3SumENSB_8EqualityEiEE10hipError_tPvRmT2_T3_T4_T5_mT6_T7_P12ihipStream_tbENKUlT_T0_E_clISt17integral_constantIbLb1EESX_EEDaSS_ST_EUlSS_E_NS1_11comp_targetILNS1_3genE4ELNS1_11target_archE910ELNS1_3gpuE8ELNS1_3repE0EEENS1_30default_config_static_selectorELNS0_4arch9wavefront6targetE0EEEvT1_
	.p2align	8
	.type	_ZN7rocprim17ROCPRIM_400000_NS6detail17trampoline_kernelINS0_14default_configENS1_27scan_by_key_config_selectorIiiEEZZNS1_16scan_by_key_implILNS1_25lookback_scan_determinismE0ELb0ES3_PKiN6hipcub16HIPCUB_304000_NS21ConstantInputIteratorIilEEPiiNSB_3SumENSB_8EqualityEiEE10hipError_tPvRmT2_T3_T4_T5_mT6_T7_P12ihipStream_tbENKUlT_T0_E_clISt17integral_constantIbLb1EESX_EEDaSS_ST_EUlSS_E_NS1_11comp_targetILNS1_3genE4ELNS1_11target_archE910ELNS1_3gpuE8ELNS1_3repE0EEENS1_30default_config_static_selectorELNS0_4arch9wavefront6targetE0EEEvT1_,@function
_ZN7rocprim17ROCPRIM_400000_NS6detail17trampoline_kernelINS0_14default_configENS1_27scan_by_key_config_selectorIiiEEZZNS1_16scan_by_key_implILNS1_25lookback_scan_determinismE0ELb0ES3_PKiN6hipcub16HIPCUB_304000_NS21ConstantInputIteratorIilEEPiiNSB_3SumENSB_8EqualityEiEE10hipError_tPvRmT2_T3_T4_T5_mT6_T7_P12ihipStream_tbENKUlT_T0_E_clISt17integral_constantIbLb1EESX_EEDaSS_ST_EUlSS_E_NS1_11comp_targetILNS1_3genE4ELNS1_11target_archE910ELNS1_3gpuE8ELNS1_3repE0EEENS1_30default_config_static_selectorELNS0_4arch9wavefront6targetE0EEEvT1_: ; @_ZN7rocprim17ROCPRIM_400000_NS6detail17trampoline_kernelINS0_14default_configENS1_27scan_by_key_config_selectorIiiEEZZNS1_16scan_by_key_implILNS1_25lookback_scan_determinismE0ELb0ES3_PKiN6hipcub16HIPCUB_304000_NS21ConstantInputIteratorIilEEPiiNSB_3SumENSB_8EqualityEiEE10hipError_tPvRmT2_T3_T4_T5_mT6_T7_P12ihipStream_tbENKUlT_T0_E_clISt17integral_constantIbLb1EESX_EEDaSS_ST_EUlSS_E_NS1_11comp_targetILNS1_3genE4ELNS1_11target_archE910ELNS1_3gpuE8ELNS1_3repE0EEENS1_30default_config_static_selectorELNS0_4arch9wavefront6targetE0EEEvT1_
; %bb.0:
	.section	.rodata,"a",@progbits
	.p2align	6, 0x0
	.amdhsa_kernel _ZN7rocprim17ROCPRIM_400000_NS6detail17trampoline_kernelINS0_14default_configENS1_27scan_by_key_config_selectorIiiEEZZNS1_16scan_by_key_implILNS1_25lookback_scan_determinismE0ELb0ES3_PKiN6hipcub16HIPCUB_304000_NS21ConstantInputIteratorIilEEPiiNSB_3SumENSB_8EqualityEiEE10hipError_tPvRmT2_T3_T4_T5_mT6_T7_P12ihipStream_tbENKUlT_T0_E_clISt17integral_constantIbLb1EESX_EEDaSS_ST_EUlSS_E_NS1_11comp_targetILNS1_3genE4ELNS1_11target_archE910ELNS1_3gpuE8ELNS1_3repE0EEENS1_30default_config_static_selectorELNS0_4arch9wavefront6targetE0EEEvT1_
		.amdhsa_group_segment_fixed_size 0
		.amdhsa_private_segment_fixed_size 0
		.amdhsa_kernarg_size 120
		.amdhsa_user_sgpr_count 6
		.amdhsa_user_sgpr_private_segment_buffer 1
		.amdhsa_user_sgpr_dispatch_ptr 0
		.amdhsa_user_sgpr_queue_ptr 0
		.amdhsa_user_sgpr_kernarg_segment_ptr 1
		.amdhsa_user_sgpr_dispatch_id 0
		.amdhsa_user_sgpr_flat_scratch_init 0
		.amdhsa_user_sgpr_private_segment_size 0
		.amdhsa_wavefront_size32 1
		.amdhsa_uses_dynamic_stack 0
		.amdhsa_system_sgpr_private_segment_wavefront_offset 0
		.amdhsa_system_sgpr_workgroup_id_x 1
		.amdhsa_system_sgpr_workgroup_id_y 0
		.amdhsa_system_sgpr_workgroup_id_z 0
		.amdhsa_system_sgpr_workgroup_info 0
		.amdhsa_system_vgpr_workitem_id 0
		.amdhsa_next_free_vgpr 1
		.amdhsa_next_free_sgpr 1
		.amdhsa_reserve_vcc 0
		.amdhsa_reserve_flat_scratch 0
		.amdhsa_float_round_mode_32 0
		.amdhsa_float_round_mode_16_64 0
		.amdhsa_float_denorm_mode_32 3
		.amdhsa_float_denorm_mode_16_64 3
		.amdhsa_dx10_clamp 1
		.amdhsa_ieee_mode 1
		.amdhsa_fp16_overflow 0
		.amdhsa_workgroup_processor_mode 1
		.amdhsa_memory_ordered 1
		.amdhsa_forward_progress 1
		.amdhsa_shared_vgpr_count 0
		.amdhsa_exception_fp_ieee_invalid_op 0
		.amdhsa_exception_fp_denorm_src 0
		.amdhsa_exception_fp_ieee_div_zero 0
		.amdhsa_exception_fp_ieee_overflow 0
		.amdhsa_exception_fp_ieee_underflow 0
		.amdhsa_exception_fp_ieee_inexact 0
		.amdhsa_exception_int_div_zero 0
	.end_amdhsa_kernel
	.section	.text._ZN7rocprim17ROCPRIM_400000_NS6detail17trampoline_kernelINS0_14default_configENS1_27scan_by_key_config_selectorIiiEEZZNS1_16scan_by_key_implILNS1_25lookback_scan_determinismE0ELb0ES3_PKiN6hipcub16HIPCUB_304000_NS21ConstantInputIteratorIilEEPiiNSB_3SumENSB_8EqualityEiEE10hipError_tPvRmT2_T3_T4_T5_mT6_T7_P12ihipStream_tbENKUlT_T0_E_clISt17integral_constantIbLb1EESX_EEDaSS_ST_EUlSS_E_NS1_11comp_targetILNS1_3genE4ELNS1_11target_archE910ELNS1_3gpuE8ELNS1_3repE0EEENS1_30default_config_static_selectorELNS0_4arch9wavefront6targetE0EEEvT1_,"axG",@progbits,_ZN7rocprim17ROCPRIM_400000_NS6detail17trampoline_kernelINS0_14default_configENS1_27scan_by_key_config_selectorIiiEEZZNS1_16scan_by_key_implILNS1_25lookback_scan_determinismE0ELb0ES3_PKiN6hipcub16HIPCUB_304000_NS21ConstantInputIteratorIilEEPiiNSB_3SumENSB_8EqualityEiEE10hipError_tPvRmT2_T3_T4_T5_mT6_T7_P12ihipStream_tbENKUlT_T0_E_clISt17integral_constantIbLb1EESX_EEDaSS_ST_EUlSS_E_NS1_11comp_targetILNS1_3genE4ELNS1_11target_archE910ELNS1_3gpuE8ELNS1_3repE0EEENS1_30default_config_static_selectorELNS0_4arch9wavefront6targetE0EEEvT1_,comdat
.Lfunc_end24:
	.size	_ZN7rocprim17ROCPRIM_400000_NS6detail17trampoline_kernelINS0_14default_configENS1_27scan_by_key_config_selectorIiiEEZZNS1_16scan_by_key_implILNS1_25lookback_scan_determinismE0ELb0ES3_PKiN6hipcub16HIPCUB_304000_NS21ConstantInputIteratorIilEEPiiNSB_3SumENSB_8EqualityEiEE10hipError_tPvRmT2_T3_T4_T5_mT6_T7_P12ihipStream_tbENKUlT_T0_E_clISt17integral_constantIbLb1EESX_EEDaSS_ST_EUlSS_E_NS1_11comp_targetILNS1_3genE4ELNS1_11target_archE910ELNS1_3gpuE8ELNS1_3repE0EEENS1_30default_config_static_selectorELNS0_4arch9wavefront6targetE0EEEvT1_, .Lfunc_end24-_ZN7rocprim17ROCPRIM_400000_NS6detail17trampoline_kernelINS0_14default_configENS1_27scan_by_key_config_selectorIiiEEZZNS1_16scan_by_key_implILNS1_25lookback_scan_determinismE0ELb0ES3_PKiN6hipcub16HIPCUB_304000_NS21ConstantInputIteratorIilEEPiiNSB_3SumENSB_8EqualityEiEE10hipError_tPvRmT2_T3_T4_T5_mT6_T7_P12ihipStream_tbENKUlT_T0_E_clISt17integral_constantIbLb1EESX_EEDaSS_ST_EUlSS_E_NS1_11comp_targetILNS1_3genE4ELNS1_11target_archE910ELNS1_3gpuE8ELNS1_3repE0EEENS1_30default_config_static_selectorELNS0_4arch9wavefront6targetE0EEEvT1_
                                        ; -- End function
	.set _ZN7rocprim17ROCPRIM_400000_NS6detail17trampoline_kernelINS0_14default_configENS1_27scan_by_key_config_selectorIiiEEZZNS1_16scan_by_key_implILNS1_25lookback_scan_determinismE0ELb0ES3_PKiN6hipcub16HIPCUB_304000_NS21ConstantInputIteratorIilEEPiiNSB_3SumENSB_8EqualityEiEE10hipError_tPvRmT2_T3_T4_T5_mT6_T7_P12ihipStream_tbENKUlT_T0_E_clISt17integral_constantIbLb1EESX_EEDaSS_ST_EUlSS_E_NS1_11comp_targetILNS1_3genE4ELNS1_11target_archE910ELNS1_3gpuE8ELNS1_3repE0EEENS1_30default_config_static_selectorELNS0_4arch9wavefront6targetE0EEEvT1_.num_vgpr, 0
	.set _ZN7rocprim17ROCPRIM_400000_NS6detail17trampoline_kernelINS0_14default_configENS1_27scan_by_key_config_selectorIiiEEZZNS1_16scan_by_key_implILNS1_25lookback_scan_determinismE0ELb0ES3_PKiN6hipcub16HIPCUB_304000_NS21ConstantInputIteratorIilEEPiiNSB_3SumENSB_8EqualityEiEE10hipError_tPvRmT2_T3_T4_T5_mT6_T7_P12ihipStream_tbENKUlT_T0_E_clISt17integral_constantIbLb1EESX_EEDaSS_ST_EUlSS_E_NS1_11comp_targetILNS1_3genE4ELNS1_11target_archE910ELNS1_3gpuE8ELNS1_3repE0EEENS1_30default_config_static_selectorELNS0_4arch9wavefront6targetE0EEEvT1_.num_agpr, 0
	.set _ZN7rocprim17ROCPRIM_400000_NS6detail17trampoline_kernelINS0_14default_configENS1_27scan_by_key_config_selectorIiiEEZZNS1_16scan_by_key_implILNS1_25lookback_scan_determinismE0ELb0ES3_PKiN6hipcub16HIPCUB_304000_NS21ConstantInputIteratorIilEEPiiNSB_3SumENSB_8EqualityEiEE10hipError_tPvRmT2_T3_T4_T5_mT6_T7_P12ihipStream_tbENKUlT_T0_E_clISt17integral_constantIbLb1EESX_EEDaSS_ST_EUlSS_E_NS1_11comp_targetILNS1_3genE4ELNS1_11target_archE910ELNS1_3gpuE8ELNS1_3repE0EEENS1_30default_config_static_selectorELNS0_4arch9wavefront6targetE0EEEvT1_.numbered_sgpr, 0
	.set _ZN7rocprim17ROCPRIM_400000_NS6detail17trampoline_kernelINS0_14default_configENS1_27scan_by_key_config_selectorIiiEEZZNS1_16scan_by_key_implILNS1_25lookback_scan_determinismE0ELb0ES3_PKiN6hipcub16HIPCUB_304000_NS21ConstantInputIteratorIilEEPiiNSB_3SumENSB_8EqualityEiEE10hipError_tPvRmT2_T3_T4_T5_mT6_T7_P12ihipStream_tbENKUlT_T0_E_clISt17integral_constantIbLb1EESX_EEDaSS_ST_EUlSS_E_NS1_11comp_targetILNS1_3genE4ELNS1_11target_archE910ELNS1_3gpuE8ELNS1_3repE0EEENS1_30default_config_static_selectorELNS0_4arch9wavefront6targetE0EEEvT1_.num_named_barrier, 0
	.set _ZN7rocprim17ROCPRIM_400000_NS6detail17trampoline_kernelINS0_14default_configENS1_27scan_by_key_config_selectorIiiEEZZNS1_16scan_by_key_implILNS1_25lookback_scan_determinismE0ELb0ES3_PKiN6hipcub16HIPCUB_304000_NS21ConstantInputIteratorIilEEPiiNSB_3SumENSB_8EqualityEiEE10hipError_tPvRmT2_T3_T4_T5_mT6_T7_P12ihipStream_tbENKUlT_T0_E_clISt17integral_constantIbLb1EESX_EEDaSS_ST_EUlSS_E_NS1_11comp_targetILNS1_3genE4ELNS1_11target_archE910ELNS1_3gpuE8ELNS1_3repE0EEENS1_30default_config_static_selectorELNS0_4arch9wavefront6targetE0EEEvT1_.private_seg_size, 0
	.set _ZN7rocprim17ROCPRIM_400000_NS6detail17trampoline_kernelINS0_14default_configENS1_27scan_by_key_config_selectorIiiEEZZNS1_16scan_by_key_implILNS1_25lookback_scan_determinismE0ELb0ES3_PKiN6hipcub16HIPCUB_304000_NS21ConstantInputIteratorIilEEPiiNSB_3SumENSB_8EqualityEiEE10hipError_tPvRmT2_T3_T4_T5_mT6_T7_P12ihipStream_tbENKUlT_T0_E_clISt17integral_constantIbLb1EESX_EEDaSS_ST_EUlSS_E_NS1_11comp_targetILNS1_3genE4ELNS1_11target_archE910ELNS1_3gpuE8ELNS1_3repE0EEENS1_30default_config_static_selectorELNS0_4arch9wavefront6targetE0EEEvT1_.uses_vcc, 0
	.set _ZN7rocprim17ROCPRIM_400000_NS6detail17trampoline_kernelINS0_14default_configENS1_27scan_by_key_config_selectorIiiEEZZNS1_16scan_by_key_implILNS1_25lookback_scan_determinismE0ELb0ES3_PKiN6hipcub16HIPCUB_304000_NS21ConstantInputIteratorIilEEPiiNSB_3SumENSB_8EqualityEiEE10hipError_tPvRmT2_T3_T4_T5_mT6_T7_P12ihipStream_tbENKUlT_T0_E_clISt17integral_constantIbLb1EESX_EEDaSS_ST_EUlSS_E_NS1_11comp_targetILNS1_3genE4ELNS1_11target_archE910ELNS1_3gpuE8ELNS1_3repE0EEENS1_30default_config_static_selectorELNS0_4arch9wavefront6targetE0EEEvT1_.uses_flat_scratch, 0
	.set _ZN7rocprim17ROCPRIM_400000_NS6detail17trampoline_kernelINS0_14default_configENS1_27scan_by_key_config_selectorIiiEEZZNS1_16scan_by_key_implILNS1_25lookback_scan_determinismE0ELb0ES3_PKiN6hipcub16HIPCUB_304000_NS21ConstantInputIteratorIilEEPiiNSB_3SumENSB_8EqualityEiEE10hipError_tPvRmT2_T3_T4_T5_mT6_T7_P12ihipStream_tbENKUlT_T0_E_clISt17integral_constantIbLb1EESX_EEDaSS_ST_EUlSS_E_NS1_11comp_targetILNS1_3genE4ELNS1_11target_archE910ELNS1_3gpuE8ELNS1_3repE0EEENS1_30default_config_static_selectorELNS0_4arch9wavefront6targetE0EEEvT1_.has_dyn_sized_stack, 0
	.set _ZN7rocprim17ROCPRIM_400000_NS6detail17trampoline_kernelINS0_14default_configENS1_27scan_by_key_config_selectorIiiEEZZNS1_16scan_by_key_implILNS1_25lookback_scan_determinismE0ELb0ES3_PKiN6hipcub16HIPCUB_304000_NS21ConstantInputIteratorIilEEPiiNSB_3SumENSB_8EqualityEiEE10hipError_tPvRmT2_T3_T4_T5_mT6_T7_P12ihipStream_tbENKUlT_T0_E_clISt17integral_constantIbLb1EESX_EEDaSS_ST_EUlSS_E_NS1_11comp_targetILNS1_3genE4ELNS1_11target_archE910ELNS1_3gpuE8ELNS1_3repE0EEENS1_30default_config_static_selectorELNS0_4arch9wavefront6targetE0EEEvT1_.has_recursion, 0
	.set _ZN7rocprim17ROCPRIM_400000_NS6detail17trampoline_kernelINS0_14default_configENS1_27scan_by_key_config_selectorIiiEEZZNS1_16scan_by_key_implILNS1_25lookback_scan_determinismE0ELb0ES3_PKiN6hipcub16HIPCUB_304000_NS21ConstantInputIteratorIilEEPiiNSB_3SumENSB_8EqualityEiEE10hipError_tPvRmT2_T3_T4_T5_mT6_T7_P12ihipStream_tbENKUlT_T0_E_clISt17integral_constantIbLb1EESX_EEDaSS_ST_EUlSS_E_NS1_11comp_targetILNS1_3genE4ELNS1_11target_archE910ELNS1_3gpuE8ELNS1_3repE0EEENS1_30default_config_static_selectorELNS0_4arch9wavefront6targetE0EEEvT1_.has_indirect_call, 0
	.section	.AMDGPU.csdata,"",@progbits
; Kernel info:
; codeLenInByte = 0
; TotalNumSgprs: 0
; NumVgprs: 0
; ScratchSize: 0
; MemoryBound: 0
; FloatMode: 240
; IeeeMode: 1
; LDSByteSize: 0 bytes/workgroup (compile time only)
; SGPRBlocks: 0
; VGPRBlocks: 0
; NumSGPRsForWavesPerEU: 1
; NumVGPRsForWavesPerEU: 1
; Occupancy: 16
; WaveLimiterHint : 0
; COMPUTE_PGM_RSRC2:SCRATCH_EN: 0
; COMPUTE_PGM_RSRC2:USER_SGPR: 6
; COMPUTE_PGM_RSRC2:TRAP_HANDLER: 0
; COMPUTE_PGM_RSRC2:TGID_X_EN: 1
; COMPUTE_PGM_RSRC2:TGID_Y_EN: 0
; COMPUTE_PGM_RSRC2:TGID_Z_EN: 0
; COMPUTE_PGM_RSRC2:TIDIG_COMP_CNT: 0
	.section	.text._ZN7rocprim17ROCPRIM_400000_NS6detail17trampoline_kernelINS0_14default_configENS1_27scan_by_key_config_selectorIiiEEZZNS1_16scan_by_key_implILNS1_25lookback_scan_determinismE0ELb0ES3_PKiN6hipcub16HIPCUB_304000_NS21ConstantInputIteratorIilEEPiiNSB_3SumENSB_8EqualityEiEE10hipError_tPvRmT2_T3_T4_T5_mT6_T7_P12ihipStream_tbENKUlT_T0_E_clISt17integral_constantIbLb1EESX_EEDaSS_ST_EUlSS_E_NS1_11comp_targetILNS1_3genE3ELNS1_11target_archE908ELNS1_3gpuE7ELNS1_3repE0EEENS1_30default_config_static_selectorELNS0_4arch9wavefront6targetE0EEEvT1_,"axG",@progbits,_ZN7rocprim17ROCPRIM_400000_NS6detail17trampoline_kernelINS0_14default_configENS1_27scan_by_key_config_selectorIiiEEZZNS1_16scan_by_key_implILNS1_25lookback_scan_determinismE0ELb0ES3_PKiN6hipcub16HIPCUB_304000_NS21ConstantInputIteratorIilEEPiiNSB_3SumENSB_8EqualityEiEE10hipError_tPvRmT2_T3_T4_T5_mT6_T7_P12ihipStream_tbENKUlT_T0_E_clISt17integral_constantIbLb1EESX_EEDaSS_ST_EUlSS_E_NS1_11comp_targetILNS1_3genE3ELNS1_11target_archE908ELNS1_3gpuE7ELNS1_3repE0EEENS1_30default_config_static_selectorELNS0_4arch9wavefront6targetE0EEEvT1_,comdat
	.protected	_ZN7rocprim17ROCPRIM_400000_NS6detail17trampoline_kernelINS0_14default_configENS1_27scan_by_key_config_selectorIiiEEZZNS1_16scan_by_key_implILNS1_25lookback_scan_determinismE0ELb0ES3_PKiN6hipcub16HIPCUB_304000_NS21ConstantInputIteratorIilEEPiiNSB_3SumENSB_8EqualityEiEE10hipError_tPvRmT2_T3_T4_T5_mT6_T7_P12ihipStream_tbENKUlT_T0_E_clISt17integral_constantIbLb1EESX_EEDaSS_ST_EUlSS_E_NS1_11comp_targetILNS1_3genE3ELNS1_11target_archE908ELNS1_3gpuE7ELNS1_3repE0EEENS1_30default_config_static_selectorELNS0_4arch9wavefront6targetE0EEEvT1_ ; -- Begin function _ZN7rocprim17ROCPRIM_400000_NS6detail17trampoline_kernelINS0_14default_configENS1_27scan_by_key_config_selectorIiiEEZZNS1_16scan_by_key_implILNS1_25lookback_scan_determinismE0ELb0ES3_PKiN6hipcub16HIPCUB_304000_NS21ConstantInputIteratorIilEEPiiNSB_3SumENSB_8EqualityEiEE10hipError_tPvRmT2_T3_T4_T5_mT6_T7_P12ihipStream_tbENKUlT_T0_E_clISt17integral_constantIbLb1EESX_EEDaSS_ST_EUlSS_E_NS1_11comp_targetILNS1_3genE3ELNS1_11target_archE908ELNS1_3gpuE7ELNS1_3repE0EEENS1_30default_config_static_selectorELNS0_4arch9wavefront6targetE0EEEvT1_
	.globl	_ZN7rocprim17ROCPRIM_400000_NS6detail17trampoline_kernelINS0_14default_configENS1_27scan_by_key_config_selectorIiiEEZZNS1_16scan_by_key_implILNS1_25lookback_scan_determinismE0ELb0ES3_PKiN6hipcub16HIPCUB_304000_NS21ConstantInputIteratorIilEEPiiNSB_3SumENSB_8EqualityEiEE10hipError_tPvRmT2_T3_T4_T5_mT6_T7_P12ihipStream_tbENKUlT_T0_E_clISt17integral_constantIbLb1EESX_EEDaSS_ST_EUlSS_E_NS1_11comp_targetILNS1_3genE3ELNS1_11target_archE908ELNS1_3gpuE7ELNS1_3repE0EEENS1_30default_config_static_selectorELNS0_4arch9wavefront6targetE0EEEvT1_
	.p2align	8
	.type	_ZN7rocprim17ROCPRIM_400000_NS6detail17trampoline_kernelINS0_14default_configENS1_27scan_by_key_config_selectorIiiEEZZNS1_16scan_by_key_implILNS1_25lookback_scan_determinismE0ELb0ES3_PKiN6hipcub16HIPCUB_304000_NS21ConstantInputIteratorIilEEPiiNSB_3SumENSB_8EqualityEiEE10hipError_tPvRmT2_T3_T4_T5_mT6_T7_P12ihipStream_tbENKUlT_T0_E_clISt17integral_constantIbLb1EESX_EEDaSS_ST_EUlSS_E_NS1_11comp_targetILNS1_3genE3ELNS1_11target_archE908ELNS1_3gpuE7ELNS1_3repE0EEENS1_30default_config_static_selectorELNS0_4arch9wavefront6targetE0EEEvT1_,@function
_ZN7rocprim17ROCPRIM_400000_NS6detail17trampoline_kernelINS0_14default_configENS1_27scan_by_key_config_selectorIiiEEZZNS1_16scan_by_key_implILNS1_25lookback_scan_determinismE0ELb0ES3_PKiN6hipcub16HIPCUB_304000_NS21ConstantInputIteratorIilEEPiiNSB_3SumENSB_8EqualityEiEE10hipError_tPvRmT2_T3_T4_T5_mT6_T7_P12ihipStream_tbENKUlT_T0_E_clISt17integral_constantIbLb1EESX_EEDaSS_ST_EUlSS_E_NS1_11comp_targetILNS1_3genE3ELNS1_11target_archE908ELNS1_3gpuE7ELNS1_3repE0EEENS1_30default_config_static_selectorELNS0_4arch9wavefront6targetE0EEEvT1_: ; @_ZN7rocprim17ROCPRIM_400000_NS6detail17trampoline_kernelINS0_14default_configENS1_27scan_by_key_config_selectorIiiEEZZNS1_16scan_by_key_implILNS1_25lookback_scan_determinismE0ELb0ES3_PKiN6hipcub16HIPCUB_304000_NS21ConstantInputIteratorIilEEPiiNSB_3SumENSB_8EqualityEiEE10hipError_tPvRmT2_T3_T4_T5_mT6_T7_P12ihipStream_tbENKUlT_T0_E_clISt17integral_constantIbLb1EESX_EEDaSS_ST_EUlSS_E_NS1_11comp_targetILNS1_3genE3ELNS1_11target_archE908ELNS1_3gpuE7ELNS1_3repE0EEENS1_30default_config_static_selectorELNS0_4arch9wavefront6targetE0EEEvT1_
; %bb.0:
	.section	.rodata,"a",@progbits
	.p2align	6, 0x0
	.amdhsa_kernel _ZN7rocprim17ROCPRIM_400000_NS6detail17trampoline_kernelINS0_14default_configENS1_27scan_by_key_config_selectorIiiEEZZNS1_16scan_by_key_implILNS1_25lookback_scan_determinismE0ELb0ES3_PKiN6hipcub16HIPCUB_304000_NS21ConstantInputIteratorIilEEPiiNSB_3SumENSB_8EqualityEiEE10hipError_tPvRmT2_T3_T4_T5_mT6_T7_P12ihipStream_tbENKUlT_T0_E_clISt17integral_constantIbLb1EESX_EEDaSS_ST_EUlSS_E_NS1_11comp_targetILNS1_3genE3ELNS1_11target_archE908ELNS1_3gpuE7ELNS1_3repE0EEENS1_30default_config_static_selectorELNS0_4arch9wavefront6targetE0EEEvT1_
		.amdhsa_group_segment_fixed_size 0
		.amdhsa_private_segment_fixed_size 0
		.amdhsa_kernarg_size 120
		.amdhsa_user_sgpr_count 6
		.amdhsa_user_sgpr_private_segment_buffer 1
		.amdhsa_user_sgpr_dispatch_ptr 0
		.amdhsa_user_sgpr_queue_ptr 0
		.amdhsa_user_sgpr_kernarg_segment_ptr 1
		.amdhsa_user_sgpr_dispatch_id 0
		.amdhsa_user_sgpr_flat_scratch_init 0
		.amdhsa_user_sgpr_private_segment_size 0
		.amdhsa_wavefront_size32 1
		.amdhsa_uses_dynamic_stack 0
		.amdhsa_system_sgpr_private_segment_wavefront_offset 0
		.amdhsa_system_sgpr_workgroup_id_x 1
		.amdhsa_system_sgpr_workgroup_id_y 0
		.amdhsa_system_sgpr_workgroup_id_z 0
		.amdhsa_system_sgpr_workgroup_info 0
		.amdhsa_system_vgpr_workitem_id 0
		.amdhsa_next_free_vgpr 1
		.amdhsa_next_free_sgpr 1
		.amdhsa_reserve_vcc 0
		.amdhsa_reserve_flat_scratch 0
		.amdhsa_float_round_mode_32 0
		.amdhsa_float_round_mode_16_64 0
		.amdhsa_float_denorm_mode_32 3
		.amdhsa_float_denorm_mode_16_64 3
		.amdhsa_dx10_clamp 1
		.amdhsa_ieee_mode 1
		.amdhsa_fp16_overflow 0
		.amdhsa_workgroup_processor_mode 1
		.amdhsa_memory_ordered 1
		.amdhsa_forward_progress 1
		.amdhsa_shared_vgpr_count 0
		.amdhsa_exception_fp_ieee_invalid_op 0
		.amdhsa_exception_fp_denorm_src 0
		.amdhsa_exception_fp_ieee_div_zero 0
		.amdhsa_exception_fp_ieee_overflow 0
		.amdhsa_exception_fp_ieee_underflow 0
		.amdhsa_exception_fp_ieee_inexact 0
		.amdhsa_exception_int_div_zero 0
	.end_amdhsa_kernel
	.section	.text._ZN7rocprim17ROCPRIM_400000_NS6detail17trampoline_kernelINS0_14default_configENS1_27scan_by_key_config_selectorIiiEEZZNS1_16scan_by_key_implILNS1_25lookback_scan_determinismE0ELb0ES3_PKiN6hipcub16HIPCUB_304000_NS21ConstantInputIteratorIilEEPiiNSB_3SumENSB_8EqualityEiEE10hipError_tPvRmT2_T3_T4_T5_mT6_T7_P12ihipStream_tbENKUlT_T0_E_clISt17integral_constantIbLb1EESX_EEDaSS_ST_EUlSS_E_NS1_11comp_targetILNS1_3genE3ELNS1_11target_archE908ELNS1_3gpuE7ELNS1_3repE0EEENS1_30default_config_static_selectorELNS0_4arch9wavefront6targetE0EEEvT1_,"axG",@progbits,_ZN7rocprim17ROCPRIM_400000_NS6detail17trampoline_kernelINS0_14default_configENS1_27scan_by_key_config_selectorIiiEEZZNS1_16scan_by_key_implILNS1_25lookback_scan_determinismE0ELb0ES3_PKiN6hipcub16HIPCUB_304000_NS21ConstantInputIteratorIilEEPiiNSB_3SumENSB_8EqualityEiEE10hipError_tPvRmT2_T3_T4_T5_mT6_T7_P12ihipStream_tbENKUlT_T0_E_clISt17integral_constantIbLb1EESX_EEDaSS_ST_EUlSS_E_NS1_11comp_targetILNS1_3genE3ELNS1_11target_archE908ELNS1_3gpuE7ELNS1_3repE0EEENS1_30default_config_static_selectorELNS0_4arch9wavefront6targetE0EEEvT1_,comdat
.Lfunc_end25:
	.size	_ZN7rocprim17ROCPRIM_400000_NS6detail17trampoline_kernelINS0_14default_configENS1_27scan_by_key_config_selectorIiiEEZZNS1_16scan_by_key_implILNS1_25lookback_scan_determinismE0ELb0ES3_PKiN6hipcub16HIPCUB_304000_NS21ConstantInputIteratorIilEEPiiNSB_3SumENSB_8EqualityEiEE10hipError_tPvRmT2_T3_T4_T5_mT6_T7_P12ihipStream_tbENKUlT_T0_E_clISt17integral_constantIbLb1EESX_EEDaSS_ST_EUlSS_E_NS1_11comp_targetILNS1_3genE3ELNS1_11target_archE908ELNS1_3gpuE7ELNS1_3repE0EEENS1_30default_config_static_selectorELNS0_4arch9wavefront6targetE0EEEvT1_, .Lfunc_end25-_ZN7rocprim17ROCPRIM_400000_NS6detail17trampoline_kernelINS0_14default_configENS1_27scan_by_key_config_selectorIiiEEZZNS1_16scan_by_key_implILNS1_25lookback_scan_determinismE0ELb0ES3_PKiN6hipcub16HIPCUB_304000_NS21ConstantInputIteratorIilEEPiiNSB_3SumENSB_8EqualityEiEE10hipError_tPvRmT2_T3_T4_T5_mT6_T7_P12ihipStream_tbENKUlT_T0_E_clISt17integral_constantIbLb1EESX_EEDaSS_ST_EUlSS_E_NS1_11comp_targetILNS1_3genE3ELNS1_11target_archE908ELNS1_3gpuE7ELNS1_3repE0EEENS1_30default_config_static_selectorELNS0_4arch9wavefront6targetE0EEEvT1_
                                        ; -- End function
	.set _ZN7rocprim17ROCPRIM_400000_NS6detail17trampoline_kernelINS0_14default_configENS1_27scan_by_key_config_selectorIiiEEZZNS1_16scan_by_key_implILNS1_25lookback_scan_determinismE0ELb0ES3_PKiN6hipcub16HIPCUB_304000_NS21ConstantInputIteratorIilEEPiiNSB_3SumENSB_8EqualityEiEE10hipError_tPvRmT2_T3_T4_T5_mT6_T7_P12ihipStream_tbENKUlT_T0_E_clISt17integral_constantIbLb1EESX_EEDaSS_ST_EUlSS_E_NS1_11comp_targetILNS1_3genE3ELNS1_11target_archE908ELNS1_3gpuE7ELNS1_3repE0EEENS1_30default_config_static_selectorELNS0_4arch9wavefront6targetE0EEEvT1_.num_vgpr, 0
	.set _ZN7rocprim17ROCPRIM_400000_NS6detail17trampoline_kernelINS0_14default_configENS1_27scan_by_key_config_selectorIiiEEZZNS1_16scan_by_key_implILNS1_25lookback_scan_determinismE0ELb0ES3_PKiN6hipcub16HIPCUB_304000_NS21ConstantInputIteratorIilEEPiiNSB_3SumENSB_8EqualityEiEE10hipError_tPvRmT2_T3_T4_T5_mT6_T7_P12ihipStream_tbENKUlT_T0_E_clISt17integral_constantIbLb1EESX_EEDaSS_ST_EUlSS_E_NS1_11comp_targetILNS1_3genE3ELNS1_11target_archE908ELNS1_3gpuE7ELNS1_3repE0EEENS1_30default_config_static_selectorELNS0_4arch9wavefront6targetE0EEEvT1_.num_agpr, 0
	.set _ZN7rocprim17ROCPRIM_400000_NS6detail17trampoline_kernelINS0_14default_configENS1_27scan_by_key_config_selectorIiiEEZZNS1_16scan_by_key_implILNS1_25lookback_scan_determinismE0ELb0ES3_PKiN6hipcub16HIPCUB_304000_NS21ConstantInputIteratorIilEEPiiNSB_3SumENSB_8EqualityEiEE10hipError_tPvRmT2_T3_T4_T5_mT6_T7_P12ihipStream_tbENKUlT_T0_E_clISt17integral_constantIbLb1EESX_EEDaSS_ST_EUlSS_E_NS1_11comp_targetILNS1_3genE3ELNS1_11target_archE908ELNS1_3gpuE7ELNS1_3repE0EEENS1_30default_config_static_selectorELNS0_4arch9wavefront6targetE0EEEvT1_.numbered_sgpr, 0
	.set _ZN7rocprim17ROCPRIM_400000_NS6detail17trampoline_kernelINS0_14default_configENS1_27scan_by_key_config_selectorIiiEEZZNS1_16scan_by_key_implILNS1_25lookback_scan_determinismE0ELb0ES3_PKiN6hipcub16HIPCUB_304000_NS21ConstantInputIteratorIilEEPiiNSB_3SumENSB_8EqualityEiEE10hipError_tPvRmT2_T3_T4_T5_mT6_T7_P12ihipStream_tbENKUlT_T0_E_clISt17integral_constantIbLb1EESX_EEDaSS_ST_EUlSS_E_NS1_11comp_targetILNS1_3genE3ELNS1_11target_archE908ELNS1_3gpuE7ELNS1_3repE0EEENS1_30default_config_static_selectorELNS0_4arch9wavefront6targetE0EEEvT1_.num_named_barrier, 0
	.set _ZN7rocprim17ROCPRIM_400000_NS6detail17trampoline_kernelINS0_14default_configENS1_27scan_by_key_config_selectorIiiEEZZNS1_16scan_by_key_implILNS1_25lookback_scan_determinismE0ELb0ES3_PKiN6hipcub16HIPCUB_304000_NS21ConstantInputIteratorIilEEPiiNSB_3SumENSB_8EqualityEiEE10hipError_tPvRmT2_T3_T4_T5_mT6_T7_P12ihipStream_tbENKUlT_T0_E_clISt17integral_constantIbLb1EESX_EEDaSS_ST_EUlSS_E_NS1_11comp_targetILNS1_3genE3ELNS1_11target_archE908ELNS1_3gpuE7ELNS1_3repE0EEENS1_30default_config_static_selectorELNS0_4arch9wavefront6targetE0EEEvT1_.private_seg_size, 0
	.set _ZN7rocprim17ROCPRIM_400000_NS6detail17trampoline_kernelINS0_14default_configENS1_27scan_by_key_config_selectorIiiEEZZNS1_16scan_by_key_implILNS1_25lookback_scan_determinismE0ELb0ES3_PKiN6hipcub16HIPCUB_304000_NS21ConstantInputIteratorIilEEPiiNSB_3SumENSB_8EqualityEiEE10hipError_tPvRmT2_T3_T4_T5_mT6_T7_P12ihipStream_tbENKUlT_T0_E_clISt17integral_constantIbLb1EESX_EEDaSS_ST_EUlSS_E_NS1_11comp_targetILNS1_3genE3ELNS1_11target_archE908ELNS1_3gpuE7ELNS1_3repE0EEENS1_30default_config_static_selectorELNS0_4arch9wavefront6targetE0EEEvT1_.uses_vcc, 0
	.set _ZN7rocprim17ROCPRIM_400000_NS6detail17trampoline_kernelINS0_14default_configENS1_27scan_by_key_config_selectorIiiEEZZNS1_16scan_by_key_implILNS1_25lookback_scan_determinismE0ELb0ES3_PKiN6hipcub16HIPCUB_304000_NS21ConstantInputIteratorIilEEPiiNSB_3SumENSB_8EqualityEiEE10hipError_tPvRmT2_T3_T4_T5_mT6_T7_P12ihipStream_tbENKUlT_T0_E_clISt17integral_constantIbLb1EESX_EEDaSS_ST_EUlSS_E_NS1_11comp_targetILNS1_3genE3ELNS1_11target_archE908ELNS1_3gpuE7ELNS1_3repE0EEENS1_30default_config_static_selectorELNS0_4arch9wavefront6targetE0EEEvT1_.uses_flat_scratch, 0
	.set _ZN7rocprim17ROCPRIM_400000_NS6detail17trampoline_kernelINS0_14default_configENS1_27scan_by_key_config_selectorIiiEEZZNS1_16scan_by_key_implILNS1_25lookback_scan_determinismE0ELb0ES3_PKiN6hipcub16HIPCUB_304000_NS21ConstantInputIteratorIilEEPiiNSB_3SumENSB_8EqualityEiEE10hipError_tPvRmT2_T3_T4_T5_mT6_T7_P12ihipStream_tbENKUlT_T0_E_clISt17integral_constantIbLb1EESX_EEDaSS_ST_EUlSS_E_NS1_11comp_targetILNS1_3genE3ELNS1_11target_archE908ELNS1_3gpuE7ELNS1_3repE0EEENS1_30default_config_static_selectorELNS0_4arch9wavefront6targetE0EEEvT1_.has_dyn_sized_stack, 0
	.set _ZN7rocprim17ROCPRIM_400000_NS6detail17trampoline_kernelINS0_14default_configENS1_27scan_by_key_config_selectorIiiEEZZNS1_16scan_by_key_implILNS1_25lookback_scan_determinismE0ELb0ES3_PKiN6hipcub16HIPCUB_304000_NS21ConstantInputIteratorIilEEPiiNSB_3SumENSB_8EqualityEiEE10hipError_tPvRmT2_T3_T4_T5_mT6_T7_P12ihipStream_tbENKUlT_T0_E_clISt17integral_constantIbLb1EESX_EEDaSS_ST_EUlSS_E_NS1_11comp_targetILNS1_3genE3ELNS1_11target_archE908ELNS1_3gpuE7ELNS1_3repE0EEENS1_30default_config_static_selectorELNS0_4arch9wavefront6targetE0EEEvT1_.has_recursion, 0
	.set _ZN7rocprim17ROCPRIM_400000_NS6detail17trampoline_kernelINS0_14default_configENS1_27scan_by_key_config_selectorIiiEEZZNS1_16scan_by_key_implILNS1_25lookback_scan_determinismE0ELb0ES3_PKiN6hipcub16HIPCUB_304000_NS21ConstantInputIteratorIilEEPiiNSB_3SumENSB_8EqualityEiEE10hipError_tPvRmT2_T3_T4_T5_mT6_T7_P12ihipStream_tbENKUlT_T0_E_clISt17integral_constantIbLb1EESX_EEDaSS_ST_EUlSS_E_NS1_11comp_targetILNS1_3genE3ELNS1_11target_archE908ELNS1_3gpuE7ELNS1_3repE0EEENS1_30default_config_static_selectorELNS0_4arch9wavefront6targetE0EEEvT1_.has_indirect_call, 0
	.section	.AMDGPU.csdata,"",@progbits
; Kernel info:
; codeLenInByte = 0
; TotalNumSgprs: 0
; NumVgprs: 0
; ScratchSize: 0
; MemoryBound: 0
; FloatMode: 240
; IeeeMode: 1
; LDSByteSize: 0 bytes/workgroup (compile time only)
; SGPRBlocks: 0
; VGPRBlocks: 0
; NumSGPRsForWavesPerEU: 1
; NumVGPRsForWavesPerEU: 1
; Occupancy: 16
; WaveLimiterHint : 0
; COMPUTE_PGM_RSRC2:SCRATCH_EN: 0
; COMPUTE_PGM_RSRC2:USER_SGPR: 6
; COMPUTE_PGM_RSRC2:TRAP_HANDLER: 0
; COMPUTE_PGM_RSRC2:TGID_X_EN: 1
; COMPUTE_PGM_RSRC2:TGID_Y_EN: 0
; COMPUTE_PGM_RSRC2:TGID_Z_EN: 0
; COMPUTE_PGM_RSRC2:TIDIG_COMP_CNT: 0
	.section	.text._ZN7rocprim17ROCPRIM_400000_NS6detail17trampoline_kernelINS0_14default_configENS1_27scan_by_key_config_selectorIiiEEZZNS1_16scan_by_key_implILNS1_25lookback_scan_determinismE0ELb0ES3_PKiN6hipcub16HIPCUB_304000_NS21ConstantInputIteratorIilEEPiiNSB_3SumENSB_8EqualityEiEE10hipError_tPvRmT2_T3_T4_T5_mT6_T7_P12ihipStream_tbENKUlT_T0_E_clISt17integral_constantIbLb1EESX_EEDaSS_ST_EUlSS_E_NS1_11comp_targetILNS1_3genE2ELNS1_11target_archE906ELNS1_3gpuE6ELNS1_3repE0EEENS1_30default_config_static_selectorELNS0_4arch9wavefront6targetE0EEEvT1_,"axG",@progbits,_ZN7rocprim17ROCPRIM_400000_NS6detail17trampoline_kernelINS0_14default_configENS1_27scan_by_key_config_selectorIiiEEZZNS1_16scan_by_key_implILNS1_25lookback_scan_determinismE0ELb0ES3_PKiN6hipcub16HIPCUB_304000_NS21ConstantInputIteratorIilEEPiiNSB_3SumENSB_8EqualityEiEE10hipError_tPvRmT2_T3_T4_T5_mT6_T7_P12ihipStream_tbENKUlT_T0_E_clISt17integral_constantIbLb1EESX_EEDaSS_ST_EUlSS_E_NS1_11comp_targetILNS1_3genE2ELNS1_11target_archE906ELNS1_3gpuE6ELNS1_3repE0EEENS1_30default_config_static_selectorELNS0_4arch9wavefront6targetE0EEEvT1_,comdat
	.protected	_ZN7rocprim17ROCPRIM_400000_NS6detail17trampoline_kernelINS0_14default_configENS1_27scan_by_key_config_selectorIiiEEZZNS1_16scan_by_key_implILNS1_25lookback_scan_determinismE0ELb0ES3_PKiN6hipcub16HIPCUB_304000_NS21ConstantInputIteratorIilEEPiiNSB_3SumENSB_8EqualityEiEE10hipError_tPvRmT2_T3_T4_T5_mT6_T7_P12ihipStream_tbENKUlT_T0_E_clISt17integral_constantIbLb1EESX_EEDaSS_ST_EUlSS_E_NS1_11comp_targetILNS1_3genE2ELNS1_11target_archE906ELNS1_3gpuE6ELNS1_3repE0EEENS1_30default_config_static_selectorELNS0_4arch9wavefront6targetE0EEEvT1_ ; -- Begin function _ZN7rocprim17ROCPRIM_400000_NS6detail17trampoline_kernelINS0_14default_configENS1_27scan_by_key_config_selectorIiiEEZZNS1_16scan_by_key_implILNS1_25lookback_scan_determinismE0ELb0ES3_PKiN6hipcub16HIPCUB_304000_NS21ConstantInputIteratorIilEEPiiNSB_3SumENSB_8EqualityEiEE10hipError_tPvRmT2_T3_T4_T5_mT6_T7_P12ihipStream_tbENKUlT_T0_E_clISt17integral_constantIbLb1EESX_EEDaSS_ST_EUlSS_E_NS1_11comp_targetILNS1_3genE2ELNS1_11target_archE906ELNS1_3gpuE6ELNS1_3repE0EEENS1_30default_config_static_selectorELNS0_4arch9wavefront6targetE0EEEvT1_
	.globl	_ZN7rocprim17ROCPRIM_400000_NS6detail17trampoline_kernelINS0_14default_configENS1_27scan_by_key_config_selectorIiiEEZZNS1_16scan_by_key_implILNS1_25lookback_scan_determinismE0ELb0ES3_PKiN6hipcub16HIPCUB_304000_NS21ConstantInputIteratorIilEEPiiNSB_3SumENSB_8EqualityEiEE10hipError_tPvRmT2_T3_T4_T5_mT6_T7_P12ihipStream_tbENKUlT_T0_E_clISt17integral_constantIbLb1EESX_EEDaSS_ST_EUlSS_E_NS1_11comp_targetILNS1_3genE2ELNS1_11target_archE906ELNS1_3gpuE6ELNS1_3repE0EEENS1_30default_config_static_selectorELNS0_4arch9wavefront6targetE0EEEvT1_
	.p2align	8
	.type	_ZN7rocprim17ROCPRIM_400000_NS6detail17trampoline_kernelINS0_14default_configENS1_27scan_by_key_config_selectorIiiEEZZNS1_16scan_by_key_implILNS1_25lookback_scan_determinismE0ELb0ES3_PKiN6hipcub16HIPCUB_304000_NS21ConstantInputIteratorIilEEPiiNSB_3SumENSB_8EqualityEiEE10hipError_tPvRmT2_T3_T4_T5_mT6_T7_P12ihipStream_tbENKUlT_T0_E_clISt17integral_constantIbLb1EESX_EEDaSS_ST_EUlSS_E_NS1_11comp_targetILNS1_3genE2ELNS1_11target_archE906ELNS1_3gpuE6ELNS1_3repE0EEENS1_30default_config_static_selectorELNS0_4arch9wavefront6targetE0EEEvT1_,@function
_ZN7rocprim17ROCPRIM_400000_NS6detail17trampoline_kernelINS0_14default_configENS1_27scan_by_key_config_selectorIiiEEZZNS1_16scan_by_key_implILNS1_25lookback_scan_determinismE0ELb0ES3_PKiN6hipcub16HIPCUB_304000_NS21ConstantInputIteratorIilEEPiiNSB_3SumENSB_8EqualityEiEE10hipError_tPvRmT2_T3_T4_T5_mT6_T7_P12ihipStream_tbENKUlT_T0_E_clISt17integral_constantIbLb1EESX_EEDaSS_ST_EUlSS_E_NS1_11comp_targetILNS1_3genE2ELNS1_11target_archE906ELNS1_3gpuE6ELNS1_3repE0EEENS1_30default_config_static_selectorELNS0_4arch9wavefront6targetE0EEEvT1_: ; @_ZN7rocprim17ROCPRIM_400000_NS6detail17trampoline_kernelINS0_14default_configENS1_27scan_by_key_config_selectorIiiEEZZNS1_16scan_by_key_implILNS1_25lookback_scan_determinismE0ELb0ES3_PKiN6hipcub16HIPCUB_304000_NS21ConstantInputIteratorIilEEPiiNSB_3SumENSB_8EqualityEiEE10hipError_tPvRmT2_T3_T4_T5_mT6_T7_P12ihipStream_tbENKUlT_T0_E_clISt17integral_constantIbLb1EESX_EEDaSS_ST_EUlSS_E_NS1_11comp_targetILNS1_3genE2ELNS1_11target_archE906ELNS1_3gpuE6ELNS1_3repE0EEENS1_30default_config_static_selectorELNS0_4arch9wavefront6targetE0EEEvT1_
; %bb.0:
	.section	.rodata,"a",@progbits
	.p2align	6, 0x0
	.amdhsa_kernel _ZN7rocprim17ROCPRIM_400000_NS6detail17trampoline_kernelINS0_14default_configENS1_27scan_by_key_config_selectorIiiEEZZNS1_16scan_by_key_implILNS1_25lookback_scan_determinismE0ELb0ES3_PKiN6hipcub16HIPCUB_304000_NS21ConstantInputIteratorIilEEPiiNSB_3SumENSB_8EqualityEiEE10hipError_tPvRmT2_T3_T4_T5_mT6_T7_P12ihipStream_tbENKUlT_T0_E_clISt17integral_constantIbLb1EESX_EEDaSS_ST_EUlSS_E_NS1_11comp_targetILNS1_3genE2ELNS1_11target_archE906ELNS1_3gpuE6ELNS1_3repE0EEENS1_30default_config_static_selectorELNS0_4arch9wavefront6targetE0EEEvT1_
		.amdhsa_group_segment_fixed_size 0
		.amdhsa_private_segment_fixed_size 0
		.amdhsa_kernarg_size 120
		.amdhsa_user_sgpr_count 6
		.amdhsa_user_sgpr_private_segment_buffer 1
		.amdhsa_user_sgpr_dispatch_ptr 0
		.amdhsa_user_sgpr_queue_ptr 0
		.amdhsa_user_sgpr_kernarg_segment_ptr 1
		.amdhsa_user_sgpr_dispatch_id 0
		.amdhsa_user_sgpr_flat_scratch_init 0
		.amdhsa_user_sgpr_private_segment_size 0
		.amdhsa_wavefront_size32 1
		.amdhsa_uses_dynamic_stack 0
		.amdhsa_system_sgpr_private_segment_wavefront_offset 0
		.amdhsa_system_sgpr_workgroup_id_x 1
		.amdhsa_system_sgpr_workgroup_id_y 0
		.amdhsa_system_sgpr_workgroup_id_z 0
		.amdhsa_system_sgpr_workgroup_info 0
		.amdhsa_system_vgpr_workitem_id 0
		.amdhsa_next_free_vgpr 1
		.amdhsa_next_free_sgpr 1
		.amdhsa_reserve_vcc 0
		.amdhsa_reserve_flat_scratch 0
		.amdhsa_float_round_mode_32 0
		.amdhsa_float_round_mode_16_64 0
		.amdhsa_float_denorm_mode_32 3
		.amdhsa_float_denorm_mode_16_64 3
		.amdhsa_dx10_clamp 1
		.amdhsa_ieee_mode 1
		.amdhsa_fp16_overflow 0
		.amdhsa_workgroup_processor_mode 1
		.amdhsa_memory_ordered 1
		.amdhsa_forward_progress 1
		.amdhsa_shared_vgpr_count 0
		.amdhsa_exception_fp_ieee_invalid_op 0
		.amdhsa_exception_fp_denorm_src 0
		.amdhsa_exception_fp_ieee_div_zero 0
		.amdhsa_exception_fp_ieee_overflow 0
		.amdhsa_exception_fp_ieee_underflow 0
		.amdhsa_exception_fp_ieee_inexact 0
		.amdhsa_exception_int_div_zero 0
	.end_amdhsa_kernel
	.section	.text._ZN7rocprim17ROCPRIM_400000_NS6detail17trampoline_kernelINS0_14default_configENS1_27scan_by_key_config_selectorIiiEEZZNS1_16scan_by_key_implILNS1_25lookback_scan_determinismE0ELb0ES3_PKiN6hipcub16HIPCUB_304000_NS21ConstantInputIteratorIilEEPiiNSB_3SumENSB_8EqualityEiEE10hipError_tPvRmT2_T3_T4_T5_mT6_T7_P12ihipStream_tbENKUlT_T0_E_clISt17integral_constantIbLb1EESX_EEDaSS_ST_EUlSS_E_NS1_11comp_targetILNS1_3genE2ELNS1_11target_archE906ELNS1_3gpuE6ELNS1_3repE0EEENS1_30default_config_static_selectorELNS0_4arch9wavefront6targetE0EEEvT1_,"axG",@progbits,_ZN7rocprim17ROCPRIM_400000_NS6detail17trampoline_kernelINS0_14default_configENS1_27scan_by_key_config_selectorIiiEEZZNS1_16scan_by_key_implILNS1_25lookback_scan_determinismE0ELb0ES3_PKiN6hipcub16HIPCUB_304000_NS21ConstantInputIteratorIilEEPiiNSB_3SumENSB_8EqualityEiEE10hipError_tPvRmT2_T3_T4_T5_mT6_T7_P12ihipStream_tbENKUlT_T0_E_clISt17integral_constantIbLb1EESX_EEDaSS_ST_EUlSS_E_NS1_11comp_targetILNS1_3genE2ELNS1_11target_archE906ELNS1_3gpuE6ELNS1_3repE0EEENS1_30default_config_static_selectorELNS0_4arch9wavefront6targetE0EEEvT1_,comdat
.Lfunc_end26:
	.size	_ZN7rocprim17ROCPRIM_400000_NS6detail17trampoline_kernelINS0_14default_configENS1_27scan_by_key_config_selectorIiiEEZZNS1_16scan_by_key_implILNS1_25lookback_scan_determinismE0ELb0ES3_PKiN6hipcub16HIPCUB_304000_NS21ConstantInputIteratorIilEEPiiNSB_3SumENSB_8EqualityEiEE10hipError_tPvRmT2_T3_T4_T5_mT6_T7_P12ihipStream_tbENKUlT_T0_E_clISt17integral_constantIbLb1EESX_EEDaSS_ST_EUlSS_E_NS1_11comp_targetILNS1_3genE2ELNS1_11target_archE906ELNS1_3gpuE6ELNS1_3repE0EEENS1_30default_config_static_selectorELNS0_4arch9wavefront6targetE0EEEvT1_, .Lfunc_end26-_ZN7rocprim17ROCPRIM_400000_NS6detail17trampoline_kernelINS0_14default_configENS1_27scan_by_key_config_selectorIiiEEZZNS1_16scan_by_key_implILNS1_25lookback_scan_determinismE0ELb0ES3_PKiN6hipcub16HIPCUB_304000_NS21ConstantInputIteratorIilEEPiiNSB_3SumENSB_8EqualityEiEE10hipError_tPvRmT2_T3_T4_T5_mT6_T7_P12ihipStream_tbENKUlT_T0_E_clISt17integral_constantIbLb1EESX_EEDaSS_ST_EUlSS_E_NS1_11comp_targetILNS1_3genE2ELNS1_11target_archE906ELNS1_3gpuE6ELNS1_3repE0EEENS1_30default_config_static_selectorELNS0_4arch9wavefront6targetE0EEEvT1_
                                        ; -- End function
	.set _ZN7rocprim17ROCPRIM_400000_NS6detail17trampoline_kernelINS0_14default_configENS1_27scan_by_key_config_selectorIiiEEZZNS1_16scan_by_key_implILNS1_25lookback_scan_determinismE0ELb0ES3_PKiN6hipcub16HIPCUB_304000_NS21ConstantInputIteratorIilEEPiiNSB_3SumENSB_8EqualityEiEE10hipError_tPvRmT2_T3_T4_T5_mT6_T7_P12ihipStream_tbENKUlT_T0_E_clISt17integral_constantIbLb1EESX_EEDaSS_ST_EUlSS_E_NS1_11comp_targetILNS1_3genE2ELNS1_11target_archE906ELNS1_3gpuE6ELNS1_3repE0EEENS1_30default_config_static_selectorELNS0_4arch9wavefront6targetE0EEEvT1_.num_vgpr, 0
	.set _ZN7rocprim17ROCPRIM_400000_NS6detail17trampoline_kernelINS0_14default_configENS1_27scan_by_key_config_selectorIiiEEZZNS1_16scan_by_key_implILNS1_25lookback_scan_determinismE0ELb0ES3_PKiN6hipcub16HIPCUB_304000_NS21ConstantInputIteratorIilEEPiiNSB_3SumENSB_8EqualityEiEE10hipError_tPvRmT2_T3_T4_T5_mT6_T7_P12ihipStream_tbENKUlT_T0_E_clISt17integral_constantIbLb1EESX_EEDaSS_ST_EUlSS_E_NS1_11comp_targetILNS1_3genE2ELNS1_11target_archE906ELNS1_3gpuE6ELNS1_3repE0EEENS1_30default_config_static_selectorELNS0_4arch9wavefront6targetE0EEEvT1_.num_agpr, 0
	.set _ZN7rocprim17ROCPRIM_400000_NS6detail17trampoline_kernelINS0_14default_configENS1_27scan_by_key_config_selectorIiiEEZZNS1_16scan_by_key_implILNS1_25lookback_scan_determinismE0ELb0ES3_PKiN6hipcub16HIPCUB_304000_NS21ConstantInputIteratorIilEEPiiNSB_3SumENSB_8EqualityEiEE10hipError_tPvRmT2_T3_T4_T5_mT6_T7_P12ihipStream_tbENKUlT_T0_E_clISt17integral_constantIbLb1EESX_EEDaSS_ST_EUlSS_E_NS1_11comp_targetILNS1_3genE2ELNS1_11target_archE906ELNS1_3gpuE6ELNS1_3repE0EEENS1_30default_config_static_selectorELNS0_4arch9wavefront6targetE0EEEvT1_.numbered_sgpr, 0
	.set _ZN7rocprim17ROCPRIM_400000_NS6detail17trampoline_kernelINS0_14default_configENS1_27scan_by_key_config_selectorIiiEEZZNS1_16scan_by_key_implILNS1_25lookback_scan_determinismE0ELb0ES3_PKiN6hipcub16HIPCUB_304000_NS21ConstantInputIteratorIilEEPiiNSB_3SumENSB_8EqualityEiEE10hipError_tPvRmT2_T3_T4_T5_mT6_T7_P12ihipStream_tbENKUlT_T0_E_clISt17integral_constantIbLb1EESX_EEDaSS_ST_EUlSS_E_NS1_11comp_targetILNS1_3genE2ELNS1_11target_archE906ELNS1_3gpuE6ELNS1_3repE0EEENS1_30default_config_static_selectorELNS0_4arch9wavefront6targetE0EEEvT1_.num_named_barrier, 0
	.set _ZN7rocprim17ROCPRIM_400000_NS6detail17trampoline_kernelINS0_14default_configENS1_27scan_by_key_config_selectorIiiEEZZNS1_16scan_by_key_implILNS1_25lookback_scan_determinismE0ELb0ES3_PKiN6hipcub16HIPCUB_304000_NS21ConstantInputIteratorIilEEPiiNSB_3SumENSB_8EqualityEiEE10hipError_tPvRmT2_T3_T4_T5_mT6_T7_P12ihipStream_tbENKUlT_T0_E_clISt17integral_constantIbLb1EESX_EEDaSS_ST_EUlSS_E_NS1_11comp_targetILNS1_3genE2ELNS1_11target_archE906ELNS1_3gpuE6ELNS1_3repE0EEENS1_30default_config_static_selectorELNS0_4arch9wavefront6targetE0EEEvT1_.private_seg_size, 0
	.set _ZN7rocprim17ROCPRIM_400000_NS6detail17trampoline_kernelINS0_14default_configENS1_27scan_by_key_config_selectorIiiEEZZNS1_16scan_by_key_implILNS1_25lookback_scan_determinismE0ELb0ES3_PKiN6hipcub16HIPCUB_304000_NS21ConstantInputIteratorIilEEPiiNSB_3SumENSB_8EqualityEiEE10hipError_tPvRmT2_T3_T4_T5_mT6_T7_P12ihipStream_tbENKUlT_T0_E_clISt17integral_constantIbLb1EESX_EEDaSS_ST_EUlSS_E_NS1_11comp_targetILNS1_3genE2ELNS1_11target_archE906ELNS1_3gpuE6ELNS1_3repE0EEENS1_30default_config_static_selectorELNS0_4arch9wavefront6targetE0EEEvT1_.uses_vcc, 0
	.set _ZN7rocprim17ROCPRIM_400000_NS6detail17trampoline_kernelINS0_14default_configENS1_27scan_by_key_config_selectorIiiEEZZNS1_16scan_by_key_implILNS1_25lookback_scan_determinismE0ELb0ES3_PKiN6hipcub16HIPCUB_304000_NS21ConstantInputIteratorIilEEPiiNSB_3SumENSB_8EqualityEiEE10hipError_tPvRmT2_T3_T4_T5_mT6_T7_P12ihipStream_tbENKUlT_T0_E_clISt17integral_constantIbLb1EESX_EEDaSS_ST_EUlSS_E_NS1_11comp_targetILNS1_3genE2ELNS1_11target_archE906ELNS1_3gpuE6ELNS1_3repE0EEENS1_30default_config_static_selectorELNS0_4arch9wavefront6targetE0EEEvT1_.uses_flat_scratch, 0
	.set _ZN7rocprim17ROCPRIM_400000_NS6detail17trampoline_kernelINS0_14default_configENS1_27scan_by_key_config_selectorIiiEEZZNS1_16scan_by_key_implILNS1_25lookback_scan_determinismE0ELb0ES3_PKiN6hipcub16HIPCUB_304000_NS21ConstantInputIteratorIilEEPiiNSB_3SumENSB_8EqualityEiEE10hipError_tPvRmT2_T3_T4_T5_mT6_T7_P12ihipStream_tbENKUlT_T0_E_clISt17integral_constantIbLb1EESX_EEDaSS_ST_EUlSS_E_NS1_11comp_targetILNS1_3genE2ELNS1_11target_archE906ELNS1_3gpuE6ELNS1_3repE0EEENS1_30default_config_static_selectorELNS0_4arch9wavefront6targetE0EEEvT1_.has_dyn_sized_stack, 0
	.set _ZN7rocprim17ROCPRIM_400000_NS6detail17trampoline_kernelINS0_14default_configENS1_27scan_by_key_config_selectorIiiEEZZNS1_16scan_by_key_implILNS1_25lookback_scan_determinismE0ELb0ES3_PKiN6hipcub16HIPCUB_304000_NS21ConstantInputIteratorIilEEPiiNSB_3SumENSB_8EqualityEiEE10hipError_tPvRmT2_T3_T4_T5_mT6_T7_P12ihipStream_tbENKUlT_T0_E_clISt17integral_constantIbLb1EESX_EEDaSS_ST_EUlSS_E_NS1_11comp_targetILNS1_3genE2ELNS1_11target_archE906ELNS1_3gpuE6ELNS1_3repE0EEENS1_30default_config_static_selectorELNS0_4arch9wavefront6targetE0EEEvT1_.has_recursion, 0
	.set _ZN7rocprim17ROCPRIM_400000_NS6detail17trampoline_kernelINS0_14default_configENS1_27scan_by_key_config_selectorIiiEEZZNS1_16scan_by_key_implILNS1_25lookback_scan_determinismE0ELb0ES3_PKiN6hipcub16HIPCUB_304000_NS21ConstantInputIteratorIilEEPiiNSB_3SumENSB_8EqualityEiEE10hipError_tPvRmT2_T3_T4_T5_mT6_T7_P12ihipStream_tbENKUlT_T0_E_clISt17integral_constantIbLb1EESX_EEDaSS_ST_EUlSS_E_NS1_11comp_targetILNS1_3genE2ELNS1_11target_archE906ELNS1_3gpuE6ELNS1_3repE0EEENS1_30default_config_static_selectorELNS0_4arch9wavefront6targetE0EEEvT1_.has_indirect_call, 0
	.section	.AMDGPU.csdata,"",@progbits
; Kernel info:
; codeLenInByte = 0
; TotalNumSgprs: 0
; NumVgprs: 0
; ScratchSize: 0
; MemoryBound: 0
; FloatMode: 240
; IeeeMode: 1
; LDSByteSize: 0 bytes/workgroup (compile time only)
; SGPRBlocks: 0
; VGPRBlocks: 0
; NumSGPRsForWavesPerEU: 1
; NumVGPRsForWavesPerEU: 1
; Occupancy: 16
; WaveLimiterHint : 0
; COMPUTE_PGM_RSRC2:SCRATCH_EN: 0
; COMPUTE_PGM_RSRC2:USER_SGPR: 6
; COMPUTE_PGM_RSRC2:TRAP_HANDLER: 0
; COMPUTE_PGM_RSRC2:TGID_X_EN: 1
; COMPUTE_PGM_RSRC2:TGID_Y_EN: 0
; COMPUTE_PGM_RSRC2:TGID_Z_EN: 0
; COMPUTE_PGM_RSRC2:TIDIG_COMP_CNT: 0
	.section	.text._ZN7rocprim17ROCPRIM_400000_NS6detail17trampoline_kernelINS0_14default_configENS1_27scan_by_key_config_selectorIiiEEZZNS1_16scan_by_key_implILNS1_25lookback_scan_determinismE0ELb0ES3_PKiN6hipcub16HIPCUB_304000_NS21ConstantInputIteratorIilEEPiiNSB_3SumENSB_8EqualityEiEE10hipError_tPvRmT2_T3_T4_T5_mT6_T7_P12ihipStream_tbENKUlT_T0_E_clISt17integral_constantIbLb1EESX_EEDaSS_ST_EUlSS_E_NS1_11comp_targetILNS1_3genE10ELNS1_11target_archE1200ELNS1_3gpuE4ELNS1_3repE0EEENS1_30default_config_static_selectorELNS0_4arch9wavefront6targetE0EEEvT1_,"axG",@progbits,_ZN7rocprim17ROCPRIM_400000_NS6detail17trampoline_kernelINS0_14default_configENS1_27scan_by_key_config_selectorIiiEEZZNS1_16scan_by_key_implILNS1_25lookback_scan_determinismE0ELb0ES3_PKiN6hipcub16HIPCUB_304000_NS21ConstantInputIteratorIilEEPiiNSB_3SumENSB_8EqualityEiEE10hipError_tPvRmT2_T3_T4_T5_mT6_T7_P12ihipStream_tbENKUlT_T0_E_clISt17integral_constantIbLb1EESX_EEDaSS_ST_EUlSS_E_NS1_11comp_targetILNS1_3genE10ELNS1_11target_archE1200ELNS1_3gpuE4ELNS1_3repE0EEENS1_30default_config_static_selectorELNS0_4arch9wavefront6targetE0EEEvT1_,comdat
	.protected	_ZN7rocprim17ROCPRIM_400000_NS6detail17trampoline_kernelINS0_14default_configENS1_27scan_by_key_config_selectorIiiEEZZNS1_16scan_by_key_implILNS1_25lookback_scan_determinismE0ELb0ES3_PKiN6hipcub16HIPCUB_304000_NS21ConstantInputIteratorIilEEPiiNSB_3SumENSB_8EqualityEiEE10hipError_tPvRmT2_T3_T4_T5_mT6_T7_P12ihipStream_tbENKUlT_T0_E_clISt17integral_constantIbLb1EESX_EEDaSS_ST_EUlSS_E_NS1_11comp_targetILNS1_3genE10ELNS1_11target_archE1200ELNS1_3gpuE4ELNS1_3repE0EEENS1_30default_config_static_selectorELNS0_4arch9wavefront6targetE0EEEvT1_ ; -- Begin function _ZN7rocprim17ROCPRIM_400000_NS6detail17trampoline_kernelINS0_14default_configENS1_27scan_by_key_config_selectorIiiEEZZNS1_16scan_by_key_implILNS1_25lookback_scan_determinismE0ELb0ES3_PKiN6hipcub16HIPCUB_304000_NS21ConstantInputIteratorIilEEPiiNSB_3SumENSB_8EqualityEiEE10hipError_tPvRmT2_T3_T4_T5_mT6_T7_P12ihipStream_tbENKUlT_T0_E_clISt17integral_constantIbLb1EESX_EEDaSS_ST_EUlSS_E_NS1_11comp_targetILNS1_3genE10ELNS1_11target_archE1200ELNS1_3gpuE4ELNS1_3repE0EEENS1_30default_config_static_selectorELNS0_4arch9wavefront6targetE0EEEvT1_
	.globl	_ZN7rocprim17ROCPRIM_400000_NS6detail17trampoline_kernelINS0_14default_configENS1_27scan_by_key_config_selectorIiiEEZZNS1_16scan_by_key_implILNS1_25lookback_scan_determinismE0ELb0ES3_PKiN6hipcub16HIPCUB_304000_NS21ConstantInputIteratorIilEEPiiNSB_3SumENSB_8EqualityEiEE10hipError_tPvRmT2_T3_T4_T5_mT6_T7_P12ihipStream_tbENKUlT_T0_E_clISt17integral_constantIbLb1EESX_EEDaSS_ST_EUlSS_E_NS1_11comp_targetILNS1_3genE10ELNS1_11target_archE1200ELNS1_3gpuE4ELNS1_3repE0EEENS1_30default_config_static_selectorELNS0_4arch9wavefront6targetE0EEEvT1_
	.p2align	8
	.type	_ZN7rocprim17ROCPRIM_400000_NS6detail17trampoline_kernelINS0_14default_configENS1_27scan_by_key_config_selectorIiiEEZZNS1_16scan_by_key_implILNS1_25lookback_scan_determinismE0ELb0ES3_PKiN6hipcub16HIPCUB_304000_NS21ConstantInputIteratorIilEEPiiNSB_3SumENSB_8EqualityEiEE10hipError_tPvRmT2_T3_T4_T5_mT6_T7_P12ihipStream_tbENKUlT_T0_E_clISt17integral_constantIbLb1EESX_EEDaSS_ST_EUlSS_E_NS1_11comp_targetILNS1_3genE10ELNS1_11target_archE1200ELNS1_3gpuE4ELNS1_3repE0EEENS1_30default_config_static_selectorELNS0_4arch9wavefront6targetE0EEEvT1_,@function
_ZN7rocprim17ROCPRIM_400000_NS6detail17trampoline_kernelINS0_14default_configENS1_27scan_by_key_config_selectorIiiEEZZNS1_16scan_by_key_implILNS1_25lookback_scan_determinismE0ELb0ES3_PKiN6hipcub16HIPCUB_304000_NS21ConstantInputIteratorIilEEPiiNSB_3SumENSB_8EqualityEiEE10hipError_tPvRmT2_T3_T4_T5_mT6_T7_P12ihipStream_tbENKUlT_T0_E_clISt17integral_constantIbLb1EESX_EEDaSS_ST_EUlSS_E_NS1_11comp_targetILNS1_3genE10ELNS1_11target_archE1200ELNS1_3gpuE4ELNS1_3repE0EEENS1_30default_config_static_selectorELNS0_4arch9wavefront6targetE0EEEvT1_: ; @_ZN7rocprim17ROCPRIM_400000_NS6detail17trampoline_kernelINS0_14default_configENS1_27scan_by_key_config_selectorIiiEEZZNS1_16scan_by_key_implILNS1_25lookback_scan_determinismE0ELb0ES3_PKiN6hipcub16HIPCUB_304000_NS21ConstantInputIteratorIilEEPiiNSB_3SumENSB_8EqualityEiEE10hipError_tPvRmT2_T3_T4_T5_mT6_T7_P12ihipStream_tbENKUlT_T0_E_clISt17integral_constantIbLb1EESX_EEDaSS_ST_EUlSS_E_NS1_11comp_targetILNS1_3genE10ELNS1_11target_archE1200ELNS1_3gpuE4ELNS1_3repE0EEENS1_30default_config_static_selectorELNS0_4arch9wavefront6targetE0EEEvT1_
; %bb.0:
	.section	.rodata,"a",@progbits
	.p2align	6, 0x0
	.amdhsa_kernel _ZN7rocprim17ROCPRIM_400000_NS6detail17trampoline_kernelINS0_14default_configENS1_27scan_by_key_config_selectorIiiEEZZNS1_16scan_by_key_implILNS1_25lookback_scan_determinismE0ELb0ES3_PKiN6hipcub16HIPCUB_304000_NS21ConstantInputIteratorIilEEPiiNSB_3SumENSB_8EqualityEiEE10hipError_tPvRmT2_T3_T4_T5_mT6_T7_P12ihipStream_tbENKUlT_T0_E_clISt17integral_constantIbLb1EESX_EEDaSS_ST_EUlSS_E_NS1_11comp_targetILNS1_3genE10ELNS1_11target_archE1200ELNS1_3gpuE4ELNS1_3repE0EEENS1_30default_config_static_selectorELNS0_4arch9wavefront6targetE0EEEvT1_
		.amdhsa_group_segment_fixed_size 0
		.amdhsa_private_segment_fixed_size 0
		.amdhsa_kernarg_size 120
		.amdhsa_user_sgpr_count 6
		.amdhsa_user_sgpr_private_segment_buffer 1
		.amdhsa_user_sgpr_dispatch_ptr 0
		.amdhsa_user_sgpr_queue_ptr 0
		.amdhsa_user_sgpr_kernarg_segment_ptr 1
		.amdhsa_user_sgpr_dispatch_id 0
		.amdhsa_user_sgpr_flat_scratch_init 0
		.amdhsa_user_sgpr_private_segment_size 0
		.amdhsa_wavefront_size32 1
		.amdhsa_uses_dynamic_stack 0
		.amdhsa_system_sgpr_private_segment_wavefront_offset 0
		.amdhsa_system_sgpr_workgroup_id_x 1
		.amdhsa_system_sgpr_workgroup_id_y 0
		.amdhsa_system_sgpr_workgroup_id_z 0
		.amdhsa_system_sgpr_workgroup_info 0
		.amdhsa_system_vgpr_workitem_id 0
		.amdhsa_next_free_vgpr 1
		.amdhsa_next_free_sgpr 1
		.amdhsa_reserve_vcc 0
		.amdhsa_reserve_flat_scratch 0
		.amdhsa_float_round_mode_32 0
		.amdhsa_float_round_mode_16_64 0
		.amdhsa_float_denorm_mode_32 3
		.amdhsa_float_denorm_mode_16_64 3
		.amdhsa_dx10_clamp 1
		.amdhsa_ieee_mode 1
		.amdhsa_fp16_overflow 0
		.amdhsa_workgroup_processor_mode 1
		.amdhsa_memory_ordered 1
		.amdhsa_forward_progress 1
		.amdhsa_shared_vgpr_count 0
		.amdhsa_exception_fp_ieee_invalid_op 0
		.amdhsa_exception_fp_denorm_src 0
		.amdhsa_exception_fp_ieee_div_zero 0
		.amdhsa_exception_fp_ieee_overflow 0
		.amdhsa_exception_fp_ieee_underflow 0
		.amdhsa_exception_fp_ieee_inexact 0
		.amdhsa_exception_int_div_zero 0
	.end_amdhsa_kernel
	.section	.text._ZN7rocprim17ROCPRIM_400000_NS6detail17trampoline_kernelINS0_14default_configENS1_27scan_by_key_config_selectorIiiEEZZNS1_16scan_by_key_implILNS1_25lookback_scan_determinismE0ELb0ES3_PKiN6hipcub16HIPCUB_304000_NS21ConstantInputIteratorIilEEPiiNSB_3SumENSB_8EqualityEiEE10hipError_tPvRmT2_T3_T4_T5_mT6_T7_P12ihipStream_tbENKUlT_T0_E_clISt17integral_constantIbLb1EESX_EEDaSS_ST_EUlSS_E_NS1_11comp_targetILNS1_3genE10ELNS1_11target_archE1200ELNS1_3gpuE4ELNS1_3repE0EEENS1_30default_config_static_selectorELNS0_4arch9wavefront6targetE0EEEvT1_,"axG",@progbits,_ZN7rocprim17ROCPRIM_400000_NS6detail17trampoline_kernelINS0_14default_configENS1_27scan_by_key_config_selectorIiiEEZZNS1_16scan_by_key_implILNS1_25lookback_scan_determinismE0ELb0ES3_PKiN6hipcub16HIPCUB_304000_NS21ConstantInputIteratorIilEEPiiNSB_3SumENSB_8EqualityEiEE10hipError_tPvRmT2_T3_T4_T5_mT6_T7_P12ihipStream_tbENKUlT_T0_E_clISt17integral_constantIbLb1EESX_EEDaSS_ST_EUlSS_E_NS1_11comp_targetILNS1_3genE10ELNS1_11target_archE1200ELNS1_3gpuE4ELNS1_3repE0EEENS1_30default_config_static_selectorELNS0_4arch9wavefront6targetE0EEEvT1_,comdat
.Lfunc_end27:
	.size	_ZN7rocprim17ROCPRIM_400000_NS6detail17trampoline_kernelINS0_14default_configENS1_27scan_by_key_config_selectorIiiEEZZNS1_16scan_by_key_implILNS1_25lookback_scan_determinismE0ELb0ES3_PKiN6hipcub16HIPCUB_304000_NS21ConstantInputIteratorIilEEPiiNSB_3SumENSB_8EqualityEiEE10hipError_tPvRmT2_T3_T4_T5_mT6_T7_P12ihipStream_tbENKUlT_T0_E_clISt17integral_constantIbLb1EESX_EEDaSS_ST_EUlSS_E_NS1_11comp_targetILNS1_3genE10ELNS1_11target_archE1200ELNS1_3gpuE4ELNS1_3repE0EEENS1_30default_config_static_selectorELNS0_4arch9wavefront6targetE0EEEvT1_, .Lfunc_end27-_ZN7rocprim17ROCPRIM_400000_NS6detail17trampoline_kernelINS0_14default_configENS1_27scan_by_key_config_selectorIiiEEZZNS1_16scan_by_key_implILNS1_25lookback_scan_determinismE0ELb0ES3_PKiN6hipcub16HIPCUB_304000_NS21ConstantInputIteratorIilEEPiiNSB_3SumENSB_8EqualityEiEE10hipError_tPvRmT2_T3_T4_T5_mT6_T7_P12ihipStream_tbENKUlT_T0_E_clISt17integral_constantIbLb1EESX_EEDaSS_ST_EUlSS_E_NS1_11comp_targetILNS1_3genE10ELNS1_11target_archE1200ELNS1_3gpuE4ELNS1_3repE0EEENS1_30default_config_static_selectorELNS0_4arch9wavefront6targetE0EEEvT1_
                                        ; -- End function
	.set _ZN7rocprim17ROCPRIM_400000_NS6detail17trampoline_kernelINS0_14default_configENS1_27scan_by_key_config_selectorIiiEEZZNS1_16scan_by_key_implILNS1_25lookback_scan_determinismE0ELb0ES3_PKiN6hipcub16HIPCUB_304000_NS21ConstantInputIteratorIilEEPiiNSB_3SumENSB_8EqualityEiEE10hipError_tPvRmT2_T3_T4_T5_mT6_T7_P12ihipStream_tbENKUlT_T0_E_clISt17integral_constantIbLb1EESX_EEDaSS_ST_EUlSS_E_NS1_11comp_targetILNS1_3genE10ELNS1_11target_archE1200ELNS1_3gpuE4ELNS1_3repE0EEENS1_30default_config_static_selectorELNS0_4arch9wavefront6targetE0EEEvT1_.num_vgpr, 0
	.set _ZN7rocprim17ROCPRIM_400000_NS6detail17trampoline_kernelINS0_14default_configENS1_27scan_by_key_config_selectorIiiEEZZNS1_16scan_by_key_implILNS1_25lookback_scan_determinismE0ELb0ES3_PKiN6hipcub16HIPCUB_304000_NS21ConstantInputIteratorIilEEPiiNSB_3SumENSB_8EqualityEiEE10hipError_tPvRmT2_T3_T4_T5_mT6_T7_P12ihipStream_tbENKUlT_T0_E_clISt17integral_constantIbLb1EESX_EEDaSS_ST_EUlSS_E_NS1_11comp_targetILNS1_3genE10ELNS1_11target_archE1200ELNS1_3gpuE4ELNS1_3repE0EEENS1_30default_config_static_selectorELNS0_4arch9wavefront6targetE0EEEvT1_.num_agpr, 0
	.set _ZN7rocprim17ROCPRIM_400000_NS6detail17trampoline_kernelINS0_14default_configENS1_27scan_by_key_config_selectorIiiEEZZNS1_16scan_by_key_implILNS1_25lookback_scan_determinismE0ELb0ES3_PKiN6hipcub16HIPCUB_304000_NS21ConstantInputIteratorIilEEPiiNSB_3SumENSB_8EqualityEiEE10hipError_tPvRmT2_T3_T4_T5_mT6_T7_P12ihipStream_tbENKUlT_T0_E_clISt17integral_constantIbLb1EESX_EEDaSS_ST_EUlSS_E_NS1_11comp_targetILNS1_3genE10ELNS1_11target_archE1200ELNS1_3gpuE4ELNS1_3repE0EEENS1_30default_config_static_selectorELNS0_4arch9wavefront6targetE0EEEvT1_.numbered_sgpr, 0
	.set _ZN7rocprim17ROCPRIM_400000_NS6detail17trampoline_kernelINS0_14default_configENS1_27scan_by_key_config_selectorIiiEEZZNS1_16scan_by_key_implILNS1_25lookback_scan_determinismE0ELb0ES3_PKiN6hipcub16HIPCUB_304000_NS21ConstantInputIteratorIilEEPiiNSB_3SumENSB_8EqualityEiEE10hipError_tPvRmT2_T3_T4_T5_mT6_T7_P12ihipStream_tbENKUlT_T0_E_clISt17integral_constantIbLb1EESX_EEDaSS_ST_EUlSS_E_NS1_11comp_targetILNS1_3genE10ELNS1_11target_archE1200ELNS1_3gpuE4ELNS1_3repE0EEENS1_30default_config_static_selectorELNS0_4arch9wavefront6targetE0EEEvT1_.num_named_barrier, 0
	.set _ZN7rocprim17ROCPRIM_400000_NS6detail17trampoline_kernelINS0_14default_configENS1_27scan_by_key_config_selectorIiiEEZZNS1_16scan_by_key_implILNS1_25lookback_scan_determinismE0ELb0ES3_PKiN6hipcub16HIPCUB_304000_NS21ConstantInputIteratorIilEEPiiNSB_3SumENSB_8EqualityEiEE10hipError_tPvRmT2_T3_T4_T5_mT6_T7_P12ihipStream_tbENKUlT_T0_E_clISt17integral_constantIbLb1EESX_EEDaSS_ST_EUlSS_E_NS1_11comp_targetILNS1_3genE10ELNS1_11target_archE1200ELNS1_3gpuE4ELNS1_3repE0EEENS1_30default_config_static_selectorELNS0_4arch9wavefront6targetE0EEEvT1_.private_seg_size, 0
	.set _ZN7rocprim17ROCPRIM_400000_NS6detail17trampoline_kernelINS0_14default_configENS1_27scan_by_key_config_selectorIiiEEZZNS1_16scan_by_key_implILNS1_25lookback_scan_determinismE0ELb0ES3_PKiN6hipcub16HIPCUB_304000_NS21ConstantInputIteratorIilEEPiiNSB_3SumENSB_8EqualityEiEE10hipError_tPvRmT2_T3_T4_T5_mT6_T7_P12ihipStream_tbENKUlT_T0_E_clISt17integral_constantIbLb1EESX_EEDaSS_ST_EUlSS_E_NS1_11comp_targetILNS1_3genE10ELNS1_11target_archE1200ELNS1_3gpuE4ELNS1_3repE0EEENS1_30default_config_static_selectorELNS0_4arch9wavefront6targetE0EEEvT1_.uses_vcc, 0
	.set _ZN7rocprim17ROCPRIM_400000_NS6detail17trampoline_kernelINS0_14default_configENS1_27scan_by_key_config_selectorIiiEEZZNS1_16scan_by_key_implILNS1_25lookback_scan_determinismE0ELb0ES3_PKiN6hipcub16HIPCUB_304000_NS21ConstantInputIteratorIilEEPiiNSB_3SumENSB_8EqualityEiEE10hipError_tPvRmT2_T3_T4_T5_mT6_T7_P12ihipStream_tbENKUlT_T0_E_clISt17integral_constantIbLb1EESX_EEDaSS_ST_EUlSS_E_NS1_11comp_targetILNS1_3genE10ELNS1_11target_archE1200ELNS1_3gpuE4ELNS1_3repE0EEENS1_30default_config_static_selectorELNS0_4arch9wavefront6targetE0EEEvT1_.uses_flat_scratch, 0
	.set _ZN7rocprim17ROCPRIM_400000_NS6detail17trampoline_kernelINS0_14default_configENS1_27scan_by_key_config_selectorIiiEEZZNS1_16scan_by_key_implILNS1_25lookback_scan_determinismE0ELb0ES3_PKiN6hipcub16HIPCUB_304000_NS21ConstantInputIteratorIilEEPiiNSB_3SumENSB_8EqualityEiEE10hipError_tPvRmT2_T3_T4_T5_mT6_T7_P12ihipStream_tbENKUlT_T0_E_clISt17integral_constantIbLb1EESX_EEDaSS_ST_EUlSS_E_NS1_11comp_targetILNS1_3genE10ELNS1_11target_archE1200ELNS1_3gpuE4ELNS1_3repE0EEENS1_30default_config_static_selectorELNS0_4arch9wavefront6targetE0EEEvT1_.has_dyn_sized_stack, 0
	.set _ZN7rocprim17ROCPRIM_400000_NS6detail17trampoline_kernelINS0_14default_configENS1_27scan_by_key_config_selectorIiiEEZZNS1_16scan_by_key_implILNS1_25lookback_scan_determinismE0ELb0ES3_PKiN6hipcub16HIPCUB_304000_NS21ConstantInputIteratorIilEEPiiNSB_3SumENSB_8EqualityEiEE10hipError_tPvRmT2_T3_T4_T5_mT6_T7_P12ihipStream_tbENKUlT_T0_E_clISt17integral_constantIbLb1EESX_EEDaSS_ST_EUlSS_E_NS1_11comp_targetILNS1_3genE10ELNS1_11target_archE1200ELNS1_3gpuE4ELNS1_3repE0EEENS1_30default_config_static_selectorELNS0_4arch9wavefront6targetE0EEEvT1_.has_recursion, 0
	.set _ZN7rocprim17ROCPRIM_400000_NS6detail17trampoline_kernelINS0_14default_configENS1_27scan_by_key_config_selectorIiiEEZZNS1_16scan_by_key_implILNS1_25lookback_scan_determinismE0ELb0ES3_PKiN6hipcub16HIPCUB_304000_NS21ConstantInputIteratorIilEEPiiNSB_3SumENSB_8EqualityEiEE10hipError_tPvRmT2_T3_T4_T5_mT6_T7_P12ihipStream_tbENKUlT_T0_E_clISt17integral_constantIbLb1EESX_EEDaSS_ST_EUlSS_E_NS1_11comp_targetILNS1_3genE10ELNS1_11target_archE1200ELNS1_3gpuE4ELNS1_3repE0EEENS1_30default_config_static_selectorELNS0_4arch9wavefront6targetE0EEEvT1_.has_indirect_call, 0
	.section	.AMDGPU.csdata,"",@progbits
; Kernel info:
; codeLenInByte = 0
; TotalNumSgprs: 0
; NumVgprs: 0
; ScratchSize: 0
; MemoryBound: 0
; FloatMode: 240
; IeeeMode: 1
; LDSByteSize: 0 bytes/workgroup (compile time only)
; SGPRBlocks: 0
; VGPRBlocks: 0
; NumSGPRsForWavesPerEU: 1
; NumVGPRsForWavesPerEU: 1
; Occupancy: 16
; WaveLimiterHint : 0
; COMPUTE_PGM_RSRC2:SCRATCH_EN: 0
; COMPUTE_PGM_RSRC2:USER_SGPR: 6
; COMPUTE_PGM_RSRC2:TRAP_HANDLER: 0
; COMPUTE_PGM_RSRC2:TGID_X_EN: 1
; COMPUTE_PGM_RSRC2:TGID_Y_EN: 0
; COMPUTE_PGM_RSRC2:TGID_Z_EN: 0
; COMPUTE_PGM_RSRC2:TIDIG_COMP_CNT: 0
	.section	.text._ZN7rocprim17ROCPRIM_400000_NS6detail17trampoline_kernelINS0_14default_configENS1_27scan_by_key_config_selectorIiiEEZZNS1_16scan_by_key_implILNS1_25lookback_scan_determinismE0ELb0ES3_PKiN6hipcub16HIPCUB_304000_NS21ConstantInputIteratorIilEEPiiNSB_3SumENSB_8EqualityEiEE10hipError_tPvRmT2_T3_T4_T5_mT6_T7_P12ihipStream_tbENKUlT_T0_E_clISt17integral_constantIbLb1EESX_EEDaSS_ST_EUlSS_E_NS1_11comp_targetILNS1_3genE9ELNS1_11target_archE1100ELNS1_3gpuE3ELNS1_3repE0EEENS1_30default_config_static_selectorELNS0_4arch9wavefront6targetE0EEEvT1_,"axG",@progbits,_ZN7rocprim17ROCPRIM_400000_NS6detail17trampoline_kernelINS0_14default_configENS1_27scan_by_key_config_selectorIiiEEZZNS1_16scan_by_key_implILNS1_25lookback_scan_determinismE0ELb0ES3_PKiN6hipcub16HIPCUB_304000_NS21ConstantInputIteratorIilEEPiiNSB_3SumENSB_8EqualityEiEE10hipError_tPvRmT2_T3_T4_T5_mT6_T7_P12ihipStream_tbENKUlT_T0_E_clISt17integral_constantIbLb1EESX_EEDaSS_ST_EUlSS_E_NS1_11comp_targetILNS1_3genE9ELNS1_11target_archE1100ELNS1_3gpuE3ELNS1_3repE0EEENS1_30default_config_static_selectorELNS0_4arch9wavefront6targetE0EEEvT1_,comdat
	.protected	_ZN7rocprim17ROCPRIM_400000_NS6detail17trampoline_kernelINS0_14default_configENS1_27scan_by_key_config_selectorIiiEEZZNS1_16scan_by_key_implILNS1_25lookback_scan_determinismE0ELb0ES3_PKiN6hipcub16HIPCUB_304000_NS21ConstantInputIteratorIilEEPiiNSB_3SumENSB_8EqualityEiEE10hipError_tPvRmT2_T3_T4_T5_mT6_T7_P12ihipStream_tbENKUlT_T0_E_clISt17integral_constantIbLb1EESX_EEDaSS_ST_EUlSS_E_NS1_11comp_targetILNS1_3genE9ELNS1_11target_archE1100ELNS1_3gpuE3ELNS1_3repE0EEENS1_30default_config_static_selectorELNS0_4arch9wavefront6targetE0EEEvT1_ ; -- Begin function _ZN7rocprim17ROCPRIM_400000_NS6detail17trampoline_kernelINS0_14default_configENS1_27scan_by_key_config_selectorIiiEEZZNS1_16scan_by_key_implILNS1_25lookback_scan_determinismE0ELb0ES3_PKiN6hipcub16HIPCUB_304000_NS21ConstantInputIteratorIilEEPiiNSB_3SumENSB_8EqualityEiEE10hipError_tPvRmT2_T3_T4_T5_mT6_T7_P12ihipStream_tbENKUlT_T0_E_clISt17integral_constantIbLb1EESX_EEDaSS_ST_EUlSS_E_NS1_11comp_targetILNS1_3genE9ELNS1_11target_archE1100ELNS1_3gpuE3ELNS1_3repE0EEENS1_30default_config_static_selectorELNS0_4arch9wavefront6targetE0EEEvT1_
	.globl	_ZN7rocprim17ROCPRIM_400000_NS6detail17trampoline_kernelINS0_14default_configENS1_27scan_by_key_config_selectorIiiEEZZNS1_16scan_by_key_implILNS1_25lookback_scan_determinismE0ELb0ES3_PKiN6hipcub16HIPCUB_304000_NS21ConstantInputIteratorIilEEPiiNSB_3SumENSB_8EqualityEiEE10hipError_tPvRmT2_T3_T4_T5_mT6_T7_P12ihipStream_tbENKUlT_T0_E_clISt17integral_constantIbLb1EESX_EEDaSS_ST_EUlSS_E_NS1_11comp_targetILNS1_3genE9ELNS1_11target_archE1100ELNS1_3gpuE3ELNS1_3repE0EEENS1_30default_config_static_selectorELNS0_4arch9wavefront6targetE0EEEvT1_
	.p2align	8
	.type	_ZN7rocprim17ROCPRIM_400000_NS6detail17trampoline_kernelINS0_14default_configENS1_27scan_by_key_config_selectorIiiEEZZNS1_16scan_by_key_implILNS1_25lookback_scan_determinismE0ELb0ES3_PKiN6hipcub16HIPCUB_304000_NS21ConstantInputIteratorIilEEPiiNSB_3SumENSB_8EqualityEiEE10hipError_tPvRmT2_T3_T4_T5_mT6_T7_P12ihipStream_tbENKUlT_T0_E_clISt17integral_constantIbLb1EESX_EEDaSS_ST_EUlSS_E_NS1_11comp_targetILNS1_3genE9ELNS1_11target_archE1100ELNS1_3gpuE3ELNS1_3repE0EEENS1_30default_config_static_selectorELNS0_4arch9wavefront6targetE0EEEvT1_,@function
_ZN7rocprim17ROCPRIM_400000_NS6detail17trampoline_kernelINS0_14default_configENS1_27scan_by_key_config_selectorIiiEEZZNS1_16scan_by_key_implILNS1_25lookback_scan_determinismE0ELb0ES3_PKiN6hipcub16HIPCUB_304000_NS21ConstantInputIteratorIilEEPiiNSB_3SumENSB_8EqualityEiEE10hipError_tPvRmT2_T3_T4_T5_mT6_T7_P12ihipStream_tbENKUlT_T0_E_clISt17integral_constantIbLb1EESX_EEDaSS_ST_EUlSS_E_NS1_11comp_targetILNS1_3genE9ELNS1_11target_archE1100ELNS1_3gpuE3ELNS1_3repE0EEENS1_30default_config_static_selectorELNS0_4arch9wavefront6targetE0EEEvT1_: ; @_ZN7rocprim17ROCPRIM_400000_NS6detail17trampoline_kernelINS0_14default_configENS1_27scan_by_key_config_selectorIiiEEZZNS1_16scan_by_key_implILNS1_25lookback_scan_determinismE0ELb0ES3_PKiN6hipcub16HIPCUB_304000_NS21ConstantInputIteratorIilEEPiiNSB_3SumENSB_8EqualityEiEE10hipError_tPvRmT2_T3_T4_T5_mT6_T7_P12ihipStream_tbENKUlT_T0_E_clISt17integral_constantIbLb1EESX_EEDaSS_ST_EUlSS_E_NS1_11comp_targetILNS1_3genE9ELNS1_11target_archE1100ELNS1_3gpuE3ELNS1_3repE0EEENS1_30default_config_static_selectorELNS0_4arch9wavefront6targetE0EEEvT1_
; %bb.0:
	.section	.rodata,"a",@progbits
	.p2align	6, 0x0
	.amdhsa_kernel _ZN7rocprim17ROCPRIM_400000_NS6detail17trampoline_kernelINS0_14default_configENS1_27scan_by_key_config_selectorIiiEEZZNS1_16scan_by_key_implILNS1_25lookback_scan_determinismE0ELb0ES3_PKiN6hipcub16HIPCUB_304000_NS21ConstantInputIteratorIilEEPiiNSB_3SumENSB_8EqualityEiEE10hipError_tPvRmT2_T3_T4_T5_mT6_T7_P12ihipStream_tbENKUlT_T0_E_clISt17integral_constantIbLb1EESX_EEDaSS_ST_EUlSS_E_NS1_11comp_targetILNS1_3genE9ELNS1_11target_archE1100ELNS1_3gpuE3ELNS1_3repE0EEENS1_30default_config_static_selectorELNS0_4arch9wavefront6targetE0EEEvT1_
		.amdhsa_group_segment_fixed_size 0
		.amdhsa_private_segment_fixed_size 0
		.amdhsa_kernarg_size 120
		.amdhsa_user_sgpr_count 6
		.amdhsa_user_sgpr_private_segment_buffer 1
		.amdhsa_user_sgpr_dispatch_ptr 0
		.amdhsa_user_sgpr_queue_ptr 0
		.amdhsa_user_sgpr_kernarg_segment_ptr 1
		.amdhsa_user_sgpr_dispatch_id 0
		.amdhsa_user_sgpr_flat_scratch_init 0
		.amdhsa_user_sgpr_private_segment_size 0
		.amdhsa_wavefront_size32 1
		.amdhsa_uses_dynamic_stack 0
		.amdhsa_system_sgpr_private_segment_wavefront_offset 0
		.amdhsa_system_sgpr_workgroup_id_x 1
		.amdhsa_system_sgpr_workgroup_id_y 0
		.amdhsa_system_sgpr_workgroup_id_z 0
		.amdhsa_system_sgpr_workgroup_info 0
		.amdhsa_system_vgpr_workitem_id 0
		.amdhsa_next_free_vgpr 1
		.amdhsa_next_free_sgpr 1
		.amdhsa_reserve_vcc 0
		.amdhsa_reserve_flat_scratch 0
		.amdhsa_float_round_mode_32 0
		.amdhsa_float_round_mode_16_64 0
		.amdhsa_float_denorm_mode_32 3
		.amdhsa_float_denorm_mode_16_64 3
		.amdhsa_dx10_clamp 1
		.amdhsa_ieee_mode 1
		.amdhsa_fp16_overflow 0
		.amdhsa_workgroup_processor_mode 1
		.amdhsa_memory_ordered 1
		.amdhsa_forward_progress 1
		.amdhsa_shared_vgpr_count 0
		.amdhsa_exception_fp_ieee_invalid_op 0
		.amdhsa_exception_fp_denorm_src 0
		.amdhsa_exception_fp_ieee_div_zero 0
		.amdhsa_exception_fp_ieee_overflow 0
		.amdhsa_exception_fp_ieee_underflow 0
		.amdhsa_exception_fp_ieee_inexact 0
		.amdhsa_exception_int_div_zero 0
	.end_amdhsa_kernel
	.section	.text._ZN7rocprim17ROCPRIM_400000_NS6detail17trampoline_kernelINS0_14default_configENS1_27scan_by_key_config_selectorIiiEEZZNS1_16scan_by_key_implILNS1_25lookback_scan_determinismE0ELb0ES3_PKiN6hipcub16HIPCUB_304000_NS21ConstantInputIteratorIilEEPiiNSB_3SumENSB_8EqualityEiEE10hipError_tPvRmT2_T3_T4_T5_mT6_T7_P12ihipStream_tbENKUlT_T0_E_clISt17integral_constantIbLb1EESX_EEDaSS_ST_EUlSS_E_NS1_11comp_targetILNS1_3genE9ELNS1_11target_archE1100ELNS1_3gpuE3ELNS1_3repE0EEENS1_30default_config_static_selectorELNS0_4arch9wavefront6targetE0EEEvT1_,"axG",@progbits,_ZN7rocprim17ROCPRIM_400000_NS6detail17trampoline_kernelINS0_14default_configENS1_27scan_by_key_config_selectorIiiEEZZNS1_16scan_by_key_implILNS1_25lookback_scan_determinismE0ELb0ES3_PKiN6hipcub16HIPCUB_304000_NS21ConstantInputIteratorIilEEPiiNSB_3SumENSB_8EqualityEiEE10hipError_tPvRmT2_T3_T4_T5_mT6_T7_P12ihipStream_tbENKUlT_T0_E_clISt17integral_constantIbLb1EESX_EEDaSS_ST_EUlSS_E_NS1_11comp_targetILNS1_3genE9ELNS1_11target_archE1100ELNS1_3gpuE3ELNS1_3repE0EEENS1_30default_config_static_selectorELNS0_4arch9wavefront6targetE0EEEvT1_,comdat
.Lfunc_end28:
	.size	_ZN7rocprim17ROCPRIM_400000_NS6detail17trampoline_kernelINS0_14default_configENS1_27scan_by_key_config_selectorIiiEEZZNS1_16scan_by_key_implILNS1_25lookback_scan_determinismE0ELb0ES3_PKiN6hipcub16HIPCUB_304000_NS21ConstantInputIteratorIilEEPiiNSB_3SumENSB_8EqualityEiEE10hipError_tPvRmT2_T3_T4_T5_mT6_T7_P12ihipStream_tbENKUlT_T0_E_clISt17integral_constantIbLb1EESX_EEDaSS_ST_EUlSS_E_NS1_11comp_targetILNS1_3genE9ELNS1_11target_archE1100ELNS1_3gpuE3ELNS1_3repE0EEENS1_30default_config_static_selectorELNS0_4arch9wavefront6targetE0EEEvT1_, .Lfunc_end28-_ZN7rocprim17ROCPRIM_400000_NS6detail17trampoline_kernelINS0_14default_configENS1_27scan_by_key_config_selectorIiiEEZZNS1_16scan_by_key_implILNS1_25lookback_scan_determinismE0ELb0ES3_PKiN6hipcub16HIPCUB_304000_NS21ConstantInputIteratorIilEEPiiNSB_3SumENSB_8EqualityEiEE10hipError_tPvRmT2_T3_T4_T5_mT6_T7_P12ihipStream_tbENKUlT_T0_E_clISt17integral_constantIbLb1EESX_EEDaSS_ST_EUlSS_E_NS1_11comp_targetILNS1_3genE9ELNS1_11target_archE1100ELNS1_3gpuE3ELNS1_3repE0EEENS1_30default_config_static_selectorELNS0_4arch9wavefront6targetE0EEEvT1_
                                        ; -- End function
	.set _ZN7rocprim17ROCPRIM_400000_NS6detail17trampoline_kernelINS0_14default_configENS1_27scan_by_key_config_selectorIiiEEZZNS1_16scan_by_key_implILNS1_25lookback_scan_determinismE0ELb0ES3_PKiN6hipcub16HIPCUB_304000_NS21ConstantInputIteratorIilEEPiiNSB_3SumENSB_8EqualityEiEE10hipError_tPvRmT2_T3_T4_T5_mT6_T7_P12ihipStream_tbENKUlT_T0_E_clISt17integral_constantIbLb1EESX_EEDaSS_ST_EUlSS_E_NS1_11comp_targetILNS1_3genE9ELNS1_11target_archE1100ELNS1_3gpuE3ELNS1_3repE0EEENS1_30default_config_static_selectorELNS0_4arch9wavefront6targetE0EEEvT1_.num_vgpr, 0
	.set _ZN7rocprim17ROCPRIM_400000_NS6detail17trampoline_kernelINS0_14default_configENS1_27scan_by_key_config_selectorIiiEEZZNS1_16scan_by_key_implILNS1_25lookback_scan_determinismE0ELb0ES3_PKiN6hipcub16HIPCUB_304000_NS21ConstantInputIteratorIilEEPiiNSB_3SumENSB_8EqualityEiEE10hipError_tPvRmT2_T3_T4_T5_mT6_T7_P12ihipStream_tbENKUlT_T0_E_clISt17integral_constantIbLb1EESX_EEDaSS_ST_EUlSS_E_NS1_11comp_targetILNS1_3genE9ELNS1_11target_archE1100ELNS1_3gpuE3ELNS1_3repE0EEENS1_30default_config_static_selectorELNS0_4arch9wavefront6targetE0EEEvT1_.num_agpr, 0
	.set _ZN7rocprim17ROCPRIM_400000_NS6detail17trampoline_kernelINS0_14default_configENS1_27scan_by_key_config_selectorIiiEEZZNS1_16scan_by_key_implILNS1_25lookback_scan_determinismE0ELb0ES3_PKiN6hipcub16HIPCUB_304000_NS21ConstantInputIteratorIilEEPiiNSB_3SumENSB_8EqualityEiEE10hipError_tPvRmT2_T3_T4_T5_mT6_T7_P12ihipStream_tbENKUlT_T0_E_clISt17integral_constantIbLb1EESX_EEDaSS_ST_EUlSS_E_NS1_11comp_targetILNS1_3genE9ELNS1_11target_archE1100ELNS1_3gpuE3ELNS1_3repE0EEENS1_30default_config_static_selectorELNS0_4arch9wavefront6targetE0EEEvT1_.numbered_sgpr, 0
	.set _ZN7rocprim17ROCPRIM_400000_NS6detail17trampoline_kernelINS0_14default_configENS1_27scan_by_key_config_selectorIiiEEZZNS1_16scan_by_key_implILNS1_25lookback_scan_determinismE0ELb0ES3_PKiN6hipcub16HIPCUB_304000_NS21ConstantInputIteratorIilEEPiiNSB_3SumENSB_8EqualityEiEE10hipError_tPvRmT2_T3_T4_T5_mT6_T7_P12ihipStream_tbENKUlT_T0_E_clISt17integral_constantIbLb1EESX_EEDaSS_ST_EUlSS_E_NS1_11comp_targetILNS1_3genE9ELNS1_11target_archE1100ELNS1_3gpuE3ELNS1_3repE0EEENS1_30default_config_static_selectorELNS0_4arch9wavefront6targetE0EEEvT1_.num_named_barrier, 0
	.set _ZN7rocprim17ROCPRIM_400000_NS6detail17trampoline_kernelINS0_14default_configENS1_27scan_by_key_config_selectorIiiEEZZNS1_16scan_by_key_implILNS1_25lookback_scan_determinismE0ELb0ES3_PKiN6hipcub16HIPCUB_304000_NS21ConstantInputIteratorIilEEPiiNSB_3SumENSB_8EqualityEiEE10hipError_tPvRmT2_T3_T4_T5_mT6_T7_P12ihipStream_tbENKUlT_T0_E_clISt17integral_constantIbLb1EESX_EEDaSS_ST_EUlSS_E_NS1_11comp_targetILNS1_3genE9ELNS1_11target_archE1100ELNS1_3gpuE3ELNS1_3repE0EEENS1_30default_config_static_selectorELNS0_4arch9wavefront6targetE0EEEvT1_.private_seg_size, 0
	.set _ZN7rocprim17ROCPRIM_400000_NS6detail17trampoline_kernelINS0_14default_configENS1_27scan_by_key_config_selectorIiiEEZZNS1_16scan_by_key_implILNS1_25lookback_scan_determinismE0ELb0ES3_PKiN6hipcub16HIPCUB_304000_NS21ConstantInputIteratorIilEEPiiNSB_3SumENSB_8EqualityEiEE10hipError_tPvRmT2_T3_T4_T5_mT6_T7_P12ihipStream_tbENKUlT_T0_E_clISt17integral_constantIbLb1EESX_EEDaSS_ST_EUlSS_E_NS1_11comp_targetILNS1_3genE9ELNS1_11target_archE1100ELNS1_3gpuE3ELNS1_3repE0EEENS1_30default_config_static_selectorELNS0_4arch9wavefront6targetE0EEEvT1_.uses_vcc, 0
	.set _ZN7rocprim17ROCPRIM_400000_NS6detail17trampoline_kernelINS0_14default_configENS1_27scan_by_key_config_selectorIiiEEZZNS1_16scan_by_key_implILNS1_25lookback_scan_determinismE0ELb0ES3_PKiN6hipcub16HIPCUB_304000_NS21ConstantInputIteratorIilEEPiiNSB_3SumENSB_8EqualityEiEE10hipError_tPvRmT2_T3_T4_T5_mT6_T7_P12ihipStream_tbENKUlT_T0_E_clISt17integral_constantIbLb1EESX_EEDaSS_ST_EUlSS_E_NS1_11comp_targetILNS1_3genE9ELNS1_11target_archE1100ELNS1_3gpuE3ELNS1_3repE0EEENS1_30default_config_static_selectorELNS0_4arch9wavefront6targetE0EEEvT1_.uses_flat_scratch, 0
	.set _ZN7rocprim17ROCPRIM_400000_NS6detail17trampoline_kernelINS0_14default_configENS1_27scan_by_key_config_selectorIiiEEZZNS1_16scan_by_key_implILNS1_25lookback_scan_determinismE0ELb0ES3_PKiN6hipcub16HIPCUB_304000_NS21ConstantInputIteratorIilEEPiiNSB_3SumENSB_8EqualityEiEE10hipError_tPvRmT2_T3_T4_T5_mT6_T7_P12ihipStream_tbENKUlT_T0_E_clISt17integral_constantIbLb1EESX_EEDaSS_ST_EUlSS_E_NS1_11comp_targetILNS1_3genE9ELNS1_11target_archE1100ELNS1_3gpuE3ELNS1_3repE0EEENS1_30default_config_static_selectorELNS0_4arch9wavefront6targetE0EEEvT1_.has_dyn_sized_stack, 0
	.set _ZN7rocprim17ROCPRIM_400000_NS6detail17trampoline_kernelINS0_14default_configENS1_27scan_by_key_config_selectorIiiEEZZNS1_16scan_by_key_implILNS1_25lookback_scan_determinismE0ELb0ES3_PKiN6hipcub16HIPCUB_304000_NS21ConstantInputIteratorIilEEPiiNSB_3SumENSB_8EqualityEiEE10hipError_tPvRmT2_T3_T4_T5_mT6_T7_P12ihipStream_tbENKUlT_T0_E_clISt17integral_constantIbLb1EESX_EEDaSS_ST_EUlSS_E_NS1_11comp_targetILNS1_3genE9ELNS1_11target_archE1100ELNS1_3gpuE3ELNS1_3repE0EEENS1_30default_config_static_selectorELNS0_4arch9wavefront6targetE0EEEvT1_.has_recursion, 0
	.set _ZN7rocprim17ROCPRIM_400000_NS6detail17trampoline_kernelINS0_14default_configENS1_27scan_by_key_config_selectorIiiEEZZNS1_16scan_by_key_implILNS1_25lookback_scan_determinismE0ELb0ES3_PKiN6hipcub16HIPCUB_304000_NS21ConstantInputIteratorIilEEPiiNSB_3SumENSB_8EqualityEiEE10hipError_tPvRmT2_T3_T4_T5_mT6_T7_P12ihipStream_tbENKUlT_T0_E_clISt17integral_constantIbLb1EESX_EEDaSS_ST_EUlSS_E_NS1_11comp_targetILNS1_3genE9ELNS1_11target_archE1100ELNS1_3gpuE3ELNS1_3repE0EEENS1_30default_config_static_selectorELNS0_4arch9wavefront6targetE0EEEvT1_.has_indirect_call, 0
	.section	.AMDGPU.csdata,"",@progbits
; Kernel info:
; codeLenInByte = 0
; TotalNumSgprs: 0
; NumVgprs: 0
; ScratchSize: 0
; MemoryBound: 0
; FloatMode: 240
; IeeeMode: 1
; LDSByteSize: 0 bytes/workgroup (compile time only)
; SGPRBlocks: 0
; VGPRBlocks: 0
; NumSGPRsForWavesPerEU: 1
; NumVGPRsForWavesPerEU: 1
; Occupancy: 16
; WaveLimiterHint : 0
; COMPUTE_PGM_RSRC2:SCRATCH_EN: 0
; COMPUTE_PGM_RSRC2:USER_SGPR: 6
; COMPUTE_PGM_RSRC2:TRAP_HANDLER: 0
; COMPUTE_PGM_RSRC2:TGID_X_EN: 1
; COMPUTE_PGM_RSRC2:TGID_Y_EN: 0
; COMPUTE_PGM_RSRC2:TGID_Z_EN: 0
; COMPUTE_PGM_RSRC2:TIDIG_COMP_CNT: 0
	.section	.text._ZN7rocprim17ROCPRIM_400000_NS6detail17trampoline_kernelINS0_14default_configENS1_27scan_by_key_config_selectorIiiEEZZNS1_16scan_by_key_implILNS1_25lookback_scan_determinismE0ELb0ES3_PKiN6hipcub16HIPCUB_304000_NS21ConstantInputIteratorIilEEPiiNSB_3SumENSB_8EqualityEiEE10hipError_tPvRmT2_T3_T4_T5_mT6_T7_P12ihipStream_tbENKUlT_T0_E_clISt17integral_constantIbLb1EESX_EEDaSS_ST_EUlSS_E_NS1_11comp_targetILNS1_3genE8ELNS1_11target_archE1030ELNS1_3gpuE2ELNS1_3repE0EEENS1_30default_config_static_selectorELNS0_4arch9wavefront6targetE0EEEvT1_,"axG",@progbits,_ZN7rocprim17ROCPRIM_400000_NS6detail17trampoline_kernelINS0_14default_configENS1_27scan_by_key_config_selectorIiiEEZZNS1_16scan_by_key_implILNS1_25lookback_scan_determinismE0ELb0ES3_PKiN6hipcub16HIPCUB_304000_NS21ConstantInputIteratorIilEEPiiNSB_3SumENSB_8EqualityEiEE10hipError_tPvRmT2_T3_T4_T5_mT6_T7_P12ihipStream_tbENKUlT_T0_E_clISt17integral_constantIbLb1EESX_EEDaSS_ST_EUlSS_E_NS1_11comp_targetILNS1_3genE8ELNS1_11target_archE1030ELNS1_3gpuE2ELNS1_3repE0EEENS1_30default_config_static_selectorELNS0_4arch9wavefront6targetE0EEEvT1_,comdat
	.protected	_ZN7rocprim17ROCPRIM_400000_NS6detail17trampoline_kernelINS0_14default_configENS1_27scan_by_key_config_selectorIiiEEZZNS1_16scan_by_key_implILNS1_25lookback_scan_determinismE0ELb0ES3_PKiN6hipcub16HIPCUB_304000_NS21ConstantInputIteratorIilEEPiiNSB_3SumENSB_8EqualityEiEE10hipError_tPvRmT2_T3_T4_T5_mT6_T7_P12ihipStream_tbENKUlT_T0_E_clISt17integral_constantIbLb1EESX_EEDaSS_ST_EUlSS_E_NS1_11comp_targetILNS1_3genE8ELNS1_11target_archE1030ELNS1_3gpuE2ELNS1_3repE0EEENS1_30default_config_static_selectorELNS0_4arch9wavefront6targetE0EEEvT1_ ; -- Begin function _ZN7rocprim17ROCPRIM_400000_NS6detail17trampoline_kernelINS0_14default_configENS1_27scan_by_key_config_selectorIiiEEZZNS1_16scan_by_key_implILNS1_25lookback_scan_determinismE0ELb0ES3_PKiN6hipcub16HIPCUB_304000_NS21ConstantInputIteratorIilEEPiiNSB_3SumENSB_8EqualityEiEE10hipError_tPvRmT2_T3_T4_T5_mT6_T7_P12ihipStream_tbENKUlT_T0_E_clISt17integral_constantIbLb1EESX_EEDaSS_ST_EUlSS_E_NS1_11comp_targetILNS1_3genE8ELNS1_11target_archE1030ELNS1_3gpuE2ELNS1_3repE0EEENS1_30default_config_static_selectorELNS0_4arch9wavefront6targetE0EEEvT1_
	.globl	_ZN7rocprim17ROCPRIM_400000_NS6detail17trampoline_kernelINS0_14default_configENS1_27scan_by_key_config_selectorIiiEEZZNS1_16scan_by_key_implILNS1_25lookback_scan_determinismE0ELb0ES3_PKiN6hipcub16HIPCUB_304000_NS21ConstantInputIteratorIilEEPiiNSB_3SumENSB_8EqualityEiEE10hipError_tPvRmT2_T3_T4_T5_mT6_T7_P12ihipStream_tbENKUlT_T0_E_clISt17integral_constantIbLb1EESX_EEDaSS_ST_EUlSS_E_NS1_11comp_targetILNS1_3genE8ELNS1_11target_archE1030ELNS1_3gpuE2ELNS1_3repE0EEENS1_30default_config_static_selectorELNS0_4arch9wavefront6targetE0EEEvT1_
	.p2align	8
	.type	_ZN7rocprim17ROCPRIM_400000_NS6detail17trampoline_kernelINS0_14default_configENS1_27scan_by_key_config_selectorIiiEEZZNS1_16scan_by_key_implILNS1_25lookback_scan_determinismE0ELb0ES3_PKiN6hipcub16HIPCUB_304000_NS21ConstantInputIteratorIilEEPiiNSB_3SumENSB_8EqualityEiEE10hipError_tPvRmT2_T3_T4_T5_mT6_T7_P12ihipStream_tbENKUlT_T0_E_clISt17integral_constantIbLb1EESX_EEDaSS_ST_EUlSS_E_NS1_11comp_targetILNS1_3genE8ELNS1_11target_archE1030ELNS1_3gpuE2ELNS1_3repE0EEENS1_30default_config_static_selectorELNS0_4arch9wavefront6targetE0EEEvT1_,@function
_ZN7rocprim17ROCPRIM_400000_NS6detail17trampoline_kernelINS0_14default_configENS1_27scan_by_key_config_selectorIiiEEZZNS1_16scan_by_key_implILNS1_25lookback_scan_determinismE0ELb0ES3_PKiN6hipcub16HIPCUB_304000_NS21ConstantInputIteratorIilEEPiiNSB_3SumENSB_8EqualityEiEE10hipError_tPvRmT2_T3_T4_T5_mT6_T7_P12ihipStream_tbENKUlT_T0_E_clISt17integral_constantIbLb1EESX_EEDaSS_ST_EUlSS_E_NS1_11comp_targetILNS1_3genE8ELNS1_11target_archE1030ELNS1_3gpuE2ELNS1_3repE0EEENS1_30default_config_static_selectorELNS0_4arch9wavefront6targetE0EEEvT1_: ; @_ZN7rocprim17ROCPRIM_400000_NS6detail17trampoline_kernelINS0_14default_configENS1_27scan_by_key_config_selectorIiiEEZZNS1_16scan_by_key_implILNS1_25lookback_scan_determinismE0ELb0ES3_PKiN6hipcub16HIPCUB_304000_NS21ConstantInputIteratorIilEEPiiNSB_3SumENSB_8EqualityEiEE10hipError_tPvRmT2_T3_T4_T5_mT6_T7_P12ihipStream_tbENKUlT_T0_E_clISt17integral_constantIbLb1EESX_EEDaSS_ST_EUlSS_E_NS1_11comp_targetILNS1_3genE8ELNS1_11target_archE1030ELNS1_3gpuE2ELNS1_3repE0EEENS1_30default_config_static_selectorELNS0_4arch9wavefront6targetE0EEEvT1_
; %bb.0:
	s_endpgm
	.section	.rodata,"a",@progbits
	.p2align	6, 0x0
	.amdhsa_kernel _ZN7rocprim17ROCPRIM_400000_NS6detail17trampoline_kernelINS0_14default_configENS1_27scan_by_key_config_selectorIiiEEZZNS1_16scan_by_key_implILNS1_25lookback_scan_determinismE0ELb0ES3_PKiN6hipcub16HIPCUB_304000_NS21ConstantInputIteratorIilEEPiiNSB_3SumENSB_8EqualityEiEE10hipError_tPvRmT2_T3_T4_T5_mT6_T7_P12ihipStream_tbENKUlT_T0_E_clISt17integral_constantIbLb1EESX_EEDaSS_ST_EUlSS_E_NS1_11comp_targetILNS1_3genE8ELNS1_11target_archE1030ELNS1_3gpuE2ELNS1_3repE0EEENS1_30default_config_static_selectorELNS0_4arch9wavefront6targetE0EEEvT1_
		.amdhsa_group_segment_fixed_size 0
		.amdhsa_private_segment_fixed_size 0
		.amdhsa_kernarg_size 120
		.amdhsa_user_sgpr_count 6
		.amdhsa_user_sgpr_private_segment_buffer 1
		.amdhsa_user_sgpr_dispatch_ptr 0
		.amdhsa_user_sgpr_queue_ptr 0
		.amdhsa_user_sgpr_kernarg_segment_ptr 1
		.amdhsa_user_sgpr_dispatch_id 0
		.amdhsa_user_sgpr_flat_scratch_init 0
		.amdhsa_user_sgpr_private_segment_size 0
		.amdhsa_wavefront_size32 1
		.amdhsa_uses_dynamic_stack 0
		.amdhsa_system_sgpr_private_segment_wavefront_offset 0
		.amdhsa_system_sgpr_workgroup_id_x 1
		.amdhsa_system_sgpr_workgroup_id_y 0
		.amdhsa_system_sgpr_workgroup_id_z 0
		.amdhsa_system_sgpr_workgroup_info 0
		.amdhsa_system_vgpr_workitem_id 0
		.amdhsa_next_free_vgpr 1
		.amdhsa_next_free_sgpr 1
		.amdhsa_reserve_vcc 0
		.amdhsa_reserve_flat_scratch 0
		.amdhsa_float_round_mode_32 0
		.amdhsa_float_round_mode_16_64 0
		.amdhsa_float_denorm_mode_32 3
		.amdhsa_float_denorm_mode_16_64 3
		.amdhsa_dx10_clamp 1
		.amdhsa_ieee_mode 1
		.amdhsa_fp16_overflow 0
		.amdhsa_workgroup_processor_mode 1
		.amdhsa_memory_ordered 1
		.amdhsa_forward_progress 1
		.amdhsa_shared_vgpr_count 0
		.amdhsa_exception_fp_ieee_invalid_op 0
		.amdhsa_exception_fp_denorm_src 0
		.amdhsa_exception_fp_ieee_div_zero 0
		.amdhsa_exception_fp_ieee_overflow 0
		.amdhsa_exception_fp_ieee_underflow 0
		.amdhsa_exception_fp_ieee_inexact 0
		.amdhsa_exception_int_div_zero 0
	.end_amdhsa_kernel
	.section	.text._ZN7rocprim17ROCPRIM_400000_NS6detail17trampoline_kernelINS0_14default_configENS1_27scan_by_key_config_selectorIiiEEZZNS1_16scan_by_key_implILNS1_25lookback_scan_determinismE0ELb0ES3_PKiN6hipcub16HIPCUB_304000_NS21ConstantInputIteratorIilEEPiiNSB_3SumENSB_8EqualityEiEE10hipError_tPvRmT2_T3_T4_T5_mT6_T7_P12ihipStream_tbENKUlT_T0_E_clISt17integral_constantIbLb1EESX_EEDaSS_ST_EUlSS_E_NS1_11comp_targetILNS1_3genE8ELNS1_11target_archE1030ELNS1_3gpuE2ELNS1_3repE0EEENS1_30default_config_static_selectorELNS0_4arch9wavefront6targetE0EEEvT1_,"axG",@progbits,_ZN7rocprim17ROCPRIM_400000_NS6detail17trampoline_kernelINS0_14default_configENS1_27scan_by_key_config_selectorIiiEEZZNS1_16scan_by_key_implILNS1_25lookback_scan_determinismE0ELb0ES3_PKiN6hipcub16HIPCUB_304000_NS21ConstantInputIteratorIilEEPiiNSB_3SumENSB_8EqualityEiEE10hipError_tPvRmT2_T3_T4_T5_mT6_T7_P12ihipStream_tbENKUlT_T0_E_clISt17integral_constantIbLb1EESX_EEDaSS_ST_EUlSS_E_NS1_11comp_targetILNS1_3genE8ELNS1_11target_archE1030ELNS1_3gpuE2ELNS1_3repE0EEENS1_30default_config_static_selectorELNS0_4arch9wavefront6targetE0EEEvT1_,comdat
.Lfunc_end29:
	.size	_ZN7rocprim17ROCPRIM_400000_NS6detail17trampoline_kernelINS0_14default_configENS1_27scan_by_key_config_selectorIiiEEZZNS1_16scan_by_key_implILNS1_25lookback_scan_determinismE0ELb0ES3_PKiN6hipcub16HIPCUB_304000_NS21ConstantInputIteratorIilEEPiiNSB_3SumENSB_8EqualityEiEE10hipError_tPvRmT2_T3_T4_T5_mT6_T7_P12ihipStream_tbENKUlT_T0_E_clISt17integral_constantIbLb1EESX_EEDaSS_ST_EUlSS_E_NS1_11comp_targetILNS1_3genE8ELNS1_11target_archE1030ELNS1_3gpuE2ELNS1_3repE0EEENS1_30default_config_static_selectorELNS0_4arch9wavefront6targetE0EEEvT1_, .Lfunc_end29-_ZN7rocprim17ROCPRIM_400000_NS6detail17trampoline_kernelINS0_14default_configENS1_27scan_by_key_config_selectorIiiEEZZNS1_16scan_by_key_implILNS1_25lookback_scan_determinismE0ELb0ES3_PKiN6hipcub16HIPCUB_304000_NS21ConstantInputIteratorIilEEPiiNSB_3SumENSB_8EqualityEiEE10hipError_tPvRmT2_T3_T4_T5_mT6_T7_P12ihipStream_tbENKUlT_T0_E_clISt17integral_constantIbLb1EESX_EEDaSS_ST_EUlSS_E_NS1_11comp_targetILNS1_3genE8ELNS1_11target_archE1030ELNS1_3gpuE2ELNS1_3repE0EEENS1_30default_config_static_selectorELNS0_4arch9wavefront6targetE0EEEvT1_
                                        ; -- End function
	.set _ZN7rocprim17ROCPRIM_400000_NS6detail17trampoline_kernelINS0_14default_configENS1_27scan_by_key_config_selectorIiiEEZZNS1_16scan_by_key_implILNS1_25lookback_scan_determinismE0ELb0ES3_PKiN6hipcub16HIPCUB_304000_NS21ConstantInputIteratorIilEEPiiNSB_3SumENSB_8EqualityEiEE10hipError_tPvRmT2_T3_T4_T5_mT6_T7_P12ihipStream_tbENKUlT_T0_E_clISt17integral_constantIbLb1EESX_EEDaSS_ST_EUlSS_E_NS1_11comp_targetILNS1_3genE8ELNS1_11target_archE1030ELNS1_3gpuE2ELNS1_3repE0EEENS1_30default_config_static_selectorELNS0_4arch9wavefront6targetE0EEEvT1_.num_vgpr, 0
	.set _ZN7rocprim17ROCPRIM_400000_NS6detail17trampoline_kernelINS0_14default_configENS1_27scan_by_key_config_selectorIiiEEZZNS1_16scan_by_key_implILNS1_25lookback_scan_determinismE0ELb0ES3_PKiN6hipcub16HIPCUB_304000_NS21ConstantInputIteratorIilEEPiiNSB_3SumENSB_8EqualityEiEE10hipError_tPvRmT2_T3_T4_T5_mT6_T7_P12ihipStream_tbENKUlT_T0_E_clISt17integral_constantIbLb1EESX_EEDaSS_ST_EUlSS_E_NS1_11comp_targetILNS1_3genE8ELNS1_11target_archE1030ELNS1_3gpuE2ELNS1_3repE0EEENS1_30default_config_static_selectorELNS0_4arch9wavefront6targetE0EEEvT1_.num_agpr, 0
	.set _ZN7rocprim17ROCPRIM_400000_NS6detail17trampoline_kernelINS0_14default_configENS1_27scan_by_key_config_selectorIiiEEZZNS1_16scan_by_key_implILNS1_25lookback_scan_determinismE0ELb0ES3_PKiN6hipcub16HIPCUB_304000_NS21ConstantInputIteratorIilEEPiiNSB_3SumENSB_8EqualityEiEE10hipError_tPvRmT2_T3_T4_T5_mT6_T7_P12ihipStream_tbENKUlT_T0_E_clISt17integral_constantIbLb1EESX_EEDaSS_ST_EUlSS_E_NS1_11comp_targetILNS1_3genE8ELNS1_11target_archE1030ELNS1_3gpuE2ELNS1_3repE0EEENS1_30default_config_static_selectorELNS0_4arch9wavefront6targetE0EEEvT1_.numbered_sgpr, 0
	.set _ZN7rocprim17ROCPRIM_400000_NS6detail17trampoline_kernelINS0_14default_configENS1_27scan_by_key_config_selectorIiiEEZZNS1_16scan_by_key_implILNS1_25lookback_scan_determinismE0ELb0ES3_PKiN6hipcub16HIPCUB_304000_NS21ConstantInputIteratorIilEEPiiNSB_3SumENSB_8EqualityEiEE10hipError_tPvRmT2_T3_T4_T5_mT6_T7_P12ihipStream_tbENKUlT_T0_E_clISt17integral_constantIbLb1EESX_EEDaSS_ST_EUlSS_E_NS1_11comp_targetILNS1_3genE8ELNS1_11target_archE1030ELNS1_3gpuE2ELNS1_3repE0EEENS1_30default_config_static_selectorELNS0_4arch9wavefront6targetE0EEEvT1_.num_named_barrier, 0
	.set _ZN7rocprim17ROCPRIM_400000_NS6detail17trampoline_kernelINS0_14default_configENS1_27scan_by_key_config_selectorIiiEEZZNS1_16scan_by_key_implILNS1_25lookback_scan_determinismE0ELb0ES3_PKiN6hipcub16HIPCUB_304000_NS21ConstantInputIteratorIilEEPiiNSB_3SumENSB_8EqualityEiEE10hipError_tPvRmT2_T3_T4_T5_mT6_T7_P12ihipStream_tbENKUlT_T0_E_clISt17integral_constantIbLb1EESX_EEDaSS_ST_EUlSS_E_NS1_11comp_targetILNS1_3genE8ELNS1_11target_archE1030ELNS1_3gpuE2ELNS1_3repE0EEENS1_30default_config_static_selectorELNS0_4arch9wavefront6targetE0EEEvT1_.private_seg_size, 0
	.set _ZN7rocprim17ROCPRIM_400000_NS6detail17trampoline_kernelINS0_14default_configENS1_27scan_by_key_config_selectorIiiEEZZNS1_16scan_by_key_implILNS1_25lookback_scan_determinismE0ELb0ES3_PKiN6hipcub16HIPCUB_304000_NS21ConstantInputIteratorIilEEPiiNSB_3SumENSB_8EqualityEiEE10hipError_tPvRmT2_T3_T4_T5_mT6_T7_P12ihipStream_tbENKUlT_T0_E_clISt17integral_constantIbLb1EESX_EEDaSS_ST_EUlSS_E_NS1_11comp_targetILNS1_3genE8ELNS1_11target_archE1030ELNS1_3gpuE2ELNS1_3repE0EEENS1_30default_config_static_selectorELNS0_4arch9wavefront6targetE0EEEvT1_.uses_vcc, 0
	.set _ZN7rocprim17ROCPRIM_400000_NS6detail17trampoline_kernelINS0_14default_configENS1_27scan_by_key_config_selectorIiiEEZZNS1_16scan_by_key_implILNS1_25lookback_scan_determinismE0ELb0ES3_PKiN6hipcub16HIPCUB_304000_NS21ConstantInputIteratorIilEEPiiNSB_3SumENSB_8EqualityEiEE10hipError_tPvRmT2_T3_T4_T5_mT6_T7_P12ihipStream_tbENKUlT_T0_E_clISt17integral_constantIbLb1EESX_EEDaSS_ST_EUlSS_E_NS1_11comp_targetILNS1_3genE8ELNS1_11target_archE1030ELNS1_3gpuE2ELNS1_3repE0EEENS1_30default_config_static_selectorELNS0_4arch9wavefront6targetE0EEEvT1_.uses_flat_scratch, 0
	.set _ZN7rocprim17ROCPRIM_400000_NS6detail17trampoline_kernelINS0_14default_configENS1_27scan_by_key_config_selectorIiiEEZZNS1_16scan_by_key_implILNS1_25lookback_scan_determinismE0ELb0ES3_PKiN6hipcub16HIPCUB_304000_NS21ConstantInputIteratorIilEEPiiNSB_3SumENSB_8EqualityEiEE10hipError_tPvRmT2_T3_T4_T5_mT6_T7_P12ihipStream_tbENKUlT_T0_E_clISt17integral_constantIbLb1EESX_EEDaSS_ST_EUlSS_E_NS1_11comp_targetILNS1_3genE8ELNS1_11target_archE1030ELNS1_3gpuE2ELNS1_3repE0EEENS1_30default_config_static_selectorELNS0_4arch9wavefront6targetE0EEEvT1_.has_dyn_sized_stack, 0
	.set _ZN7rocprim17ROCPRIM_400000_NS6detail17trampoline_kernelINS0_14default_configENS1_27scan_by_key_config_selectorIiiEEZZNS1_16scan_by_key_implILNS1_25lookback_scan_determinismE0ELb0ES3_PKiN6hipcub16HIPCUB_304000_NS21ConstantInputIteratorIilEEPiiNSB_3SumENSB_8EqualityEiEE10hipError_tPvRmT2_T3_T4_T5_mT6_T7_P12ihipStream_tbENKUlT_T0_E_clISt17integral_constantIbLb1EESX_EEDaSS_ST_EUlSS_E_NS1_11comp_targetILNS1_3genE8ELNS1_11target_archE1030ELNS1_3gpuE2ELNS1_3repE0EEENS1_30default_config_static_selectorELNS0_4arch9wavefront6targetE0EEEvT1_.has_recursion, 0
	.set _ZN7rocprim17ROCPRIM_400000_NS6detail17trampoline_kernelINS0_14default_configENS1_27scan_by_key_config_selectorIiiEEZZNS1_16scan_by_key_implILNS1_25lookback_scan_determinismE0ELb0ES3_PKiN6hipcub16HIPCUB_304000_NS21ConstantInputIteratorIilEEPiiNSB_3SumENSB_8EqualityEiEE10hipError_tPvRmT2_T3_T4_T5_mT6_T7_P12ihipStream_tbENKUlT_T0_E_clISt17integral_constantIbLb1EESX_EEDaSS_ST_EUlSS_E_NS1_11comp_targetILNS1_3genE8ELNS1_11target_archE1030ELNS1_3gpuE2ELNS1_3repE0EEENS1_30default_config_static_selectorELNS0_4arch9wavefront6targetE0EEEvT1_.has_indirect_call, 0
	.section	.AMDGPU.csdata,"",@progbits
; Kernel info:
; codeLenInByte = 4
; TotalNumSgprs: 0
; NumVgprs: 0
; ScratchSize: 0
; MemoryBound: 0
; FloatMode: 240
; IeeeMode: 1
; LDSByteSize: 0 bytes/workgroup (compile time only)
; SGPRBlocks: 0
; VGPRBlocks: 0
; NumSGPRsForWavesPerEU: 1
; NumVGPRsForWavesPerEU: 1
; Occupancy: 16
; WaveLimiterHint : 0
; COMPUTE_PGM_RSRC2:SCRATCH_EN: 0
; COMPUTE_PGM_RSRC2:USER_SGPR: 6
; COMPUTE_PGM_RSRC2:TRAP_HANDLER: 0
; COMPUTE_PGM_RSRC2:TGID_X_EN: 1
; COMPUTE_PGM_RSRC2:TGID_Y_EN: 0
; COMPUTE_PGM_RSRC2:TGID_Z_EN: 0
; COMPUTE_PGM_RSRC2:TIDIG_COMP_CNT: 0
	.section	.text._ZN7rocprim17ROCPRIM_400000_NS6detail30init_device_scan_by_key_kernelINS1_19lookback_scan_stateINS0_5tupleIJibEEELb1ELb1EEEPKijNS1_16block_id_wrapperIjLb0EEEEEvT_jjPNSB_10value_typeET0_PNSt15iterator_traitsISE_E10value_typeEmT1_T2_,"axG",@progbits,_ZN7rocprim17ROCPRIM_400000_NS6detail30init_device_scan_by_key_kernelINS1_19lookback_scan_stateINS0_5tupleIJibEEELb1ELb1EEEPKijNS1_16block_id_wrapperIjLb0EEEEEvT_jjPNSB_10value_typeET0_PNSt15iterator_traitsISE_E10value_typeEmT1_T2_,comdat
	.protected	_ZN7rocprim17ROCPRIM_400000_NS6detail30init_device_scan_by_key_kernelINS1_19lookback_scan_stateINS0_5tupleIJibEEELb1ELb1EEEPKijNS1_16block_id_wrapperIjLb0EEEEEvT_jjPNSB_10value_typeET0_PNSt15iterator_traitsISE_E10value_typeEmT1_T2_ ; -- Begin function _ZN7rocprim17ROCPRIM_400000_NS6detail30init_device_scan_by_key_kernelINS1_19lookback_scan_stateINS0_5tupleIJibEEELb1ELb1EEEPKijNS1_16block_id_wrapperIjLb0EEEEEvT_jjPNSB_10value_typeET0_PNSt15iterator_traitsISE_E10value_typeEmT1_T2_
	.globl	_ZN7rocprim17ROCPRIM_400000_NS6detail30init_device_scan_by_key_kernelINS1_19lookback_scan_stateINS0_5tupleIJibEEELb1ELb1EEEPKijNS1_16block_id_wrapperIjLb0EEEEEvT_jjPNSB_10value_typeET0_PNSt15iterator_traitsISE_E10value_typeEmT1_T2_
	.p2align	8
	.type	_ZN7rocprim17ROCPRIM_400000_NS6detail30init_device_scan_by_key_kernelINS1_19lookback_scan_stateINS0_5tupleIJibEEELb1ELb1EEEPKijNS1_16block_id_wrapperIjLb0EEEEEvT_jjPNSB_10value_typeET0_PNSt15iterator_traitsISE_E10value_typeEmT1_T2_,@function
_ZN7rocprim17ROCPRIM_400000_NS6detail30init_device_scan_by_key_kernelINS1_19lookback_scan_stateINS0_5tupleIJibEEELb1ELb1EEEPKijNS1_16block_id_wrapperIjLb0EEEEEvT_jjPNSB_10value_typeET0_PNSt15iterator_traitsISE_E10value_typeEmT1_T2_: ; @_ZN7rocprim17ROCPRIM_400000_NS6detail30init_device_scan_by_key_kernelINS1_19lookback_scan_stateINS0_5tupleIJibEEELb1ELb1EEEPKijNS1_16block_id_wrapperIjLb0EEEEEvT_jjPNSB_10value_typeET0_PNSt15iterator_traitsISE_E10value_typeEmT1_T2_
; %bb.0:
	s_clause 0x2
	s_load_dword s0, s[4:5], 0x44
	s_load_dwordx8 s[8:15], s[4:5], 0x0
	s_load_dword s7, s[4:5], 0x38
	s_waitcnt lgkmcnt(0)
	s_and_b32 s16, s0, 0xffff
	s_cmp_eq_u64 s[12:13], 0
	v_mad_u64_u32 v[4:5], null, s6, s16, v[0:1]
	s_cbranch_scc1 .LBB30_10
; %bb.1:
	s_cmp_lt_u32 s11, s10
	s_mov_b32 s1, 0
	s_cselect_b32 s0, s11, 0
	s_mov_b32 s2, exec_lo
	v_cmpx_eq_u32_e64 s0, v4
	s_cbranch_execz .LBB30_9
; %bb.2:
	s_add_i32 s0, s11, 32
	v_mov_b32_e32 v6, 0
	s_lshl_b64 s[0:1], s[0:1], 4
	s_mov_b32 s3, exec_lo
	s_add_u32 s0, s8, s0
	s_addc_u32 s1, s9, s1
	v_mov_b32_e32 v0, s0
	v_mov_b32_e32 v1, s1
	;;#ASMSTART
	global_load_dwordx4 v[0:3], v[0:1] off glc dlc	
s_waitcnt vmcnt(0)
	;;#ASMEND
	v_and_b32_e32 v5, 0xff, v2
	v_cmpx_eq_u64_e32 0, v[5:6]
	s_cbranch_execz .LBB30_8
; %bb.3:
	v_mov_b32_e32 v8, s1
	v_mov_b32_e32 v7, s0
	s_mov_b32 s1, 1
	s_mov_b32 s0, 0
	.p2align	6
.LBB30_4:                               ; =>This Loop Header: Depth=1
                                        ;     Child Loop BB30_5 Depth 2
	s_mov_b32 s6, s1
.LBB30_5:                               ;   Parent Loop BB30_4 Depth=1
                                        ; =>  This Inner Loop Header: Depth=2
	s_add_i32 s6, s6, -1
	s_sleep 1
	s_cmp_eq_u32 s6, 0
	s_cbranch_scc0 .LBB30_5
; %bb.6:                                ;   in Loop: Header=BB30_4 Depth=1
	;;#ASMSTART
	global_load_dwordx4 v[0:3], v[7:8] off glc dlc	
s_waitcnt vmcnt(0)
	;;#ASMEND
	v_and_b32_e32 v5, 0xff, v2
	s_cmp_lt_u32 s1, 32
	s_cselect_b32 s6, -1, 0
	v_cmp_ne_u64_e32 vcc_lo, 0, v[5:6]
	s_cmp_lg_u32 s6, 0
	s_addc_u32 s1, s1, 0
	s_or_b32 s0, vcc_lo, s0
	s_andn2_b32 exec_lo, exec_lo, s0
	s_cbranch_execnz .LBB30_4
; %bb.7:
	s_or_b32 exec_lo, exec_lo, s0
.LBB30_8:
	s_or_b32 exec_lo, exec_lo, s3
	v_mov_b32_e32 v2, 0
	global_store_dword v2, v0, s[12:13]
	global_store_byte v2, v1, s[12:13] offset:4
.LBB30_9:
	s_or_b32 exec_lo, exec_lo, s2
.LBB30_10:
	s_mov_b32 s0, exec_lo
	v_cmpx_gt_u32_e64 s10, v4
	s_cbranch_execz .LBB30_12
; %bb.11:
	v_add_nc_u32_e32 v0, 32, v4
	v_mov_b32_e32 v1, 0
	v_lshlrev_b64 v[5:6], 4, v[0:1]
	v_mov_b32_e32 v0, v1
	v_mov_b32_e32 v2, v1
	;; [unrolled: 1-line block ×3, first 2 shown]
	v_add_co_u32 v5, vcc_lo, s8, v5
	v_add_co_ci_u32_e64 v6, null, s9, v6, vcc_lo
	global_store_dwordx4 v[5:6], v[0:3], off
.LBB30_12:
	s_or_b32 exec_lo, exec_lo, s0
	v_mov_b32_e32 v5, 0
	s_mov_b32 s0, exec_lo
	v_cmpx_gt_u32_e32 32, v4
	s_cbranch_execz .LBB30_14
; %bb.13:
	v_lshlrev_b64 v[6:7], 4, v[4:5]
	v_mov_b32_e32 v2, 0xff
	v_mov_b32_e32 v0, v5
	;; [unrolled: 1-line block ×4, first 2 shown]
	v_add_co_u32 v6, vcc_lo, s8, v6
	v_add_co_ci_u32_e64 v7, null, s9, v7, vcc_lo
	global_store_dwordx4 v[6:7], v[0:3], off
.LBB30_14:
	s_or_b32 exec_lo, exec_lo, s0
	s_load_dwordx2 s[2:3], s[4:5], 0x28
	s_mov_b32 s0, exec_lo
	s_waitcnt lgkmcnt(0)
	v_cmpx_gt_u64_e64 s[2:3], v[4:5]
	s_cbranch_execz .LBB30_17
; %bb.15:
	s_clause 0x1
	s_load_dword s6, s[4:5], 0x30
	s_load_dwordx2 s[8:9], s[4:5], 0x20
	s_mov_b32 s1, 0
	v_lshlrev_b64 v[2:3], 2, v[4:5]
	s_mul_i32 s4, s7, s16
	s_waitcnt lgkmcnt(0)
	v_mad_u64_u32 v[0:1], null, s6, v4, 0
	s_add_i32 s0, s6, -1
	s_mul_hi_u32 s7, s6, s4
	s_lshl_b64 s[10:11], s[0:1], 2
	s_mul_i32 s6, s6, s4
	s_add_u32 s0, s14, s10
	s_addc_u32 s5, s15, s11
	v_lshlrev_b64 v[0:1], 2, v[0:1]
	s_lshl_b64 s[6:7], s[6:7], 2
	v_add_co_u32 v0, vcc_lo, s0, v0
	v_add_co_ci_u32_e64 v1, null, s5, v1, vcc_lo
	v_add_co_u32 v2, vcc_lo, s8, v2
	v_add_co_ci_u32_e64 v3, null, s9, v3, vcc_lo
	s_mov_b32 s5, s1
	s_lshl_b64 s[8:9], s[4:5], 2
	.p2align	6
.LBB30_16:                              ; =>This Inner Loop Header: Depth=1
	global_load_dword v6, v[0:1], off
	v_add_co_u32 v4, vcc_lo, v4, s4
	v_add_co_ci_u32_e64 v5, null, 0, v5, vcc_lo
	v_add_co_u32 v0, vcc_lo, v0, s6
	v_add_co_ci_u32_e64 v1, null, s7, v1, vcc_lo
	v_cmp_le_u64_e32 vcc_lo, s[2:3], v[4:5]
	s_or_b32 s1, vcc_lo, s1
	s_waitcnt vmcnt(0)
	global_store_dword v[2:3], v6, off
	v_add_co_u32 v2, s0, v2, s8
	v_add_co_ci_u32_e64 v3, null, s9, v3, s0
	s_andn2_b32 exec_lo, exec_lo, s1
	s_cbranch_execnz .LBB30_16
.LBB30_17:
	s_endpgm
	.section	.rodata,"a",@progbits
	.p2align	6, 0x0
	.amdhsa_kernel _ZN7rocprim17ROCPRIM_400000_NS6detail30init_device_scan_by_key_kernelINS1_19lookback_scan_stateINS0_5tupleIJibEEELb1ELb1EEEPKijNS1_16block_id_wrapperIjLb0EEEEEvT_jjPNSB_10value_typeET0_PNSt15iterator_traitsISE_E10value_typeEmT1_T2_
		.amdhsa_group_segment_fixed_size 0
		.amdhsa_private_segment_fixed_size 0
		.amdhsa_kernarg_size 312
		.amdhsa_user_sgpr_count 6
		.amdhsa_user_sgpr_private_segment_buffer 1
		.amdhsa_user_sgpr_dispatch_ptr 0
		.amdhsa_user_sgpr_queue_ptr 0
		.amdhsa_user_sgpr_kernarg_segment_ptr 1
		.amdhsa_user_sgpr_dispatch_id 0
		.amdhsa_user_sgpr_flat_scratch_init 0
		.amdhsa_user_sgpr_private_segment_size 0
		.amdhsa_wavefront_size32 1
		.amdhsa_uses_dynamic_stack 0
		.amdhsa_system_sgpr_private_segment_wavefront_offset 0
		.amdhsa_system_sgpr_workgroup_id_x 1
		.amdhsa_system_sgpr_workgroup_id_y 0
		.amdhsa_system_sgpr_workgroup_id_z 0
		.amdhsa_system_sgpr_workgroup_info 0
		.amdhsa_system_vgpr_workitem_id 0
		.amdhsa_next_free_vgpr 9
		.amdhsa_next_free_sgpr 17
		.amdhsa_reserve_vcc 1
		.amdhsa_reserve_flat_scratch 0
		.amdhsa_float_round_mode_32 0
		.amdhsa_float_round_mode_16_64 0
		.amdhsa_float_denorm_mode_32 3
		.amdhsa_float_denorm_mode_16_64 3
		.amdhsa_dx10_clamp 1
		.amdhsa_ieee_mode 1
		.amdhsa_fp16_overflow 0
		.amdhsa_workgroup_processor_mode 1
		.amdhsa_memory_ordered 1
		.amdhsa_forward_progress 1
		.amdhsa_shared_vgpr_count 0
		.amdhsa_exception_fp_ieee_invalid_op 0
		.amdhsa_exception_fp_denorm_src 0
		.amdhsa_exception_fp_ieee_div_zero 0
		.amdhsa_exception_fp_ieee_overflow 0
		.amdhsa_exception_fp_ieee_underflow 0
		.amdhsa_exception_fp_ieee_inexact 0
		.amdhsa_exception_int_div_zero 0
	.end_amdhsa_kernel
	.section	.text._ZN7rocprim17ROCPRIM_400000_NS6detail30init_device_scan_by_key_kernelINS1_19lookback_scan_stateINS0_5tupleIJibEEELb1ELb1EEEPKijNS1_16block_id_wrapperIjLb0EEEEEvT_jjPNSB_10value_typeET0_PNSt15iterator_traitsISE_E10value_typeEmT1_T2_,"axG",@progbits,_ZN7rocprim17ROCPRIM_400000_NS6detail30init_device_scan_by_key_kernelINS1_19lookback_scan_stateINS0_5tupleIJibEEELb1ELb1EEEPKijNS1_16block_id_wrapperIjLb0EEEEEvT_jjPNSB_10value_typeET0_PNSt15iterator_traitsISE_E10value_typeEmT1_T2_,comdat
.Lfunc_end30:
	.size	_ZN7rocprim17ROCPRIM_400000_NS6detail30init_device_scan_by_key_kernelINS1_19lookback_scan_stateINS0_5tupleIJibEEELb1ELb1EEEPKijNS1_16block_id_wrapperIjLb0EEEEEvT_jjPNSB_10value_typeET0_PNSt15iterator_traitsISE_E10value_typeEmT1_T2_, .Lfunc_end30-_ZN7rocprim17ROCPRIM_400000_NS6detail30init_device_scan_by_key_kernelINS1_19lookback_scan_stateINS0_5tupleIJibEEELb1ELb1EEEPKijNS1_16block_id_wrapperIjLb0EEEEEvT_jjPNSB_10value_typeET0_PNSt15iterator_traitsISE_E10value_typeEmT1_T2_
                                        ; -- End function
	.set _ZN7rocprim17ROCPRIM_400000_NS6detail30init_device_scan_by_key_kernelINS1_19lookback_scan_stateINS0_5tupleIJibEEELb1ELb1EEEPKijNS1_16block_id_wrapperIjLb0EEEEEvT_jjPNSB_10value_typeET0_PNSt15iterator_traitsISE_E10value_typeEmT1_T2_.num_vgpr, 9
	.set _ZN7rocprim17ROCPRIM_400000_NS6detail30init_device_scan_by_key_kernelINS1_19lookback_scan_stateINS0_5tupleIJibEEELb1ELb1EEEPKijNS1_16block_id_wrapperIjLb0EEEEEvT_jjPNSB_10value_typeET0_PNSt15iterator_traitsISE_E10value_typeEmT1_T2_.num_agpr, 0
	.set _ZN7rocprim17ROCPRIM_400000_NS6detail30init_device_scan_by_key_kernelINS1_19lookback_scan_stateINS0_5tupleIJibEEELb1ELb1EEEPKijNS1_16block_id_wrapperIjLb0EEEEEvT_jjPNSB_10value_typeET0_PNSt15iterator_traitsISE_E10value_typeEmT1_T2_.numbered_sgpr, 17
	.set _ZN7rocprim17ROCPRIM_400000_NS6detail30init_device_scan_by_key_kernelINS1_19lookback_scan_stateINS0_5tupleIJibEEELb1ELb1EEEPKijNS1_16block_id_wrapperIjLb0EEEEEvT_jjPNSB_10value_typeET0_PNSt15iterator_traitsISE_E10value_typeEmT1_T2_.num_named_barrier, 0
	.set _ZN7rocprim17ROCPRIM_400000_NS6detail30init_device_scan_by_key_kernelINS1_19lookback_scan_stateINS0_5tupleIJibEEELb1ELb1EEEPKijNS1_16block_id_wrapperIjLb0EEEEEvT_jjPNSB_10value_typeET0_PNSt15iterator_traitsISE_E10value_typeEmT1_T2_.private_seg_size, 0
	.set _ZN7rocprim17ROCPRIM_400000_NS6detail30init_device_scan_by_key_kernelINS1_19lookback_scan_stateINS0_5tupleIJibEEELb1ELb1EEEPKijNS1_16block_id_wrapperIjLb0EEEEEvT_jjPNSB_10value_typeET0_PNSt15iterator_traitsISE_E10value_typeEmT1_T2_.uses_vcc, 1
	.set _ZN7rocprim17ROCPRIM_400000_NS6detail30init_device_scan_by_key_kernelINS1_19lookback_scan_stateINS0_5tupleIJibEEELb1ELb1EEEPKijNS1_16block_id_wrapperIjLb0EEEEEvT_jjPNSB_10value_typeET0_PNSt15iterator_traitsISE_E10value_typeEmT1_T2_.uses_flat_scratch, 0
	.set _ZN7rocprim17ROCPRIM_400000_NS6detail30init_device_scan_by_key_kernelINS1_19lookback_scan_stateINS0_5tupleIJibEEELb1ELb1EEEPKijNS1_16block_id_wrapperIjLb0EEEEEvT_jjPNSB_10value_typeET0_PNSt15iterator_traitsISE_E10value_typeEmT1_T2_.has_dyn_sized_stack, 0
	.set _ZN7rocprim17ROCPRIM_400000_NS6detail30init_device_scan_by_key_kernelINS1_19lookback_scan_stateINS0_5tupleIJibEEELb1ELb1EEEPKijNS1_16block_id_wrapperIjLb0EEEEEvT_jjPNSB_10value_typeET0_PNSt15iterator_traitsISE_E10value_typeEmT1_T2_.has_recursion, 0
	.set _ZN7rocprim17ROCPRIM_400000_NS6detail30init_device_scan_by_key_kernelINS1_19lookback_scan_stateINS0_5tupleIJibEEELb1ELb1EEEPKijNS1_16block_id_wrapperIjLb0EEEEEvT_jjPNSB_10value_typeET0_PNSt15iterator_traitsISE_E10value_typeEmT1_T2_.has_indirect_call, 0
	.section	.AMDGPU.csdata,"",@progbits
; Kernel info:
; codeLenInByte = 728
; TotalNumSgprs: 19
; NumVgprs: 9
; ScratchSize: 0
; MemoryBound: 0
; FloatMode: 240
; IeeeMode: 1
; LDSByteSize: 0 bytes/workgroup (compile time only)
; SGPRBlocks: 0
; VGPRBlocks: 1
; NumSGPRsForWavesPerEU: 19
; NumVGPRsForWavesPerEU: 9
; Occupancy: 16
; WaveLimiterHint : 0
; COMPUTE_PGM_RSRC2:SCRATCH_EN: 0
; COMPUTE_PGM_RSRC2:USER_SGPR: 6
; COMPUTE_PGM_RSRC2:TRAP_HANDLER: 0
; COMPUTE_PGM_RSRC2:TGID_X_EN: 1
; COMPUTE_PGM_RSRC2:TGID_Y_EN: 0
; COMPUTE_PGM_RSRC2:TGID_Z_EN: 0
; COMPUTE_PGM_RSRC2:TIDIG_COMP_CNT: 0
	.section	.text._ZN7rocprim17ROCPRIM_400000_NS6detail30init_device_scan_by_key_kernelINS1_19lookback_scan_stateINS0_5tupleIJibEEELb1ELb1EEENS1_16block_id_wrapperIjLb0EEEEEvT_jjPNS9_10value_typeET0_,"axG",@progbits,_ZN7rocprim17ROCPRIM_400000_NS6detail30init_device_scan_by_key_kernelINS1_19lookback_scan_stateINS0_5tupleIJibEEELb1ELb1EEENS1_16block_id_wrapperIjLb0EEEEEvT_jjPNS9_10value_typeET0_,comdat
	.protected	_ZN7rocprim17ROCPRIM_400000_NS6detail30init_device_scan_by_key_kernelINS1_19lookback_scan_stateINS0_5tupleIJibEEELb1ELb1EEENS1_16block_id_wrapperIjLb0EEEEEvT_jjPNS9_10value_typeET0_ ; -- Begin function _ZN7rocprim17ROCPRIM_400000_NS6detail30init_device_scan_by_key_kernelINS1_19lookback_scan_stateINS0_5tupleIJibEEELb1ELb1EEENS1_16block_id_wrapperIjLb0EEEEEvT_jjPNS9_10value_typeET0_
	.globl	_ZN7rocprim17ROCPRIM_400000_NS6detail30init_device_scan_by_key_kernelINS1_19lookback_scan_stateINS0_5tupleIJibEEELb1ELb1EEENS1_16block_id_wrapperIjLb0EEEEEvT_jjPNS9_10value_typeET0_
	.p2align	8
	.type	_ZN7rocprim17ROCPRIM_400000_NS6detail30init_device_scan_by_key_kernelINS1_19lookback_scan_stateINS0_5tupleIJibEEELb1ELb1EEENS1_16block_id_wrapperIjLb0EEEEEvT_jjPNS9_10value_typeET0_,@function
_ZN7rocprim17ROCPRIM_400000_NS6detail30init_device_scan_by_key_kernelINS1_19lookback_scan_stateINS0_5tupleIJibEEELb1ELb1EEENS1_16block_id_wrapperIjLb0EEEEEvT_jjPNS9_10value_typeET0_: ; @_ZN7rocprim17ROCPRIM_400000_NS6detail30init_device_scan_by_key_kernelINS1_19lookback_scan_stateINS0_5tupleIJibEEELb1ELb1EEENS1_16block_id_wrapperIjLb0EEEEEvT_jjPNS9_10value_typeET0_
; %bb.0:
	s_clause 0x2
	s_load_dword s7, s[4:5], 0x2c
	s_load_dwordx2 s[8:9], s[4:5], 0x10
	s_load_dwordx4 s[0:3], s[4:5], 0x0
	s_waitcnt lgkmcnt(0)
	s_and_b32 s4, s7, 0xffff
	s_cmp_eq_u64 s[8:9], 0
	v_mad_u64_u32 v[0:1], null, s6, s4, v[0:1]
	s_cbranch_scc1 .LBB31_10
; %bb.1:
	s_cmp_lt_u32 s3, s2
	s_mov_b32 s5, 0
	s_cselect_b32 s4, s3, 0
	s_mov_b32 s6, exec_lo
	v_cmpx_eq_u32_e64 s4, v0
	s_cbranch_execz .LBB31_9
; %bb.2:
	s_add_i32 s4, s3, 32
	v_mov_b32_e32 v5, 0
	s_lshl_b64 s[4:5], s[4:5], 4
	s_mov_b32 s3, exec_lo
	s_add_u32 s4, s0, s4
	s_addc_u32 s5, s1, s5
	v_mov_b32_e32 v1, s4
	v_mov_b32_e32 v2, s5
	;;#ASMSTART
	global_load_dwordx4 v[1:4], v[1:2] off glc dlc	
s_waitcnt vmcnt(0)
	;;#ASMEND
	v_and_b32_e32 v4, 0xff, v3
	v_cmpx_eq_u64_e32 0, v[4:5]
	s_cbranch_execz .LBB31_8
; %bb.3:
	v_mov_b32_e32 v7, s5
	v_mov_b32_e32 v6, s4
	s_mov_b32 s5, 1
	s_mov_b32 s4, 0
	.p2align	6
.LBB31_4:                               ; =>This Loop Header: Depth=1
                                        ;     Child Loop BB31_5 Depth 2
	s_mov_b32 s7, s5
.LBB31_5:                               ;   Parent Loop BB31_4 Depth=1
                                        ; =>  This Inner Loop Header: Depth=2
	s_add_i32 s7, s7, -1
	s_sleep 1
	s_cmp_eq_u32 s7, 0
	s_cbranch_scc0 .LBB31_5
; %bb.6:                                ;   in Loop: Header=BB31_4 Depth=1
	;;#ASMSTART
	global_load_dwordx4 v[1:4], v[6:7] off glc dlc	
s_waitcnt vmcnt(0)
	;;#ASMEND
	v_and_b32_e32 v4, 0xff, v3
	s_cmp_lt_u32 s5, 32
	s_cselect_b32 s7, -1, 0
	s_cmp_lg_u32 s7, 0
	v_cmp_ne_u64_e32 vcc_lo, 0, v[4:5]
	s_addc_u32 s5, s5, 0
	s_or_b32 s4, vcc_lo, s4
	s_andn2_b32 exec_lo, exec_lo, s4
	s_cbranch_execnz .LBB31_4
; %bb.7:
	s_or_b32 exec_lo, exec_lo, s4
.LBB31_8:
	s_or_b32 exec_lo, exec_lo, s3
	v_mov_b32_e32 v3, 0
	global_store_dword v3, v1, s[8:9]
	global_store_byte v3, v2, s[8:9] offset:4
.LBB31_9:
	s_or_b32 exec_lo, exec_lo, s6
.LBB31_10:
	v_cmp_gt_u32_e32 vcc_lo, s2, v0
	s_and_saveexec_b32 s2, vcc_lo
	s_cbranch_execz .LBB31_12
; %bb.11:
	v_add_nc_u32_e32 v1, 32, v0
	v_mov_b32_e32 v2, 0
	v_lshlrev_b64 v[4:5], 4, v[1:2]
	v_mov_b32_e32 v1, v2
	v_mov_b32_e32 v3, v2
	v_add_co_u32 v6, vcc_lo, s0, v4
	v_add_co_ci_u32_e64 v7, null, s1, v5, vcc_lo
	v_mov_b32_e32 v4, v2
	global_store_dwordx4 v[6:7], v[1:4], off
.LBB31_12:
	s_or_b32 exec_lo, exec_lo, s2
	s_mov_b32 s2, exec_lo
	v_cmpx_gt_u32_e32 32, v0
	s_cbranch_execz .LBB31_14
; %bb.13:
	v_mov_b32_e32 v1, 0
	v_mov_b32_e32 v2, 0xff
	v_lshlrev_b64 v[3:4], 4, v[0:1]
	v_mov_b32_e32 v0, v1
	v_add_co_u32 v5, vcc_lo, s0, v3
	v_add_co_ci_u32_e64 v6, null, s1, v4, vcc_lo
	v_mov_b32_e32 v3, v1
	global_store_dwordx4 v[5:6], v[0:3], off
.LBB31_14:
	s_endpgm
	.section	.rodata,"a",@progbits
	.p2align	6, 0x0
	.amdhsa_kernel _ZN7rocprim17ROCPRIM_400000_NS6detail30init_device_scan_by_key_kernelINS1_19lookback_scan_stateINS0_5tupleIJibEEELb1ELb1EEENS1_16block_id_wrapperIjLb0EEEEEvT_jjPNS9_10value_typeET0_
		.amdhsa_group_segment_fixed_size 0
		.amdhsa_private_segment_fixed_size 0
		.amdhsa_kernarg_size 288
		.amdhsa_user_sgpr_count 6
		.amdhsa_user_sgpr_private_segment_buffer 1
		.amdhsa_user_sgpr_dispatch_ptr 0
		.amdhsa_user_sgpr_queue_ptr 0
		.amdhsa_user_sgpr_kernarg_segment_ptr 1
		.amdhsa_user_sgpr_dispatch_id 0
		.amdhsa_user_sgpr_flat_scratch_init 0
		.amdhsa_user_sgpr_private_segment_size 0
		.amdhsa_wavefront_size32 1
		.amdhsa_uses_dynamic_stack 0
		.amdhsa_system_sgpr_private_segment_wavefront_offset 0
		.amdhsa_system_sgpr_workgroup_id_x 1
		.amdhsa_system_sgpr_workgroup_id_y 0
		.amdhsa_system_sgpr_workgroup_id_z 0
		.amdhsa_system_sgpr_workgroup_info 0
		.amdhsa_system_vgpr_workitem_id 0
		.amdhsa_next_free_vgpr 8
		.amdhsa_next_free_sgpr 10
		.amdhsa_reserve_vcc 1
		.amdhsa_reserve_flat_scratch 0
		.amdhsa_float_round_mode_32 0
		.amdhsa_float_round_mode_16_64 0
		.amdhsa_float_denorm_mode_32 3
		.amdhsa_float_denorm_mode_16_64 3
		.amdhsa_dx10_clamp 1
		.amdhsa_ieee_mode 1
		.amdhsa_fp16_overflow 0
		.amdhsa_workgroup_processor_mode 1
		.amdhsa_memory_ordered 1
		.amdhsa_forward_progress 1
		.amdhsa_shared_vgpr_count 0
		.amdhsa_exception_fp_ieee_invalid_op 0
		.amdhsa_exception_fp_denorm_src 0
		.amdhsa_exception_fp_ieee_div_zero 0
		.amdhsa_exception_fp_ieee_overflow 0
		.amdhsa_exception_fp_ieee_underflow 0
		.amdhsa_exception_fp_ieee_inexact 0
		.amdhsa_exception_int_div_zero 0
	.end_amdhsa_kernel
	.section	.text._ZN7rocprim17ROCPRIM_400000_NS6detail30init_device_scan_by_key_kernelINS1_19lookback_scan_stateINS0_5tupleIJibEEELb1ELb1EEENS1_16block_id_wrapperIjLb0EEEEEvT_jjPNS9_10value_typeET0_,"axG",@progbits,_ZN7rocprim17ROCPRIM_400000_NS6detail30init_device_scan_by_key_kernelINS1_19lookback_scan_stateINS0_5tupleIJibEEELb1ELb1EEENS1_16block_id_wrapperIjLb0EEEEEvT_jjPNS9_10value_typeET0_,comdat
.Lfunc_end31:
	.size	_ZN7rocprim17ROCPRIM_400000_NS6detail30init_device_scan_by_key_kernelINS1_19lookback_scan_stateINS0_5tupleIJibEEELb1ELb1EEENS1_16block_id_wrapperIjLb0EEEEEvT_jjPNS9_10value_typeET0_, .Lfunc_end31-_ZN7rocprim17ROCPRIM_400000_NS6detail30init_device_scan_by_key_kernelINS1_19lookback_scan_stateINS0_5tupleIJibEEELb1ELb1EEENS1_16block_id_wrapperIjLb0EEEEEvT_jjPNS9_10value_typeET0_
                                        ; -- End function
	.set _ZN7rocprim17ROCPRIM_400000_NS6detail30init_device_scan_by_key_kernelINS1_19lookback_scan_stateINS0_5tupleIJibEEELb1ELb1EEENS1_16block_id_wrapperIjLb0EEEEEvT_jjPNS9_10value_typeET0_.num_vgpr, 8
	.set _ZN7rocprim17ROCPRIM_400000_NS6detail30init_device_scan_by_key_kernelINS1_19lookback_scan_stateINS0_5tupleIJibEEELb1ELb1EEENS1_16block_id_wrapperIjLb0EEEEEvT_jjPNS9_10value_typeET0_.num_agpr, 0
	.set _ZN7rocprim17ROCPRIM_400000_NS6detail30init_device_scan_by_key_kernelINS1_19lookback_scan_stateINS0_5tupleIJibEEELb1ELb1EEENS1_16block_id_wrapperIjLb0EEEEEvT_jjPNS9_10value_typeET0_.numbered_sgpr, 10
	.set _ZN7rocprim17ROCPRIM_400000_NS6detail30init_device_scan_by_key_kernelINS1_19lookback_scan_stateINS0_5tupleIJibEEELb1ELb1EEENS1_16block_id_wrapperIjLb0EEEEEvT_jjPNS9_10value_typeET0_.num_named_barrier, 0
	.set _ZN7rocprim17ROCPRIM_400000_NS6detail30init_device_scan_by_key_kernelINS1_19lookback_scan_stateINS0_5tupleIJibEEELb1ELb1EEENS1_16block_id_wrapperIjLb0EEEEEvT_jjPNS9_10value_typeET0_.private_seg_size, 0
	.set _ZN7rocprim17ROCPRIM_400000_NS6detail30init_device_scan_by_key_kernelINS1_19lookback_scan_stateINS0_5tupleIJibEEELb1ELb1EEENS1_16block_id_wrapperIjLb0EEEEEvT_jjPNS9_10value_typeET0_.uses_vcc, 1
	.set _ZN7rocprim17ROCPRIM_400000_NS6detail30init_device_scan_by_key_kernelINS1_19lookback_scan_stateINS0_5tupleIJibEEELb1ELb1EEENS1_16block_id_wrapperIjLb0EEEEEvT_jjPNS9_10value_typeET0_.uses_flat_scratch, 0
	.set _ZN7rocprim17ROCPRIM_400000_NS6detail30init_device_scan_by_key_kernelINS1_19lookback_scan_stateINS0_5tupleIJibEEELb1ELb1EEENS1_16block_id_wrapperIjLb0EEEEEvT_jjPNS9_10value_typeET0_.has_dyn_sized_stack, 0
	.set _ZN7rocprim17ROCPRIM_400000_NS6detail30init_device_scan_by_key_kernelINS1_19lookback_scan_stateINS0_5tupleIJibEEELb1ELb1EEENS1_16block_id_wrapperIjLb0EEEEEvT_jjPNS9_10value_typeET0_.has_recursion, 0
	.set _ZN7rocprim17ROCPRIM_400000_NS6detail30init_device_scan_by_key_kernelINS1_19lookback_scan_stateINS0_5tupleIJibEEELb1ELb1EEENS1_16block_id_wrapperIjLb0EEEEEvT_jjPNS9_10value_typeET0_.has_indirect_call, 0
	.section	.AMDGPU.csdata,"",@progbits
; Kernel info:
; codeLenInByte = 460
; TotalNumSgprs: 12
; NumVgprs: 8
; ScratchSize: 0
; MemoryBound: 0
; FloatMode: 240
; IeeeMode: 1
; LDSByteSize: 0 bytes/workgroup (compile time only)
; SGPRBlocks: 0
; VGPRBlocks: 0
; NumSGPRsForWavesPerEU: 12
; NumVGPRsForWavesPerEU: 8
; Occupancy: 16
; WaveLimiterHint : 0
; COMPUTE_PGM_RSRC2:SCRATCH_EN: 0
; COMPUTE_PGM_RSRC2:USER_SGPR: 6
; COMPUTE_PGM_RSRC2:TRAP_HANDLER: 0
; COMPUTE_PGM_RSRC2:TGID_X_EN: 1
; COMPUTE_PGM_RSRC2:TGID_Y_EN: 0
; COMPUTE_PGM_RSRC2:TGID_Z_EN: 0
; COMPUTE_PGM_RSRC2:TIDIG_COMP_CNT: 0
	.section	.text._ZN7rocprim17ROCPRIM_400000_NS6detail17trampoline_kernelINS0_14default_configENS1_27scan_by_key_config_selectorIiiEEZZNS1_16scan_by_key_implILNS1_25lookback_scan_determinismE0ELb0ES3_PKiN6hipcub16HIPCUB_304000_NS21ConstantInputIteratorIilEEPiiNSB_3SumENSB_8EqualityEiEE10hipError_tPvRmT2_T3_T4_T5_mT6_T7_P12ihipStream_tbENKUlT_T0_E_clISt17integral_constantIbLb1EESW_IbLb0EEEEDaSS_ST_EUlSS_E_NS1_11comp_targetILNS1_3genE0ELNS1_11target_archE4294967295ELNS1_3gpuE0ELNS1_3repE0EEENS1_30default_config_static_selectorELNS0_4arch9wavefront6targetE0EEEvT1_,"axG",@progbits,_ZN7rocprim17ROCPRIM_400000_NS6detail17trampoline_kernelINS0_14default_configENS1_27scan_by_key_config_selectorIiiEEZZNS1_16scan_by_key_implILNS1_25lookback_scan_determinismE0ELb0ES3_PKiN6hipcub16HIPCUB_304000_NS21ConstantInputIteratorIilEEPiiNSB_3SumENSB_8EqualityEiEE10hipError_tPvRmT2_T3_T4_T5_mT6_T7_P12ihipStream_tbENKUlT_T0_E_clISt17integral_constantIbLb1EESW_IbLb0EEEEDaSS_ST_EUlSS_E_NS1_11comp_targetILNS1_3genE0ELNS1_11target_archE4294967295ELNS1_3gpuE0ELNS1_3repE0EEENS1_30default_config_static_selectorELNS0_4arch9wavefront6targetE0EEEvT1_,comdat
	.protected	_ZN7rocprim17ROCPRIM_400000_NS6detail17trampoline_kernelINS0_14default_configENS1_27scan_by_key_config_selectorIiiEEZZNS1_16scan_by_key_implILNS1_25lookback_scan_determinismE0ELb0ES3_PKiN6hipcub16HIPCUB_304000_NS21ConstantInputIteratorIilEEPiiNSB_3SumENSB_8EqualityEiEE10hipError_tPvRmT2_T3_T4_T5_mT6_T7_P12ihipStream_tbENKUlT_T0_E_clISt17integral_constantIbLb1EESW_IbLb0EEEEDaSS_ST_EUlSS_E_NS1_11comp_targetILNS1_3genE0ELNS1_11target_archE4294967295ELNS1_3gpuE0ELNS1_3repE0EEENS1_30default_config_static_selectorELNS0_4arch9wavefront6targetE0EEEvT1_ ; -- Begin function _ZN7rocprim17ROCPRIM_400000_NS6detail17trampoline_kernelINS0_14default_configENS1_27scan_by_key_config_selectorIiiEEZZNS1_16scan_by_key_implILNS1_25lookback_scan_determinismE0ELb0ES3_PKiN6hipcub16HIPCUB_304000_NS21ConstantInputIteratorIilEEPiiNSB_3SumENSB_8EqualityEiEE10hipError_tPvRmT2_T3_T4_T5_mT6_T7_P12ihipStream_tbENKUlT_T0_E_clISt17integral_constantIbLb1EESW_IbLb0EEEEDaSS_ST_EUlSS_E_NS1_11comp_targetILNS1_3genE0ELNS1_11target_archE4294967295ELNS1_3gpuE0ELNS1_3repE0EEENS1_30default_config_static_selectorELNS0_4arch9wavefront6targetE0EEEvT1_
	.globl	_ZN7rocprim17ROCPRIM_400000_NS6detail17trampoline_kernelINS0_14default_configENS1_27scan_by_key_config_selectorIiiEEZZNS1_16scan_by_key_implILNS1_25lookback_scan_determinismE0ELb0ES3_PKiN6hipcub16HIPCUB_304000_NS21ConstantInputIteratorIilEEPiiNSB_3SumENSB_8EqualityEiEE10hipError_tPvRmT2_T3_T4_T5_mT6_T7_P12ihipStream_tbENKUlT_T0_E_clISt17integral_constantIbLb1EESW_IbLb0EEEEDaSS_ST_EUlSS_E_NS1_11comp_targetILNS1_3genE0ELNS1_11target_archE4294967295ELNS1_3gpuE0ELNS1_3repE0EEENS1_30default_config_static_selectorELNS0_4arch9wavefront6targetE0EEEvT1_
	.p2align	8
	.type	_ZN7rocprim17ROCPRIM_400000_NS6detail17trampoline_kernelINS0_14default_configENS1_27scan_by_key_config_selectorIiiEEZZNS1_16scan_by_key_implILNS1_25lookback_scan_determinismE0ELb0ES3_PKiN6hipcub16HIPCUB_304000_NS21ConstantInputIteratorIilEEPiiNSB_3SumENSB_8EqualityEiEE10hipError_tPvRmT2_T3_T4_T5_mT6_T7_P12ihipStream_tbENKUlT_T0_E_clISt17integral_constantIbLb1EESW_IbLb0EEEEDaSS_ST_EUlSS_E_NS1_11comp_targetILNS1_3genE0ELNS1_11target_archE4294967295ELNS1_3gpuE0ELNS1_3repE0EEENS1_30default_config_static_selectorELNS0_4arch9wavefront6targetE0EEEvT1_,@function
_ZN7rocprim17ROCPRIM_400000_NS6detail17trampoline_kernelINS0_14default_configENS1_27scan_by_key_config_selectorIiiEEZZNS1_16scan_by_key_implILNS1_25lookback_scan_determinismE0ELb0ES3_PKiN6hipcub16HIPCUB_304000_NS21ConstantInputIteratorIilEEPiiNSB_3SumENSB_8EqualityEiEE10hipError_tPvRmT2_T3_T4_T5_mT6_T7_P12ihipStream_tbENKUlT_T0_E_clISt17integral_constantIbLb1EESW_IbLb0EEEEDaSS_ST_EUlSS_E_NS1_11comp_targetILNS1_3genE0ELNS1_11target_archE4294967295ELNS1_3gpuE0ELNS1_3repE0EEENS1_30default_config_static_selectorELNS0_4arch9wavefront6targetE0EEEvT1_: ; @_ZN7rocprim17ROCPRIM_400000_NS6detail17trampoline_kernelINS0_14default_configENS1_27scan_by_key_config_selectorIiiEEZZNS1_16scan_by_key_implILNS1_25lookback_scan_determinismE0ELb0ES3_PKiN6hipcub16HIPCUB_304000_NS21ConstantInputIteratorIilEEPiiNSB_3SumENSB_8EqualityEiEE10hipError_tPvRmT2_T3_T4_T5_mT6_T7_P12ihipStream_tbENKUlT_T0_E_clISt17integral_constantIbLb1EESW_IbLb0EEEEDaSS_ST_EUlSS_E_NS1_11comp_targetILNS1_3genE0ELNS1_11target_archE4294967295ELNS1_3gpuE0ELNS1_3repE0EEENS1_30default_config_static_selectorELNS0_4arch9wavefront6targetE0EEEvT1_
; %bb.0:
	.section	.rodata,"a",@progbits
	.p2align	6, 0x0
	.amdhsa_kernel _ZN7rocprim17ROCPRIM_400000_NS6detail17trampoline_kernelINS0_14default_configENS1_27scan_by_key_config_selectorIiiEEZZNS1_16scan_by_key_implILNS1_25lookback_scan_determinismE0ELb0ES3_PKiN6hipcub16HIPCUB_304000_NS21ConstantInputIteratorIilEEPiiNSB_3SumENSB_8EqualityEiEE10hipError_tPvRmT2_T3_T4_T5_mT6_T7_P12ihipStream_tbENKUlT_T0_E_clISt17integral_constantIbLb1EESW_IbLb0EEEEDaSS_ST_EUlSS_E_NS1_11comp_targetILNS1_3genE0ELNS1_11target_archE4294967295ELNS1_3gpuE0ELNS1_3repE0EEENS1_30default_config_static_selectorELNS0_4arch9wavefront6targetE0EEEvT1_
		.amdhsa_group_segment_fixed_size 0
		.amdhsa_private_segment_fixed_size 0
		.amdhsa_kernarg_size 120
		.amdhsa_user_sgpr_count 6
		.amdhsa_user_sgpr_private_segment_buffer 1
		.amdhsa_user_sgpr_dispatch_ptr 0
		.amdhsa_user_sgpr_queue_ptr 0
		.amdhsa_user_sgpr_kernarg_segment_ptr 1
		.amdhsa_user_sgpr_dispatch_id 0
		.amdhsa_user_sgpr_flat_scratch_init 0
		.amdhsa_user_sgpr_private_segment_size 0
		.amdhsa_wavefront_size32 1
		.amdhsa_uses_dynamic_stack 0
		.amdhsa_system_sgpr_private_segment_wavefront_offset 0
		.amdhsa_system_sgpr_workgroup_id_x 1
		.amdhsa_system_sgpr_workgroup_id_y 0
		.amdhsa_system_sgpr_workgroup_id_z 0
		.amdhsa_system_sgpr_workgroup_info 0
		.amdhsa_system_vgpr_workitem_id 0
		.amdhsa_next_free_vgpr 1
		.amdhsa_next_free_sgpr 1
		.amdhsa_reserve_vcc 0
		.amdhsa_reserve_flat_scratch 0
		.amdhsa_float_round_mode_32 0
		.amdhsa_float_round_mode_16_64 0
		.amdhsa_float_denorm_mode_32 3
		.amdhsa_float_denorm_mode_16_64 3
		.amdhsa_dx10_clamp 1
		.amdhsa_ieee_mode 1
		.amdhsa_fp16_overflow 0
		.amdhsa_workgroup_processor_mode 1
		.amdhsa_memory_ordered 1
		.amdhsa_forward_progress 1
		.amdhsa_shared_vgpr_count 0
		.amdhsa_exception_fp_ieee_invalid_op 0
		.amdhsa_exception_fp_denorm_src 0
		.amdhsa_exception_fp_ieee_div_zero 0
		.amdhsa_exception_fp_ieee_overflow 0
		.amdhsa_exception_fp_ieee_underflow 0
		.amdhsa_exception_fp_ieee_inexact 0
		.amdhsa_exception_int_div_zero 0
	.end_amdhsa_kernel
	.section	.text._ZN7rocprim17ROCPRIM_400000_NS6detail17trampoline_kernelINS0_14default_configENS1_27scan_by_key_config_selectorIiiEEZZNS1_16scan_by_key_implILNS1_25lookback_scan_determinismE0ELb0ES3_PKiN6hipcub16HIPCUB_304000_NS21ConstantInputIteratorIilEEPiiNSB_3SumENSB_8EqualityEiEE10hipError_tPvRmT2_T3_T4_T5_mT6_T7_P12ihipStream_tbENKUlT_T0_E_clISt17integral_constantIbLb1EESW_IbLb0EEEEDaSS_ST_EUlSS_E_NS1_11comp_targetILNS1_3genE0ELNS1_11target_archE4294967295ELNS1_3gpuE0ELNS1_3repE0EEENS1_30default_config_static_selectorELNS0_4arch9wavefront6targetE0EEEvT1_,"axG",@progbits,_ZN7rocprim17ROCPRIM_400000_NS6detail17trampoline_kernelINS0_14default_configENS1_27scan_by_key_config_selectorIiiEEZZNS1_16scan_by_key_implILNS1_25lookback_scan_determinismE0ELb0ES3_PKiN6hipcub16HIPCUB_304000_NS21ConstantInputIteratorIilEEPiiNSB_3SumENSB_8EqualityEiEE10hipError_tPvRmT2_T3_T4_T5_mT6_T7_P12ihipStream_tbENKUlT_T0_E_clISt17integral_constantIbLb1EESW_IbLb0EEEEDaSS_ST_EUlSS_E_NS1_11comp_targetILNS1_3genE0ELNS1_11target_archE4294967295ELNS1_3gpuE0ELNS1_3repE0EEENS1_30default_config_static_selectorELNS0_4arch9wavefront6targetE0EEEvT1_,comdat
.Lfunc_end32:
	.size	_ZN7rocprim17ROCPRIM_400000_NS6detail17trampoline_kernelINS0_14default_configENS1_27scan_by_key_config_selectorIiiEEZZNS1_16scan_by_key_implILNS1_25lookback_scan_determinismE0ELb0ES3_PKiN6hipcub16HIPCUB_304000_NS21ConstantInputIteratorIilEEPiiNSB_3SumENSB_8EqualityEiEE10hipError_tPvRmT2_T3_T4_T5_mT6_T7_P12ihipStream_tbENKUlT_T0_E_clISt17integral_constantIbLb1EESW_IbLb0EEEEDaSS_ST_EUlSS_E_NS1_11comp_targetILNS1_3genE0ELNS1_11target_archE4294967295ELNS1_3gpuE0ELNS1_3repE0EEENS1_30default_config_static_selectorELNS0_4arch9wavefront6targetE0EEEvT1_, .Lfunc_end32-_ZN7rocprim17ROCPRIM_400000_NS6detail17trampoline_kernelINS0_14default_configENS1_27scan_by_key_config_selectorIiiEEZZNS1_16scan_by_key_implILNS1_25lookback_scan_determinismE0ELb0ES3_PKiN6hipcub16HIPCUB_304000_NS21ConstantInputIteratorIilEEPiiNSB_3SumENSB_8EqualityEiEE10hipError_tPvRmT2_T3_T4_T5_mT6_T7_P12ihipStream_tbENKUlT_T0_E_clISt17integral_constantIbLb1EESW_IbLb0EEEEDaSS_ST_EUlSS_E_NS1_11comp_targetILNS1_3genE0ELNS1_11target_archE4294967295ELNS1_3gpuE0ELNS1_3repE0EEENS1_30default_config_static_selectorELNS0_4arch9wavefront6targetE0EEEvT1_
                                        ; -- End function
	.set _ZN7rocprim17ROCPRIM_400000_NS6detail17trampoline_kernelINS0_14default_configENS1_27scan_by_key_config_selectorIiiEEZZNS1_16scan_by_key_implILNS1_25lookback_scan_determinismE0ELb0ES3_PKiN6hipcub16HIPCUB_304000_NS21ConstantInputIteratorIilEEPiiNSB_3SumENSB_8EqualityEiEE10hipError_tPvRmT2_T3_T4_T5_mT6_T7_P12ihipStream_tbENKUlT_T0_E_clISt17integral_constantIbLb1EESW_IbLb0EEEEDaSS_ST_EUlSS_E_NS1_11comp_targetILNS1_3genE0ELNS1_11target_archE4294967295ELNS1_3gpuE0ELNS1_3repE0EEENS1_30default_config_static_selectorELNS0_4arch9wavefront6targetE0EEEvT1_.num_vgpr, 0
	.set _ZN7rocprim17ROCPRIM_400000_NS6detail17trampoline_kernelINS0_14default_configENS1_27scan_by_key_config_selectorIiiEEZZNS1_16scan_by_key_implILNS1_25lookback_scan_determinismE0ELb0ES3_PKiN6hipcub16HIPCUB_304000_NS21ConstantInputIteratorIilEEPiiNSB_3SumENSB_8EqualityEiEE10hipError_tPvRmT2_T3_T4_T5_mT6_T7_P12ihipStream_tbENKUlT_T0_E_clISt17integral_constantIbLb1EESW_IbLb0EEEEDaSS_ST_EUlSS_E_NS1_11comp_targetILNS1_3genE0ELNS1_11target_archE4294967295ELNS1_3gpuE0ELNS1_3repE0EEENS1_30default_config_static_selectorELNS0_4arch9wavefront6targetE0EEEvT1_.num_agpr, 0
	.set _ZN7rocprim17ROCPRIM_400000_NS6detail17trampoline_kernelINS0_14default_configENS1_27scan_by_key_config_selectorIiiEEZZNS1_16scan_by_key_implILNS1_25lookback_scan_determinismE0ELb0ES3_PKiN6hipcub16HIPCUB_304000_NS21ConstantInputIteratorIilEEPiiNSB_3SumENSB_8EqualityEiEE10hipError_tPvRmT2_T3_T4_T5_mT6_T7_P12ihipStream_tbENKUlT_T0_E_clISt17integral_constantIbLb1EESW_IbLb0EEEEDaSS_ST_EUlSS_E_NS1_11comp_targetILNS1_3genE0ELNS1_11target_archE4294967295ELNS1_3gpuE0ELNS1_3repE0EEENS1_30default_config_static_selectorELNS0_4arch9wavefront6targetE0EEEvT1_.numbered_sgpr, 0
	.set _ZN7rocprim17ROCPRIM_400000_NS6detail17trampoline_kernelINS0_14default_configENS1_27scan_by_key_config_selectorIiiEEZZNS1_16scan_by_key_implILNS1_25lookback_scan_determinismE0ELb0ES3_PKiN6hipcub16HIPCUB_304000_NS21ConstantInputIteratorIilEEPiiNSB_3SumENSB_8EqualityEiEE10hipError_tPvRmT2_T3_T4_T5_mT6_T7_P12ihipStream_tbENKUlT_T0_E_clISt17integral_constantIbLb1EESW_IbLb0EEEEDaSS_ST_EUlSS_E_NS1_11comp_targetILNS1_3genE0ELNS1_11target_archE4294967295ELNS1_3gpuE0ELNS1_3repE0EEENS1_30default_config_static_selectorELNS0_4arch9wavefront6targetE0EEEvT1_.num_named_barrier, 0
	.set _ZN7rocprim17ROCPRIM_400000_NS6detail17trampoline_kernelINS0_14default_configENS1_27scan_by_key_config_selectorIiiEEZZNS1_16scan_by_key_implILNS1_25lookback_scan_determinismE0ELb0ES3_PKiN6hipcub16HIPCUB_304000_NS21ConstantInputIteratorIilEEPiiNSB_3SumENSB_8EqualityEiEE10hipError_tPvRmT2_T3_T4_T5_mT6_T7_P12ihipStream_tbENKUlT_T0_E_clISt17integral_constantIbLb1EESW_IbLb0EEEEDaSS_ST_EUlSS_E_NS1_11comp_targetILNS1_3genE0ELNS1_11target_archE4294967295ELNS1_3gpuE0ELNS1_3repE0EEENS1_30default_config_static_selectorELNS0_4arch9wavefront6targetE0EEEvT1_.private_seg_size, 0
	.set _ZN7rocprim17ROCPRIM_400000_NS6detail17trampoline_kernelINS0_14default_configENS1_27scan_by_key_config_selectorIiiEEZZNS1_16scan_by_key_implILNS1_25lookback_scan_determinismE0ELb0ES3_PKiN6hipcub16HIPCUB_304000_NS21ConstantInputIteratorIilEEPiiNSB_3SumENSB_8EqualityEiEE10hipError_tPvRmT2_T3_T4_T5_mT6_T7_P12ihipStream_tbENKUlT_T0_E_clISt17integral_constantIbLb1EESW_IbLb0EEEEDaSS_ST_EUlSS_E_NS1_11comp_targetILNS1_3genE0ELNS1_11target_archE4294967295ELNS1_3gpuE0ELNS1_3repE0EEENS1_30default_config_static_selectorELNS0_4arch9wavefront6targetE0EEEvT1_.uses_vcc, 0
	.set _ZN7rocprim17ROCPRIM_400000_NS6detail17trampoline_kernelINS0_14default_configENS1_27scan_by_key_config_selectorIiiEEZZNS1_16scan_by_key_implILNS1_25lookback_scan_determinismE0ELb0ES3_PKiN6hipcub16HIPCUB_304000_NS21ConstantInputIteratorIilEEPiiNSB_3SumENSB_8EqualityEiEE10hipError_tPvRmT2_T3_T4_T5_mT6_T7_P12ihipStream_tbENKUlT_T0_E_clISt17integral_constantIbLb1EESW_IbLb0EEEEDaSS_ST_EUlSS_E_NS1_11comp_targetILNS1_3genE0ELNS1_11target_archE4294967295ELNS1_3gpuE0ELNS1_3repE0EEENS1_30default_config_static_selectorELNS0_4arch9wavefront6targetE0EEEvT1_.uses_flat_scratch, 0
	.set _ZN7rocprim17ROCPRIM_400000_NS6detail17trampoline_kernelINS0_14default_configENS1_27scan_by_key_config_selectorIiiEEZZNS1_16scan_by_key_implILNS1_25lookback_scan_determinismE0ELb0ES3_PKiN6hipcub16HIPCUB_304000_NS21ConstantInputIteratorIilEEPiiNSB_3SumENSB_8EqualityEiEE10hipError_tPvRmT2_T3_T4_T5_mT6_T7_P12ihipStream_tbENKUlT_T0_E_clISt17integral_constantIbLb1EESW_IbLb0EEEEDaSS_ST_EUlSS_E_NS1_11comp_targetILNS1_3genE0ELNS1_11target_archE4294967295ELNS1_3gpuE0ELNS1_3repE0EEENS1_30default_config_static_selectorELNS0_4arch9wavefront6targetE0EEEvT1_.has_dyn_sized_stack, 0
	.set _ZN7rocprim17ROCPRIM_400000_NS6detail17trampoline_kernelINS0_14default_configENS1_27scan_by_key_config_selectorIiiEEZZNS1_16scan_by_key_implILNS1_25lookback_scan_determinismE0ELb0ES3_PKiN6hipcub16HIPCUB_304000_NS21ConstantInputIteratorIilEEPiiNSB_3SumENSB_8EqualityEiEE10hipError_tPvRmT2_T3_T4_T5_mT6_T7_P12ihipStream_tbENKUlT_T0_E_clISt17integral_constantIbLb1EESW_IbLb0EEEEDaSS_ST_EUlSS_E_NS1_11comp_targetILNS1_3genE0ELNS1_11target_archE4294967295ELNS1_3gpuE0ELNS1_3repE0EEENS1_30default_config_static_selectorELNS0_4arch9wavefront6targetE0EEEvT1_.has_recursion, 0
	.set _ZN7rocprim17ROCPRIM_400000_NS6detail17trampoline_kernelINS0_14default_configENS1_27scan_by_key_config_selectorIiiEEZZNS1_16scan_by_key_implILNS1_25lookback_scan_determinismE0ELb0ES3_PKiN6hipcub16HIPCUB_304000_NS21ConstantInputIteratorIilEEPiiNSB_3SumENSB_8EqualityEiEE10hipError_tPvRmT2_T3_T4_T5_mT6_T7_P12ihipStream_tbENKUlT_T0_E_clISt17integral_constantIbLb1EESW_IbLb0EEEEDaSS_ST_EUlSS_E_NS1_11comp_targetILNS1_3genE0ELNS1_11target_archE4294967295ELNS1_3gpuE0ELNS1_3repE0EEENS1_30default_config_static_selectorELNS0_4arch9wavefront6targetE0EEEvT1_.has_indirect_call, 0
	.section	.AMDGPU.csdata,"",@progbits
; Kernel info:
; codeLenInByte = 0
; TotalNumSgprs: 0
; NumVgprs: 0
; ScratchSize: 0
; MemoryBound: 0
; FloatMode: 240
; IeeeMode: 1
; LDSByteSize: 0 bytes/workgroup (compile time only)
; SGPRBlocks: 0
; VGPRBlocks: 0
; NumSGPRsForWavesPerEU: 1
; NumVGPRsForWavesPerEU: 1
; Occupancy: 16
; WaveLimiterHint : 0
; COMPUTE_PGM_RSRC2:SCRATCH_EN: 0
; COMPUTE_PGM_RSRC2:USER_SGPR: 6
; COMPUTE_PGM_RSRC2:TRAP_HANDLER: 0
; COMPUTE_PGM_RSRC2:TGID_X_EN: 1
; COMPUTE_PGM_RSRC2:TGID_Y_EN: 0
; COMPUTE_PGM_RSRC2:TGID_Z_EN: 0
; COMPUTE_PGM_RSRC2:TIDIG_COMP_CNT: 0
	.section	.text._ZN7rocprim17ROCPRIM_400000_NS6detail17trampoline_kernelINS0_14default_configENS1_27scan_by_key_config_selectorIiiEEZZNS1_16scan_by_key_implILNS1_25lookback_scan_determinismE0ELb0ES3_PKiN6hipcub16HIPCUB_304000_NS21ConstantInputIteratorIilEEPiiNSB_3SumENSB_8EqualityEiEE10hipError_tPvRmT2_T3_T4_T5_mT6_T7_P12ihipStream_tbENKUlT_T0_E_clISt17integral_constantIbLb1EESW_IbLb0EEEEDaSS_ST_EUlSS_E_NS1_11comp_targetILNS1_3genE10ELNS1_11target_archE1201ELNS1_3gpuE5ELNS1_3repE0EEENS1_30default_config_static_selectorELNS0_4arch9wavefront6targetE0EEEvT1_,"axG",@progbits,_ZN7rocprim17ROCPRIM_400000_NS6detail17trampoline_kernelINS0_14default_configENS1_27scan_by_key_config_selectorIiiEEZZNS1_16scan_by_key_implILNS1_25lookback_scan_determinismE0ELb0ES3_PKiN6hipcub16HIPCUB_304000_NS21ConstantInputIteratorIilEEPiiNSB_3SumENSB_8EqualityEiEE10hipError_tPvRmT2_T3_T4_T5_mT6_T7_P12ihipStream_tbENKUlT_T0_E_clISt17integral_constantIbLb1EESW_IbLb0EEEEDaSS_ST_EUlSS_E_NS1_11comp_targetILNS1_3genE10ELNS1_11target_archE1201ELNS1_3gpuE5ELNS1_3repE0EEENS1_30default_config_static_selectorELNS0_4arch9wavefront6targetE0EEEvT1_,comdat
	.protected	_ZN7rocprim17ROCPRIM_400000_NS6detail17trampoline_kernelINS0_14default_configENS1_27scan_by_key_config_selectorIiiEEZZNS1_16scan_by_key_implILNS1_25lookback_scan_determinismE0ELb0ES3_PKiN6hipcub16HIPCUB_304000_NS21ConstantInputIteratorIilEEPiiNSB_3SumENSB_8EqualityEiEE10hipError_tPvRmT2_T3_T4_T5_mT6_T7_P12ihipStream_tbENKUlT_T0_E_clISt17integral_constantIbLb1EESW_IbLb0EEEEDaSS_ST_EUlSS_E_NS1_11comp_targetILNS1_3genE10ELNS1_11target_archE1201ELNS1_3gpuE5ELNS1_3repE0EEENS1_30default_config_static_selectorELNS0_4arch9wavefront6targetE0EEEvT1_ ; -- Begin function _ZN7rocprim17ROCPRIM_400000_NS6detail17trampoline_kernelINS0_14default_configENS1_27scan_by_key_config_selectorIiiEEZZNS1_16scan_by_key_implILNS1_25lookback_scan_determinismE0ELb0ES3_PKiN6hipcub16HIPCUB_304000_NS21ConstantInputIteratorIilEEPiiNSB_3SumENSB_8EqualityEiEE10hipError_tPvRmT2_T3_T4_T5_mT6_T7_P12ihipStream_tbENKUlT_T0_E_clISt17integral_constantIbLb1EESW_IbLb0EEEEDaSS_ST_EUlSS_E_NS1_11comp_targetILNS1_3genE10ELNS1_11target_archE1201ELNS1_3gpuE5ELNS1_3repE0EEENS1_30default_config_static_selectorELNS0_4arch9wavefront6targetE0EEEvT1_
	.globl	_ZN7rocprim17ROCPRIM_400000_NS6detail17trampoline_kernelINS0_14default_configENS1_27scan_by_key_config_selectorIiiEEZZNS1_16scan_by_key_implILNS1_25lookback_scan_determinismE0ELb0ES3_PKiN6hipcub16HIPCUB_304000_NS21ConstantInputIteratorIilEEPiiNSB_3SumENSB_8EqualityEiEE10hipError_tPvRmT2_T3_T4_T5_mT6_T7_P12ihipStream_tbENKUlT_T0_E_clISt17integral_constantIbLb1EESW_IbLb0EEEEDaSS_ST_EUlSS_E_NS1_11comp_targetILNS1_3genE10ELNS1_11target_archE1201ELNS1_3gpuE5ELNS1_3repE0EEENS1_30default_config_static_selectorELNS0_4arch9wavefront6targetE0EEEvT1_
	.p2align	8
	.type	_ZN7rocprim17ROCPRIM_400000_NS6detail17trampoline_kernelINS0_14default_configENS1_27scan_by_key_config_selectorIiiEEZZNS1_16scan_by_key_implILNS1_25lookback_scan_determinismE0ELb0ES3_PKiN6hipcub16HIPCUB_304000_NS21ConstantInputIteratorIilEEPiiNSB_3SumENSB_8EqualityEiEE10hipError_tPvRmT2_T3_T4_T5_mT6_T7_P12ihipStream_tbENKUlT_T0_E_clISt17integral_constantIbLb1EESW_IbLb0EEEEDaSS_ST_EUlSS_E_NS1_11comp_targetILNS1_3genE10ELNS1_11target_archE1201ELNS1_3gpuE5ELNS1_3repE0EEENS1_30default_config_static_selectorELNS0_4arch9wavefront6targetE0EEEvT1_,@function
_ZN7rocprim17ROCPRIM_400000_NS6detail17trampoline_kernelINS0_14default_configENS1_27scan_by_key_config_selectorIiiEEZZNS1_16scan_by_key_implILNS1_25lookback_scan_determinismE0ELb0ES3_PKiN6hipcub16HIPCUB_304000_NS21ConstantInputIteratorIilEEPiiNSB_3SumENSB_8EqualityEiEE10hipError_tPvRmT2_T3_T4_T5_mT6_T7_P12ihipStream_tbENKUlT_T0_E_clISt17integral_constantIbLb1EESW_IbLb0EEEEDaSS_ST_EUlSS_E_NS1_11comp_targetILNS1_3genE10ELNS1_11target_archE1201ELNS1_3gpuE5ELNS1_3repE0EEENS1_30default_config_static_selectorELNS0_4arch9wavefront6targetE0EEEvT1_: ; @_ZN7rocprim17ROCPRIM_400000_NS6detail17trampoline_kernelINS0_14default_configENS1_27scan_by_key_config_selectorIiiEEZZNS1_16scan_by_key_implILNS1_25lookback_scan_determinismE0ELb0ES3_PKiN6hipcub16HIPCUB_304000_NS21ConstantInputIteratorIilEEPiiNSB_3SumENSB_8EqualityEiEE10hipError_tPvRmT2_T3_T4_T5_mT6_T7_P12ihipStream_tbENKUlT_T0_E_clISt17integral_constantIbLb1EESW_IbLb0EEEEDaSS_ST_EUlSS_E_NS1_11comp_targetILNS1_3genE10ELNS1_11target_archE1201ELNS1_3gpuE5ELNS1_3repE0EEENS1_30default_config_static_selectorELNS0_4arch9wavefront6targetE0EEEvT1_
; %bb.0:
	.section	.rodata,"a",@progbits
	.p2align	6, 0x0
	.amdhsa_kernel _ZN7rocprim17ROCPRIM_400000_NS6detail17trampoline_kernelINS0_14default_configENS1_27scan_by_key_config_selectorIiiEEZZNS1_16scan_by_key_implILNS1_25lookback_scan_determinismE0ELb0ES3_PKiN6hipcub16HIPCUB_304000_NS21ConstantInputIteratorIilEEPiiNSB_3SumENSB_8EqualityEiEE10hipError_tPvRmT2_T3_T4_T5_mT6_T7_P12ihipStream_tbENKUlT_T0_E_clISt17integral_constantIbLb1EESW_IbLb0EEEEDaSS_ST_EUlSS_E_NS1_11comp_targetILNS1_3genE10ELNS1_11target_archE1201ELNS1_3gpuE5ELNS1_3repE0EEENS1_30default_config_static_selectorELNS0_4arch9wavefront6targetE0EEEvT1_
		.amdhsa_group_segment_fixed_size 0
		.amdhsa_private_segment_fixed_size 0
		.amdhsa_kernarg_size 120
		.amdhsa_user_sgpr_count 6
		.amdhsa_user_sgpr_private_segment_buffer 1
		.amdhsa_user_sgpr_dispatch_ptr 0
		.amdhsa_user_sgpr_queue_ptr 0
		.amdhsa_user_sgpr_kernarg_segment_ptr 1
		.amdhsa_user_sgpr_dispatch_id 0
		.amdhsa_user_sgpr_flat_scratch_init 0
		.amdhsa_user_sgpr_private_segment_size 0
		.amdhsa_wavefront_size32 1
		.amdhsa_uses_dynamic_stack 0
		.amdhsa_system_sgpr_private_segment_wavefront_offset 0
		.amdhsa_system_sgpr_workgroup_id_x 1
		.amdhsa_system_sgpr_workgroup_id_y 0
		.amdhsa_system_sgpr_workgroup_id_z 0
		.amdhsa_system_sgpr_workgroup_info 0
		.amdhsa_system_vgpr_workitem_id 0
		.amdhsa_next_free_vgpr 1
		.amdhsa_next_free_sgpr 1
		.amdhsa_reserve_vcc 0
		.amdhsa_reserve_flat_scratch 0
		.amdhsa_float_round_mode_32 0
		.amdhsa_float_round_mode_16_64 0
		.amdhsa_float_denorm_mode_32 3
		.amdhsa_float_denorm_mode_16_64 3
		.amdhsa_dx10_clamp 1
		.amdhsa_ieee_mode 1
		.amdhsa_fp16_overflow 0
		.amdhsa_workgroup_processor_mode 1
		.amdhsa_memory_ordered 1
		.amdhsa_forward_progress 1
		.amdhsa_shared_vgpr_count 0
		.amdhsa_exception_fp_ieee_invalid_op 0
		.amdhsa_exception_fp_denorm_src 0
		.amdhsa_exception_fp_ieee_div_zero 0
		.amdhsa_exception_fp_ieee_overflow 0
		.amdhsa_exception_fp_ieee_underflow 0
		.amdhsa_exception_fp_ieee_inexact 0
		.amdhsa_exception_int_div_zero 0
	.end_amdhsa_kernel
	.section	.text._ZN7rocprim17ROCPRIM_400000_NS6detail17trampoline_kernelINS0_14default_configENS1_27scan_by_key_config_selectorIiiEEZZNS1_16scan_by_key_implILNS1_25lookback_scan_determinismE0ELb0ES3_PKiN6hipcub16HIPCUB_304000_NS21ConstantInputIteratorIilEEPiiNSB_3SumENSB_8EqualityEiEE10hipError_tPvRmT2_T3_T4_T5_mT6_T7_P12ihipStream_tbENKUlT_T0_E_clISt17integral_constantIbLb1EESW_IbLb0EEEEDaSS_ST_EUlSS_E_NS1_11comp_targetILNS1_3genE10ELNS1_11target_archE1201ELNS1_3gpuE5ELNS1_3repE0EEENS1_30default_config_static_selectorELNS0_4arch9wavefront6targetE0EEEvT1_,"axG",@progbits,_ZN7rocprim17ROCPRIM_400000_NS6detail17trampoline_kernelINS0_14default_configENS1_27scan_by_key_config_selectorIiiEEZZNS1_16scan_by_key_implILNS1_25lookback_scan_determinismE0ELb0ES3_PKiN6hipcub16HIPCUB_304000_NS21ConstantInputIteratorIilEEPiiNSB_3SumENSB_8EqualityEiEE10hipError_tPvRmT2_T3_T4_T5_mT6_T7_P12ihipStream_tbENKUlT_T0_E_clISt17integral_constantIbLb1EESW_IbLb0EEEEDaSS_ST_EUlSS_E_NS1_11comp_targetILNS1_3genE10ELNS1_11target_archE1201ELNS1_3gpuE5ELNS1_3repE0EEENS1_30default_config_static_selectorELNS0_4arch9wavefront6targetE0EEEvT1_,comdat
.Lfunc_end33:
	.size	_ZN7rocprim17ROCPRIM_400000_NS6detail17trampoline_kernelINS0_14default_configENS1_27scan_by_key_config_selectorIiiEEZZNS1_16scan_by_key_implILNS1_25lookback_scan_determinismE0ELb0ES3_PKiN6hipcub16HIPCUB_304000_NS21ConstantInputIteratorIilEEPiiNSB_3SumENSB_8EqualityEiEE10hipError_tPvRmT2_T3_T4_T5_mT6_T7_P12ihipStream_tbENKUlT_T0_E_clISt17integral_constantIbLb1EESW_IbLb0EEEEDaSS_ST_EUlSS_E_NS1_11comp_targetILNS1_3genE10ELNS1_11target_archE1201ELNS1_3gpuE5ELNS1_3repE0EEENS1_30default_config_static_selectorELNS0_4arch9wavefront6targetE0EEEvT1_, .Lfunc_end33-_ZN7rocprim17ROCPRIM_400000_NS6detail17trampoline_kernelINS0_14default_configENS1_27scan_by_key_config_selectorIiiEEZZNS1_16scan_by_key_implILNS1_25lookback_scan_determinismE0ELb0ES3_PKiN6hipcub16HIPCUB_304000_NS21ConstantInputIteratorIilEEPiiNSB_3SumENSB_8EqualityEiEE10hipError_tPvRmT2_T3_T4_T5_mT6_T7_P12ihipStream_tbENKUlT_T0_E_clISt17integral_constantIbLb1EESW_IbLb0EEEEDaSS_ST_EUlSS_E_NS1_11comp_targetILNS1_3genE10ELNS1_11target_archE1201ELNS1_3gpuE5ELNS1_3repE0EEENS1_30default_config_static_selectorELNS0_4arch9wavefront6targetE0EEEvT1_
                                        ; -- End function
	.set _ZN7rocprim17ROCPRIM_400000_NS6detail17trampoline_kernelINS0_14default_configENS1_27scan_by_key_config_selectorIiiEEZZNS1_16scan_by_key_implILNS1_25lookback_scan_determinismE0ELb0ES3_PKiN6hipcub16HIPCUB_304000_NS21ConstantInputIteratorIilEEPiiNSB_3SumENSB_8EqualityEiEE10hipError_tPvRmT2_T3_T4_T5_mT6_T7_P12ihipStream_tbENKUlT_T0_E_clISt17integral_constantIbLb1EESW_IbLb0EEEEDaSS_ST_EUlSS_E_NS1_11comp_targetILNS1_3genE10ELNS1_11target_archE1201ELNS1_3gpuE5ELNS1_3repE0EEENS1_30default_config_static_selectorELNS0_4arch9wavefront6targetE0EEEvT1_.num_vgpr, 0
	.set _ZN7rocprim17ROCPRIM_400000_NS6detail17trampoline_kernelINS0_14default_configENS1_27scan_by_key_config_selectorIiiEEZZNS1_16scan_by_key_implILNS1_25lookback_scan_determinismE0ELb0ES3_PKiN6hipcub16HIPCUB_304000_NS21ConstantInputIteratorIilEEPiiNSB_3SumENSB_8EqualityEiEE10hipError_tPvRmT2_T3_T4_T5_mT6_T7_P12ihipStream_tbENKUlT_T0_E_clISt17integral_constantIbLb1EESW_IbLb0EEEEDaSS_ST_EUlSS_E_NS1_11comp_targetILNS1_3genE10ELNS1_11target_archE1201ELNS1_3gpuE5ELNS1_3repE0EEENS1_30default_config_static_selectorELNS0_4arch9wavefront6targetE0EEEvT1_.num_agpr, 0
	.set _ZN7rocprim17ROCPRIM_400000_NS6detail17trampoline_kernelINS0_14default_configENS1_27scan_by_key_config_selectorIiiEEZZNS1_16scan_by_key_implILNS1_25lookback_scan_determinismE0ELb0ES3_PKiN6hipcub16HIPCUB_304000_NS21ConstantInputIteratorIilEEPiiNSB_3SumENSB_8EqualityEiEE10hipError_tPvRmT2_T3_T4_T5_mT6_T7_P12ihipStream_tbENKUlT_T0_E_clISt17integral_constantIbLb1EESW_IbLb0EEEEDaSS_ST_EUlSS_E_NS1_11comp_targetILNS1_3genE10ELNS1_11target_archE1201ELNS1_3gpuE5ELNS1_3repE0EEENS1_30default_config_static_selectorELNS0_4arch9wavefront6targetE0EEEvT1_.numbered_sgpr, 0
	.set _ZN7rocprim17ROCPRIM_400000_NS6detail17trampoline_kernelINS0_14default_configENS1_27scan_by_key_config_selectorIiiEEZZNS1_16scan_by_key_implILNS1_25lookback_scan_determinismE0ELb0ES3_PKiN6hipcub16HIPCUB_304000_NS21ConstantInputIteratorIilEEPiiNSB_3SumENSB_8EqualityEiEE10hipError_tPvRmT2_T3_T4_T5_mT6_T7_P12ihipStream_tbENKUlT_T0_E_clISt17integral_constantIbLb1EESW_IbLb0EEEEDaSS_ST_EUlSS_E_NS1_11comp_targetILNS1_3genE10ELNS1_11target_archE1201ELNS1_3gpuE5ELNS1_3repE0EEENS1_30default_config_static_selectorELNS0_4arch9wavefront6targetE0EEEvT1_.num_named_barrier, 0
	.set _ZN7rocprim17ROCPRIM_400000_NS6detail17trampoline_kernelINS0_14default_configENS1_27scan_by_key_config_selectorIiiEEZZNS1_16scan_by_key_implILNS1_25lookback_scan_determinismE0ELb0ES3_PKiN6hipcub16HIPCUB_304000_NS21ConstantInputIteratorIilEEPiiNSB_3SumENSB_8EqualityEiEE10hipError_tPvRmT2_T3_T4_T5_mT6_T7_P12ihipStream_tbENKUlT_T0_E_clISt17integral_constantIbLb1EESW_IbLb0EEEEDaSS_ST_EUlSS_E_NS1_11comp_targetILNS1_3genE10ELNS1_11target_archE1201ELNS1_3gpuE5ELNS1_3repE0EEENS1_30default_config_static_selectorELNS0_4arch9wavefront6targetE0EEEvT1_.private_seg_size, 0
	.set _ZN7rocprim17ROCPRIM_400000_NS6detail17trampoline_kernelINS0_14default_configENS1_27scan_by_key_config_selectorIiiEEZZNS1_16scan_by_key_implILNS1_25lookback_scan_determinismE0ELb0ES3_PKiN6hipcub16HIPCUB_304000_NS21ConstantInputIteratorIilEEPiiNSB_3SumENSB_8EqualityEiEE10hipError_tPvRmT2_T3_T4_T5_mT6_T7_P12ihipStream_tbENKUlT_T0_E_clISt17integral_constantIbLb1EESW_IbLb0EEEEDaSS_ST_EUlSS_E_NS1_11comp_targetILNS1_3genE10ELNS1_11target_archE1201ELNS1_3gpuE5ELNS1_3repE0EEENS1_30default_config_static_selectorELNS0_4arch9wavefront6targetE0EEEvT1_.uses_vcc, 0
	.set _ZN7rocprim17ROCPRIM_400000_NS6detail17trampoline_kernelINS0_14default_configENS1_27scan_by_key_config_selectorIiiEEZZNS1_16scan_by_key_implILNS1_25lookback_scan_determinismE0ELb0ES3_PKiN6hipcub16HIPCUB_304000_NS21ConstantInputIteratorIilEEPiiNSB_3SumENSB_8EqualityEiEE10hipError_tPvRmT2_T3_T4_T5_mT6_T7_P12ihipStream_tbENKUlT_T0_E_clISt17integral_constantIbLb1EESW_IbLb0EEEEDaSS_ST_EUlSS_E_NS1_11comp_targetILNS1_3genE10ELNS1_11target_archE1201ELNS1_3gpuE5ELNS1_3repE0EEENS1_30default_config_static_selectorELNS0_4arch9wavefront6targetE0EEEvT1_.uses_flat_scratch, 0
	.set _ZN7rocprim17ROCPRIM_400000_NS6detail17trampoline_kernelINS0_14default_configENS1_27scan_by_key_config_selectorIiiEEZZNS1_16scan_by_key_implILNS1_25lookback_scan_determinismE0ELb0ES3_PKiN6hipcub16HIPCUB_304000_NS21ConstantInputIteratorIilEEPiiNSB_3SumENSB_8EqualityEiEE10hipError_tPvRmT2_T3_T4_T5_mT6_T7_P12ihipStream_tbENKUlT_T0_E_clISt17integral_constantIbLb1EESW_IbLb0EEEEDaSS_ST_EUlSS_E_NS1_11comp_targetILNS1_3genE10ELNS1_11target_archE1201ELNS1_3gpuE5ELNS1_3repE0EEENS1_30default_config_static_selectorELNS0_4arch9wavefront6targetE0EEEvT1_.has_dyn_sized_stack, 0
	.set _ZN7rocprim17ROCPRIM_400000_NS6detail17trampoline_kernelINS0_14default_configENS1_27scan_by_key_config_selectorIiiEEZZNS1_16scan_by_key_implILNS1_25lookback_scan_determinismE0ELb0ES3_PKiN6hipcub16HIPCUB_304000_NS21ConstantInputIteratorIilEEPiiNSB_3SumENSB_8EqualityEiEE10hipError_tPvRmT2_T3_T4_T5_mT6_T7_P12ihipStream_tbENKUlT_T0_E_clISt17integral_constantIbLb1EESW_IbLb0EEEEDaSS_ST_EUlSS_E_NS1_11comp_targetILNS1_3genE10ELNS1_11target_archE1201ELNS1_3gpuE5ELNS1_3repE0EEENS1_30default_config_static_selectorELNS0_4arch9wavefront6targetE0EEEvT1_.has_recursion, 0
	.set _ZN7rocprim17ROCPRIM_400000_NS6detail17trampoline_kernelINS0_14default_configENS1_27scan_by_key_config_selectorIiiEEZZNS1_16scan_by_key_implILNS1_25lookback_scan_determinismE0ELb0ES3_PKiN6hipcub16HIPCUB_304000_NS21ConstantInputIteratorIilEEPiiNSB_3SumENSB_8EqualityEiEE10hipError_tPvRmT2_T3_T4_T5_mT6_T7_P12ihipStream_tbENKUlT_T0_E_clISt17integral_constantIbLb1EESW_IbLb0EEEEDaSS_ST_EUlSS_E_NS1_11comp_targetILNS1_3genE10ELNS1_11target_archE1201ELNS1_3gpuE5ELNS1_3repE0EEENS1_30default_config_static_selectorELNS0_4arch9wavefront6targetE0EEEvT1_.has_indirect_call, 0
	.section	.AMDGPU.csdata,"",@progbits
; Kernel info:
; codeLenInByte = 0
; TotalNumSgprs: 0
; NumVgprs: 0
; ScratchSize: 0
; MemoryBound: 0
; FloatMode: 240
; IeeeMode: 1
; LDSByteSize: 0 bytes/workgroup (compile time only)
; SGPRBlocks: 0
; VGPRBlocks: 0
; NumSGPRsForWavesPerEU: 1
; NumVGPRsForWavesPerEU: 1
; Occupancy: 16
; WaveLimiterHint : 0
; COMPUTE_PGM_RSRC2:SCRATCH_EN: 0
; COMPUTE_PGM_RSRC2:USER_SGPR: 6
; COMPUTE_PGM_RSRC2:TRAP_HANDLER: 0
; COMPUTE_PGM_RSRC2:TGID_X_EN: 1
; COMPUTE_PGM_RSRC2:TGID_Y_EN: 0
; COMPUTE_PGM_RSRC2:TGID_Z_EN: 0
; COMPUTE_PGM_RSRC2:TIDIG_COMP_CNT: 0
	.section	.text._ZN7rocprim17ROCPRIM_400000_NS6detail17trampoline_kernelINS0_14default_configENS1_27scan_by_key_config_selectorIiiEEZZNS1_16scan_by_key_implILNS1_25lookback_scan_determinismE0ELb0ES3_PKiN6hipcub16HIPCUB_304000_NS21ConstantInputIteratorIilEEPiiNSB_3SumENSB_8EqualityEiEE10hipError_tPvRmT2_T3_T4_T5_mT6_T7_P12ihipStream_tbENKUlT_T0_E_clISt17integral_constantIbLb1EESW_IbLb0EEEEDaSS_ST_EUlSS_E_NS1_11comp_targetILNS1_3genE5ELNS1_11target_archE942ELNS1_3gpuE9ELNS1_3repE0EEENS1_30default_config_static_selectorELNS0_4arch9wavefront6targetE0EEEvT1_,"axG",@progbits,_ZN7rocprim17ROCPRIM_400000_NS6detail17trampoline_kernelINS0_14default_configENS1_27scan_by_key_config_selectorIiiEEZZNS1_16scan_by_key_implILNS1_25lookback_scan_determinismE0ELb0ES3_PKiN6hipcub16HIPCUB_304000_NS21ConstantInputIteratorIilEEPiiNSB_3SumENSB_8EqualityEiEE10hipError_tPvRmT2_T3_T4_T5_mT6_T7_P12ihipStream_tbENKUlT_T0_E_clISt17integral_constantIbLb1EESW_IbLb0EEEEDaSS_ST_EUlSS_E_NS1_11comp_targetILNS1_3genE5ELNS1_11target_archE942ELNS1_3gpuE9ELNS1_3repE0EEENS1_30default_config_static_selectorELNS0_4arch9wavefront6targetE0EEEvT1_,comdat
	.protected	_ZN7rocprim17ROCPRIM_400000_NS6detail17trampoline_kernelINS0_14default_configENS1_27scan_by_key_config_selectorIiiEEZZNS1_16scan_by_key_implILNS1_25lookback_scan_determinismE0ELb0ES3_PKiN6hipcub16HIPCUB_304000_NS21ConstantInputIteratorIilEEPiiNSB_3SumENSB_8EqualityEiEE10hipError_tPvRmT2_T3_T4_T5_mT6_T7_P12ihipStream_tbENKUlT_T0_E_clISt17integral_constantIbLb1EESW_IbLb0EEEEDaSS_ST_EUlSS_E_NS1_11comp_targetILNS1_3genE5ELNS1_11target_archE942ELNS1_3gpuE9ELNS1_3repE0EEENS1_30default_config_static_selectorELNS0_4arch9wavefront6targetE0EEEvT1_ ; -- Begin function _ZN7rocprim17ROCPRIM_400000_NS6detail17trampoline_kernelINS0_14default_configENS1_27scan_by_key_config_selectorIiiEEZZNS1_16scan_by_key_implILNS1_25lookback_scan_determinismE0ELb0ES3_PKiN6hipcub16HIPCUB_304000_NS21ConstantInputIteratorIilEEPiiNSB_3SumENSB_8EqualityEiEE10hipError_tPvRmT2_T3_T4_T5_mT6_T7_P12ihipStream_tbENKUlT_T0_E_clISt17integral_constantIbLb1EESW_IbLb0EEEEDaSS_ST_EUlSS_E_NS1_11comp_targetILNS1_3genE5ELNS1_11target_archE942ELNS1_3gpuE9ELNS1_3repE0EEENS1_30default_config_static_selectorELNS0_4arch9wavefront6targetE0EEEvT1_
	.globl	_ZN7rocprim17ROCPRIM_400000_NS6detail17trampoline_kernelINS0_14default_configENS1_27scan_by_key_config_selectorIiiEEZZNS1_16scan_by_key_implILNS1_25lookback_scan_determinismE0ELb0ES3_PKiN6hipcub16HIPCUB_304000_NS21ConstantInputIteratorIilEEPiiNSB_3SumENSB_8EqualityEiEE10hipError_tPvRmT2_T3_T4_T5_mT6_T7_P12ihipStream_tbENKUlT_T0_E_clISt17integral_constantIbLb1EESW_IbLb0EEEEDaSS_ST_EUlSS_E_NS1_11comp_targetILNS1_3genE5ELNS1_11target_archE942ELNS1_3gpuE9ELNS1_3repE0EEENS1_30default_config_static_selectorELNS0_4arch9wavefront6targetE0EEEvT1_
	.p2align	8
	.type	_ZN7rocprim17ROCPRIM_400000_NS6detail17trampoline_kernelINS0_14default_configENS1_27scan_by_key_config_selectorIiiEEZZNS1_16scan_by_key_implILNS1_25lookback_scan_determinismE0ELb0ES3_PKiN6hipcub16HIPCUB_304000_NS21ConstantInputIteratorIilEEPiiNSB_3SumENSB_8EqualityEiEE10hipError_tPvRmT2_T3_T4_T5_mT6_T7_P12ihipStream_tbENKUlT_T0_E_clISt17integral_constantIbLb1EESW_IbLb0EEEEDaSS_ST_EUlSS_E_NS1_11comp_targetILNS1_3genE5ELNS1_11target_archE942ELNS1_3gpuE9ELNS1_3repE0EEENS1_30default_config_static_selectorELNS0_4arch9wavefront6targetE0EEEvT1_,@function
_ZN7rocprim17ROCPRIM_400000_NS6detail17trampoline_kernelINS0_14default_configENS1_27scan_by_key_config_selectorIiiEEZZNS1_16scan_by_key_implILNS1_25lookback_scan_determinismE0ELb0ES3_PKiN6hipcub16HIPCUB_304000_NS21ConstantInputIteratorIilEEPiiNSB_3SumENSB_8EqualityEiEE10hipError_tPvRmT2_T3_T4_T5_mT6_T7_P12ihipStream_tbENKUlT_T0_E_clISt17integral_constantIbLb1EESW_IbLb0EEEEDaSS_ST_EUlSS_E_NS1_11comp_targetILNS1_3genE5ELNS1_11target_archE942ELNS1_3gpuE9ELNS1_3repE0EEENS1_30default_config_static_selectorELNS0_4arch9wavefront6targetE0EEEvT1_: ; @_ZN7rocprim17ROCPRIM_400000_NS6detail17trampoline_kernelINS0_14default_configENS1_27scan_by_key_config_selectorIiiEEZZNS1_16scan_by_key_implILNS1_25lookback_scan_determinismE0ELb0ES3_PKiN6hipcub16HIPCUB_304000_NS21ConstantInputIteratorIilEEPiiNSB_3SumENSB_8EqualityEiEE10hipError_tPvRmT2_T3_T4_T5_mT6_T7_P12ihipStream_tbENKUlT_T0_E_clISt17integral_constantIbLb1EESW_IbLb0EEEEDaSS_ST_EUlSS_E_NS1_11comp_targetILNS1_3genE5ELNS1_11target_archE942ELNS1_3gpuE9ELNS1_3repE0EEENS1_30default_config_static_selectorELNS0_4arch9wavefront6targetE0EEEvT1_
; %bb.0:
	.section	.rodata,"a",@progbits
	.p2align	6, 0x0
	.amdhsa_kernel _ZN7rocprim17ROCPRIM_400000_NS6detail17trampoline_kernelINS0_14default_configENS1_27scan_by_key_config_selectorIiiEEZZNS1_16scan_by_key_implILNS1_25lookback_scan_determinismE0ELb0ES3_PKiN6hipcub16HIPCUB_304000_NS21ConstantInputIteratorIilEEPiiNSB_3SumENSB_8EqualityEiEE10hipError_tPvRmT2_T3_T4_T5_mT6_T7_P12ihipStream_tbENKUlT_T0_E_clISt17integral_constantIbLb1EESW_IbLb0EEEEDaSS_ST_EUlSS_E_NS1_11comp_targetILNS1_3genE5ELNS1_11target_archE942ELNS1_3gpuE9ELNS1_3repE0EEENS1_30default_config_static_selectorELNS0_4arch9wavefront6targetE0EEEvT1_
		.amdhsa_group_segment_fixed_size 0
		.amdhsa_private_segment_fixed_size 0
		.amdhsa_kernarg_size 120
		.amdhsa_user_sgpr_count 6
		.amdhsa_user_sgpr_private_segment_buffer 1
		.amdhsa_user_sgpr_dispatch_ptr 0
		.amdhsa_user_sgpr_queue_ptr 0
		.amdhsa_user_sgpr_kernarg_segment_ptr 1
		.amdhsa_user_sgpr_dispatch_id 0
		.amdhsa_user_sgpr_flat_scratch_init 0
		.amdhsa_user_sgpr_private_segment_size 0
		.amdhsa_wavefront_size32 1
		.amdhsa_uses_dynamic_stack 0
		.amdhsa_system_sgpr_private_segment_wavefront_offset 0
		.amdhsa_system_sgpr_workgroup_id_x 1
		.amdhsa_system_sgpr_workgroup_id_y 0
		.amdhsa_system_sgpr_workgroup_id_z 0
		.amdhsa_system_sgpr_workgroup_info 0
		.amdhsa_system_vgpr_workitem_id 0
		.amdhsa_next_free_vgpr 1
		.amdhsa_next_free_sgpr 1
		.amdhsa_reserve_vcc 0
		.amdhsa_reserve_flat_scratch 0
		.amdhsa_float_round_mode_32 0
		.amdhsa_float_round_mode_16_64 0
		.amdhsa_float_denorm_mode_32 3
		.amdhsa_float_denorm_mode_16_64 3
		.amdhsa_dx10_clamp 1
		.amdhsa_ieee_mode 1
		.amdhsa_fp16_overflow 0
		.amdhsa_workgroup_processor_mode 1
		.amdhsa_memory_ordered 1
		.amdhsa_forward_progress 1
		.amdhsa_shared_vgpr_count 0
		.amdhsa_exception_fp_ieee_invalid_op 0
		.amdhsa_exception_fp_denorm_src 0
		.amdhsa_exception_fp_ieee_div_zero 0
		.amdhsa_exception_fp_ieee_overflow 0
		.amdhsa_exception_fp_ieee_underflow 0
		.amdhsa_exception_fp_ieee_inexact 0
		.amdhsa_exception_int_div_zero 0
	.end_amdhsa_kernel
	.section	.text._ZN7rocprim17ROCPRIM_400000_NS6detail17trampoline_kernelINS0_14default_configENS1_27scan_by_key_config_selectorIiiEEZZNS1_16scan_by_key_implILNS1_25lookback_scan_determinismE0ELb0ES3_PKiN6hipcub16HIPCUB_304000_NS21ConstantInputIteratorIilEEPiiNSB_3SumENSB_8EqualityEiEE10hipError_tPvRmT2_T3_T4_T5_mT6_T7_P12ihipStream_tbENKUlT_T0_E_clISt17integral_constantIbLb1EESW_IbLb0EEEEDaSS_ST_EUlSS_E_NS1_11comp_targetILNS1_3genE5ELNS1_11target_archE942ELNS1_3gpuE9ELNS1_3repE0EEENS1_30default_config_static_selectorELNS0_4arch9wavefront6targetE0EEEvT1_,"axG",@progbits,_ZN7rocprim17ROCPRIM_400000_NS6detail17trampoline_kernelINS0_14default_configENS1_27scan_by_key_config_selectorIiiEEZZNS1_16scan_by_key_implILNS1_25lookback_scan_determinismE0ELb0ES3_PKiN6hipcub16HIPCUB_304000_NS21ConstantInputIteratorIilEEPiiNSB_3SumENSB_8EqualityEiEE10hipError_tPvRmT2_T3_T4_T5_mT6_T7_P12ihipStream_tbENKUlT_T0_E_clISt17integral_constantIbLb1EESW_IbLb0EEEEDaSS_ST_EUlSS_E_NS1_11comp_targetILNS1_3genE5ELNS1_11target_archE942ELNS1_3gpuE9ELNS1_3repE0EEENS1_30default_config_static_selectorELNS0_4arch9wavefront6targetE0EEEvT1_,comdat
.Lfunc_end34:
	.size	_ZN7rocprim17ROCPRIM_400000_NS6detail17trampoline_kernelINS0_14default_configENS1_27scan_by_key_config_selectorIiiEEZZNS1_16scan_by_key_implILNS1_25lookback_scan_determinismE0ELb0ES3_PKiN6hipcub16HIPCUB_304000_NS21ConstantInputIteratorIilEEPiiNSB_3SumENSB_8EqualityEiEE10hipError_tPvRmT2_T3_T4_T5_mT6_T7_P12ihipStream_tbENKUlT_T0_E_clISt17integral_constantIbLb1EESW_IbLb0EEEEDaSS_ST_EUlSS_E_NS1_11comp_targetILNS1_3genE5ELNS1_11target_archE942ELNS1_3gpuE9ELNS1_3repE0EEENS1_30default_config_static_selectorELNS0_4arch9wavefront6targetE0EEEvT1_, .Lfunc_end34-_ZN7rocprim17ROCPRIM_400000_NS6detail17trampoline_kernelINS0_14default_configENS1_27scan_by_key_config_selectorIiiEEZZNS1_16scan_by_key_implILNS1_25lookback_scan_determinismE0ELb0ES3_PKiN6hipcub16HIPCUB_304000_NS21ConstantInputIteratorIilEEPiiNSB_3SumENSB_8EqualityEiEE10hipError_tPvRmT2_T3_T4_T5_mT6_T7_P12ihipStream_tbENKUlT_T0_E_clISt17integral_constantIbLb1EESW_IbLb0EEEEDaSS_ST_EUlSS_E_NS1_11comp_targetILNS1_3genE5ELNS1_11target_archE942ELNS1_3gpuE9ELNS1_3repE0EEENS1_30default_config_static_selectorELNS0_4arch9wavefront6targetE0EEEvT1_
                                        ; -- End function
	.set _ZN7rocprim17ROCPRIM_400000_NS6detail17trampoline_kernelINS0_14default_configENS1_27scan_by_key_config_selectorIiiEEZZNS1_16scan_by_key_implILNS1_25lookback_scan_determinismE0ELb0ES3_PKiN6hipcub16HIPCUB_304000_NS21ConstantInputIteratorIilEEPiiNSB_3SumENSB_8EqualityEiEE10hipError_tPvRmT2_T3_T4_T5_mT6_T7_P12ihipStream_tbENKUlT_T0_E_clISt17integral_constantIbLb1EESW_IbLb0EEEEDaSS_ST_EUlSS_E_NS1_11comp_targetILNS1_3genE5ELNS1_11target_archE942ELNS1_3gpuE9ELNS1_3repE0EEENS1_30default_config_static_selectorELNS0_4arch9wavefront6targetE0EEEvT1_.num_vgpr, 0
	.set _ZN7rocprim17ROCPRIM_400000_NS6detail17trampoline_kernelINS0_14default_configENS1_27scan_by_key_config_selectorIiiEEZZNS1_16scan_by_key_implILNS1_25lookback_scan_determinismE0ELb0ES3_PKiN6hipcub16HIPCUB_304000_NS21ConstantInputIteratorIilEEPiiNSB_3SumENSB_8EqualityEiEE10hipError_tPvRmT2_T3_T4_T5_mT6_T7_P12ihipStream_tbENKUlT_T0_E_clISt17integral_constantIbLb1EESW_IbLb0EEEEDaSS_ST_EUlSS_E_NS1_11comp_targetILNS1_3genE5ELNS1_11target_archE942ELNS1_3gpuE9ELNS1_3repE0EEENS1_30default_config_static_selectorELNS0_4arch9wavefront6targetE0EEEvT1_.num_agpr, 0
	.set _ZN7rocprim17ROCPRIM_400000_NS6detail17trampoline_kernelINS0_14default_configENS1_27scan_by_key_config_selectorIiiEEZZNS1_16scan_by_key_implILNS1_25lookback_scan_determinismE0ELb0ES3_PKiN6hipcub16HIPCUB_304000_NS21ConstantInputIteratorIilEEPiiNSB_3SumENSB_8EqualityEiEE10hipError_tPvRmT2_T3_T4_T5_mT6_T7_P12ihipStream_tbENKUlT_T0_E_clISt17integral_constantIbLb1EESW_IbLb0EEEEDaSS_ST_EUlSS_E_NS1_11comp_targetILNS1_3genE5ELNS1_11target_archE942ELNS1_3gpuE9ELNS1_3repE0EEENS1_30default_config_static_selectorELNS0_4arch9wavefront6targetE0EEEvT1_.numbered_sgpr, 0
	.set _ZN7rocprim17ROCPRIM_400000_NS6detail17trampoline_kernelINS0_14default_configENS1_27scan_by_key_config_selectorIiiEEZZNS1_16scan_by_key_implILNS1_25lookback_scan_determinismE0ELb0ES3_PKiN6hipcub16HIPCUB_304000_NS21ConstantInputIteratorIilEEPiiNSB_3SumENSB_8EqualityEiEE10hipError_tPvRmT2_T3_T4_T5_mT6_T7_P12ihipStream_tbENKUlT_T0_E_clISt17integral_constantIbLb1EESW_IbLb0EEEEDaSS_ST_EUlSS_E_NS1_11comp_targetILNS1_3genE5ELNS1_11target_archE942ELNS1_3gpuE9ELNS1_3repE0EEENS1_30default_config_static_selectorELNS0_4arch9wavefront6targetE0EEEvT1_.num_named_barrier, 0
	.set _ZN7rocprim17ROCPRIM_400000_NS6detail17trampoline_kernelINS0_14default_configENS1_27scan_by_key_config_selectorIiiEEZZNS1_16scan_by_key_implILNS1_25lookback_scan_determinismE0ELb0ES3_PKiN6hipcub16HIPCUB_304000_NS21ConstantInputIteratorIilEEPiiNSB_3SumENSB_8EqualityEiEE10hipError_tPvRmT2_T3_T4_T5_mT6_T7_P12ihipStream_tbENKUlT_T0_E_clISt17integral_constantIbLb1EESW_IbLb0EEEEDaSS_ST_EUlSS_E_NS1_11comp_targetILNS1_3genE5ELNS1_11target_archE942ELNS1_3gpuE9ELNS1_3repE0EEENS1_30default_config_static_selectorELNS0_4arch9wavefront6targetE0EEEvT1_.private_seg_size, 0
	.set _ZN7rocprim17ROCPRIM_400000_NS6detail17trampoline_kernelINS0_14default_configENS1_27scan_by_key_config_selectorIiiEEZZNS1_16scan_by_key_implILNS1_25lookback_scan_determinismE0ELb0ES3_PKiN6hipcub16HIPCUB_304000_NS21ConstantInputIteratorIilEEPiiNSB_3SumENSB_8EqualityEiEE10hipError_tPvRmT2_T3_T4_T5_mT6_T7_P12ihipStream_tbENKUlT_T0_E_clISt17integral_constantIbLb1EESW_IbLb0EEEEDaSS_ST_EUlSS_E_NS1_11comp_targetILNS1_3genE5ELNS1_11target_archE942ELNS1_3gpuE9ELNS1_3repE0EEENS1_30default_config_static_selectorELNS0_4arch9wavefront6targetE0EEEvT1_.uses_vcc, 0
	.set _ZN7rocprim17ROCPRIM_400000_NS6detail17trampoline_kernelINS0_14default_configENS1_27scan_by_key_config_selectorIiiEEZZNS1_16scan_by_key_implILNS1_25lookback_scan_determinismE0ELb0ES3_PKiN6hipcub16HIPCUB_304000_NS21ConstantInputIteratorIilEEPiiNSB_3SumENSB_8EqualityEiEE10hipError_tPvRmT2_T3_T4_T5_mT6_T7_P12ihipStream_tbENKUlT_T0_E_clISt17integral_constantIbLb1EESW_IbLb0EEEEDaSS_ST_EUlSS_E_NS1_11comp_targetILNS1_3genE5ELNS1_11target_archE942ELNS1_3gpuE9ELNS1_3repE0EEENS1_30default_config_static_selectorELNS0_4arch9wavefront6targetE0EEEvT1_.uses_flat_scratch, 0
	.set _ZN7rocprim17ROCPRIM_400000_NS6detail17trampoline_kernelINS0_14default_configENS1_27scan_by_key_config_selectorIiiEEZZNS1_16scan_by_key_implILNS1_25lookback_scan_determinismE0ELb0ES3_PKiN6hipcub16HIPCUB_304000_NS21ConstantInputIteratorIilEEPiiNSB_3SumENSB_8EqualityEiEE10hipError_tPvRmT2_T3_T4_T5_mT6_T7_P12ihipStream_tbENKUlT_T0_E_clISt17integral_constantIbLb1EESW_IbLb0EEEEDaSS_ST_EUlSS_E_NS1_11comp_targetILNS1_3genE5ELNS1_11target_archE942ELNS1_3gpuE9ELNS1_3repE0EEENS1_30default_config_static_selectorELNS0_4arch9wavefront6targetE0EEEvT1_.has_dyn_sized_stack, 0
	.set _ZN7rocprim17ROCPRIM_400000_NS6detail17trampoline_kernelINS0_14default_configENS1_27scan_by_key_config_selectorIiiEEZZNS1_16scan_by_key_implILNS1_25lookback_scan_determinismE0ELb0ES3_PKiN6hipcub16HIPCUB_304000_NS21ConstantInputIteratorIilEEPiiNSB_3SumENSB_8EqualityEiEE10hipError_tPvRmT2_T3_T4_T5_mT6_T7_P12ihipStream_tbENKUlT_T0_E_clISt17integral_constantIbLb1EESW_IbLb0EEEEDaSS_ST_EUlSS_E_NS1_11comp_targetILNS1_3genE5ELNS1_11target_archE942ELNS1_3gpuE9ELNS1_3repE0EEENS1_30default_config_static_selectorELNS0_4arch9wavefront6targetE0EEEvT1_.has_recursion, 0
	.set _ZN7rocprim17ROCPRIM_400000_NS6detail17trampoline_kernelINS0_14default_configENS1_27scan_by_key_config_selectorIiiEEZZNS1_16scan_by_key_implILNS1_25lookback_scan_determinismE0ELb0ES3_PKiN6hipcub16HIPCUB_304000_NS21ConstantInputIteratorIilEEPiiNSB_3SumENSB_8EqualityEiEE10hipError_tPvRmT2_T3_T4_T5_mT6_T7_P12ihipStream_tbENKUlT_T0_E_clISt17integral_constantIbLb1EESW_IbLb0EEEEDaSS_ST_EUlSS_E_NS1_11comp_targetILNS1_3genE5ELNS1_11target_archE942ELNS1_3gpuE9ELNS1_3repE0EEENS1_30default_config_static_selectorELNS0_4arch9wavefront6targetE0EEEvT1_.has_indirect_call, 0
	.section	.AMDGPU.csdata,"",@progbits
; Kernel info:
; codeLenInByte = 0
; TotalNumSgprs: 0
; NumVgprs: 0
; ScratchSize: 0
; MemoryBound: 0
; FloatMode: 240
; IeeeMode: 1
; LDSByteSize: 0 bytes/workgroup (compile time only)
; SGPRBlocks: 0
; VGPRBlocks: 0
; NumSGPRsForWavesPerEU: 1
; NumVGPRsForWavesPerEU: 1
; Occupancy: 16
; WaveLimiterHint : 0
; COMPUTE_PGM_RSRC2:SCRATCH_EN: 0
; COMPUTE_PGM_RSRC2:USER_SGPR: 6
; COMPUTE_PGM_RSRC2:TRAP_HANDLER: 0
; COMPUTE_PGM_RSRC2:TGID_X_EN: 1
; COMPUTE_PGM_RSRC2:TGID_Y_EN: 0
; COMPUTE_PGM_RSRC2:TGID_Z_EN: 0
; COMPUTE_PGM_RSRC2:TIDIG_COMP_CNT: 0
	.section	.text._ZN7rocprim17ROCPRIM_400000_NS6detail17trampoline_kernelINS0_14default_configENS1_27scan_by_key_config_selectorIiiEEZZNS1_16scan_by_key_implILNS1_25lookback_scan_determinismE0ELb0ES3_PKiN6hipcub16HIPCUB_304000_NS21ConstantInputIteratorIilEEPiiNSB_3SumENSB_8EqualityEiEE10hipError_tPvRmT2_T3_T4_T5_mT6_T7_P12ihipStream_tbENKUlT_T0_E_clISt17integral_constantIbLb1EESW_IbLb0EEEEDaSS_ST_EUlSS_E_NS1_11comp_targetILNS1_3genE4ELNS1_11target_archE910ELNS1_3gpuE8ELNS1_3repE0EEENS1_30default_config_static_selectorELNS0_4arch9wavefront6targetE0EEEvT1_,"axG",@progbits,_ZN7rocprim17ROCPRIM_400000_NS6detail17trampoline_kernelINS0_14default_configENS1_27scan_by_key_config_selectorIiiEEZZNS1_16scan_by_key_implILNS1_25lookback_scan_determinismE0ELb0ES3_PKiN6hipcub16HIPCUB_304000_NS21ConstantInputIteratorIilEEPiiNSB_3SumENSB_8EqualityEiEE10hipError_tPvRmT2_T3_T4_T5_mT6_T7_P12ihipStream_tbENKUlT_T0_E_clISt17integral_constantIbLb1EESW_IbLb0EEEEDaSS_ST_EUlSS_E_NS1_11comp_targetILNS1_3genE4ELNS1_11target_archE910ELNS1_3gpuE8ELNS1_3repE0EEENS1_30default_config_static_selectorELNS0_4arch9wavefront6targetE0EEEvT1_,comdat
	.protected	_ZN7rocprim17ROCPRIM_400000_NS6detail17trampoline_kernelINS0_14default_configENS1_27scan_by_key_config_selectorIiiEEZZNS1_16scan_by_key_implILNS1_25lookback_scan_determinismE0ELb0ES3_PKiN6hipcub16HIPCUB_304000_NS21ConstantInputIteratorIilEEPiiNSB_3SumENSB_8EqualityEiEE10hipError_tPvRmT2_T3_T4_T5_mT6_T7_P12ihipStream_tbENKUlT_T0_E_clISt17integral_constantIbLb1EESW_IbLb0EEEEDaSS_ST_EUlSS_E_NS1_11comp_targetILNS1_3genE4ELNS1_11target_archE910ELNS1_3gpuE8ELNS1_3repE0EEENS1_30default_config_static_selectorELNS0_4arch9wavefront6targetE0EEEvT1_ ; -- Begin function _ZN7rocprim17ROCPRIM_400000_NS6detail17trampoline_kernelINS0_14default_configENS1_27scan_by_key_config_selectorIiiEEZZNS1_16scan_by_key_implILNS1_25lookback_scan_determinismE0ELb0ES3_PKiN6hipcub16HIPCUB_304000_NS21ConstantInputIteratorIilEEPiiNSB_3SumENSB_8EqualityEiEE10hipError_tPvRmT2_T3_T4_T5_mT6_T7_P12ihipStream_tbENKUlT_T0_E_clISt17integral_constantIbLb1EESW_IbLb0EEEEDaSS_ST_EUlSS_E_NS1_11comp_targetILNS1_3genE4ELNS1_11target_archE910ELNS1_3gpuE8ELNS1_3repE0EEENS1_30default_config_static_selectorELNS0_4arch9wavefront6targetE0EEEvT1_
	.globl	_ZN7rocprim17ROCPRIM_400000_NS6detail17trampoline_kernelINS0_14default_configENS1_27scan_by_key_config_selectorIiiEEZZNS1_16scan_by_key_implILNS1_25lookback_scan_determinismE0ELb0ES3_PKiN6hipcub16HIPCUB_304000_NS21ConstantInputIteratorIilEEPiiNSB_3SumENSB_8EqualityEiEE10hipError_tPvRmT2_T3_T4_T5_mT6_T7_P12ihipStream_tbENKUlT_T0_E_clISt17integral_constantIbLb1EESW_IbLb0EEEEDaSS_ST_EUlSS_E_NS1_11comp_targetILNS1_3genE4ELNS1_11target_archE910ELNS1_3gpuE8ELNS1_3repE0EEENS1_30default_config_static_selectorELNS0_4arch9wavefront6targetE0EEEvT1_
	.p2align	8
	.type	_ZN7rocprim17ROCPRIM_400000_NS6detail17trampoline_kernelINS0_14default_configENS1_27scan_by_key_config_selectorIiiEEZZNS1_16scan_by_key_implILNS1_25lookback_scan_determinismE0ELb0ES3_PKiN6hipcub16HIPCUB_304000_NS21ConstantInputIteratorIilEEPiiNSB_3SumENSB_8EqualityEiEE10hipError_tPvRmT2_T3_T4_T5_mT6_T7_P12ihipStream_tbENKUlT_T0_E_clISt17integral_constantIbLb1EESW_IbLb0EEEEDaSS_ST_EUlSS_E_NS1_11comp_targetILNS1_3genE4ELNS1_11target_archE910ELNS1_3gpuE8ELNS1_3repE0EEENS1_30default_config_static_selectorELNS0_4arch9wavefront6targetE0EEEvT1_,@function
_ZN7rocprim17ROCPRIM_400000_NS6detail17trampoline_kernelINS0_14default_configENS1_27scan_by_key_config_selectorIiiEEZZNS1_16scan_by_key_implILNS1_25lookback_scan_determinismE0ELb0ES3_PKiN6hipcub16HIPCUB_304000_NS21ConstantInputIteratorIilEEPiiNSB_3SumENSB_8EqualityEiEE10hipError_tPvRmT2_T3_T4_T5_mT6_T7_P12ihipStream_tbENKUlT_T0_E_clISt17integral_constantIbLb1EESW_IbLb0EEEEDaSS_ST_EUlSS_E_NS1_11comp_targetILNS1_3genE4ELNS1_11target_archE910ELNS1_3gpuE8ELNS1_3repE0EEENS1_30default_config_static_selectorELNS0_4arch9wavefront6targetE0EEEvT1_: ; @_ZN7rocprim17ROCPRIM_400000_NS6detail17trampoline_kernelINS0_14default_configENS1_27scan_by_key_config_selectorIiiEEZZNS1_16scan_by_key_implILNS1_25lookback_scan_determinismE0ELb0ES3_PKiN6hipcub16HIPCUB_304000_NS21ConstantInputIteratorIilEEPiiNSB_3SumENSB_8EqualityEiEE10hipError_tPvRmT2_T3_T4_T5_mT6_T7_P12ihipStream_tbENKUlT_T0_E_clISt17integral_constantIbLb1EESW_IbLb0EEEEDaSS_ST_EUlSS_E_NS1_11comp_targetILNS1_3genE4ELNS1_11target_archE910ELNS1_3gpuE8ELNS1_3repE0EEENS1_30default_config_static_selectorELNS0_4arch9wavefront6targetE0EEEvT1_
; %bb.0:
	.section	.rodata,"a",@progbits
	.p2align	6, 0x0
	.amdhsa_kernel _ZN7rocprim17ROCPRIM_400000_NS6detail17trampoline_kernelINS0_14default_configENS1_27scan_by_key_config_selectorIiiEEZZNS1_16scan_by_key_implILNS1_25lookback_scan_determinismE0ELb0ES3_PKiN6hipcub16HIPCUB_304000_NS21ConstantInputIteratorIilEEPiiNSB_3SumENSB_8EqualityEiEE10hipError_tPvRmT2_T3_T4_T5_mT6_T7_P12ihipStream_tbENKUlT_T0_E_clISt17integral_constantIbLb1EESW_IbLb0EEEEDaSS_ST_EUlSS_E_NS1_11comp_targetILNS1_3genE4ELNS1_11target_archE910ELNS1_3gpuE8ELNS1_3repE0EEENS1_30default_config_static_selectorELNS0_4arch9wavefront6targetE0EEEvT1_
		.amdhsa_group_segment_fixed_size 0
		.amdhsa_private_segment_fixed_size 0
		.amdhsa_kernarg_size 120
		.amdhsa_user_sgpr_count 6
		.amdhsa_user_sgpr_private_segment_buffer 1
		.amdhsa_user_sgpr_dispatch_ptr 0
		.amdhsa_user_sgpr_queue_ptr 0
		.amdhsa_user_sgpr_kernarg_segment_ptr 1
		.amdhsa_user_sgpr_dispatch_id 0
		.amdhsa_user_sgpr_flat_scratch_init 0
		.amdhsa_user_sgpr_private_segment_size 0
		.amdhsa_wavefront_size32 1
		.amdhsa_uses_dynamic_stack 0
		.amdhsa_system_sgpr_private_segment_wavefront_offset 0
		.amdhsa_system_sgpr_workgroup_id_x 1
		.amdhsa_system_sgpr_workgroup_id_y 0
		.amdhsa_system_sgpr_workgroup_id_z 0
		.amdhsa_system_sgpr_workgroup_info 0
		.amdhsa_system_vgpr_workitem_id 0
		.amdhsa_next_free_vgpr 1
		.amdhsa_next_free_sgpr 1
		.amdhsa_reserve_vcc 0
		.amdhsa_reserve_flat_scratch 0
		.amdhsa_float_round_mode_32 0
		.amdhsa_float_round_mode_16_64 0
		.amdhsa_float_denorm_mode_32 3
		.amdhsa_float_denorm_mode_16_64 3
		.amdhsa_dx10_clamp 1
		.amdhsa_ieee_mode 1
		.amdhsa_fp16_overflow 0
		.amdhsa_workgroup_processor_mode 1
		.amdhsa_memory_ordered 1
		.amdhsa_forward_progress 1
		.amdhsa_shared_vgpr_count 0
		.amdhsa_exception_fp_ieee_invalid_op 0
		.amdhsa_exception_fp_denorm_src 0
		.amdhsa_exception_fp_ieee_div_zero 0
		.amdhsa_exception_fp_ieee_overflow 0
		.amdhsa_exception_fp_ieee_underflow 0
		.amdhsa_exception_fp_ieee_inexact 0
		.amdhsa_exception_int_div_zero 0
	.end_amdhsa_kernel
	.section	.text._ZN7rocprim17ROCPRIM_400000_NS6detail17trampoline_kernelINS0_14default_configENS1_27scan_by_key_config_selectorIiiEEZZNS1_16scan_by_key_implILNS1_25lookback_scan_determinismE0ELb0ES3_PKiN6hipcub16HIPCUB_304000_NS21ConstantInputIteratorIilEEPiiNSB_3SumENSB_8EqualityEiEE10hipError_tPvRmT2_T3_T4_T5_mT6_T7_P12ihipStream_tbENKUlT_T0_E_clISt17integral_constantIbLb1EESW_IbLb0EEEEDaSS_ST_EUlSS_E_NS1_11comp_targetILNS1_3genE4ELNS1_11target_archE910ELNS1_3gpuE8ELNS1_3repE0EEENS1_30default_config_static_selectorELNS0_4arch9wavefront6targetE0EEEvT1_,"axG",@progbits,_ZN7rocprim17ROCPRIM_400000_NS6detail17trampoline_kernelINS0_14default_configENS1_27scan_by_key_config_selectorIiiEEZZNS1_16scan_by_key_implILNS1_25lookback_scan_determinismE0ELb0ES3_PKiN6hipcub16HIPCUB_304000_NS21ConstantInputIteratorIilEEPiiNSB_3SumENSB_8EqualityEiEE10hipError_tPvRmT2_T3_T4_T5_mT6_T7_P12ihipStream_tbENKUlT_T0_E_clISt17integral_constantIbLb1EESW_IbLb0EEEEDaSS_ST_EUlSS_E_NS1_11comp_targetILNS1_3genE4ELNS1_11target_archE910ELNS1_3gpuE8ELNS1_3repE0EEENS1_30default_config_static_selectorELNS0_4arch9wavefront6targetE0EEEvT1_,comdat
.Lfunc_end35:
	.size	_ZN7rocprim17ROCPRIM_400000_NS6detail17trampoline_kernelINS0_14default_configENS1_27scan_by_key_config_selectorIiiEEZZNS1_16scan_by_key_implILNS1_25lookback_scan_determinismE0ELb0ES3_PKiN6hipcub16HIPCUB_304000_NS21ConstantInputIteratorIilEEPiiNSB_3SumENSB_8EqualityEiEE10hipError_tPvRmT2_T3_T4_T5_mT6_T7_P12ihipStream_tbENKUlT_T0_E_clISt17integral_constantIbLb1EESW_IbLb0EEEEDaSS_ST_EUlSS_E_NS1_11comp_targetILNS1_3genE4ELNS1_11target_archE910ELNS1_3gpuE8ELNS1_3repE0EEENS1_30default_config_static_selectorELNS0_4arch9wavefront6targetE0EEEvT1_, .Lfunc_end35-_ZN7rocprim17ROCPRIM_400000_NS6detail17trampoline_kernelINS0_14default_configENS1_27scan_by_key_config_selectorIiiEEZZNS1_16scan_by_key_implILNS1_25lookback_scan_determinismE0ELb0ES3_PKiN6hipcub16HIPCUB_304000_NS21ConstantInputIteratorIilEEPiiNSB_3SumENSB_8EqualityEiEE10hipError_tPvRmT2_T3_T4_T5_mT6_T7_P12ihipStream_tbENKUlT_T0_E_clISt17integral_constantIbLb1EESW_IbLb0EEEEDaSS_ST_EUlSS_E_NS1_11comp_targetILNS1_3genE4ELNS1_11target_archE910ELNS1_3gpuE8ELNS1_3repE0EEENS1_30default_config_static_selectorELNS0_4arch9wavefront6targetE0EEEvT1_
                                        ; -- End function
	.set _ZN7rocprim17ROCPRIM_400000_NS6detail17trampoline_kernelINS0_14default_configENS1_27scan_by_key_config_selectorIiiEEZZNS1_16scan_by_key_implILNS1_25lookback_scan_determinismE0ELb0ES3_PKiN6hipcub16HIPCUB_304000_NS21ConstantInputIteratorIilEEPiiNSB_3SumENSB_8EqualityEiEE10hipError_tPvRmT2_T3_T4_T5_mT6_T7_P12ihipStream_tbENKUlT_T0_E_clISt17integral_constantIbLb1EESW_IbLb0EEEEDaSS_ST_EUlSS_E_NS1_11comp_targetILNS1_3genE4ELNS1_11target_archE910ELNS1_3gpuE8ELNS1_3repE0EEENS1_30default_config_static_selectorELNS0_4arch9wavefront6targetE0EEEvT1_.num_vgpr, 0
	.set _ZN7rocprim17ROCPRIM_400000_NS6detail17trampoline_kernelINS0_14default_configENS1_27scan_by_key_config_selectorIiiEEZZNS1_16scan_by_key_implILNS1_25lookback_scan_determinismE0ELb0ES3_PKiN6hipcub16HIPCUB_304000_NS21ConstantInputIteratorIilEEPiiNSB_3SumENSB_8EqualityEiEE10hipError_tPvRmT2_T3_T4_T5_mT6_T7_P12ihipStream_tbENKUlT_T0_E_clISt17integral_constantIbLb1EESW_IbLb0EEEEDaSS_ST_EUlSS_E_NS1_11comp_targetILNS1_3genE4ELNS1_11target_archE910ELNS1_3gpuE8ELNS1_3repE0EEENS1_30default_config_static_selectorELNS0_4arch9wavefront6targetE0EEEvT1_.num_agpr, 0
	.set _ZN7rocprim17ROCPRIM_400000_NS6detail17trampoline_kernelINS0_14default_configENS1_27scan_by_key_config_selectorIiiEEZZNS1_16scan_by_key_implILNS1_25lookback_scan_determinismE0ELb0ES3_PKiN6hipcub16HIPCUB_304000_NS21ConstantInputIteratorIilEEPiiNSB_3SumENSB_8EqualityEiEE10hipError_tPvRmT2_T3_T4_T5_mT6_T7_P12ihipStream_tbENKUlT_T0_E_clISt17integral_constantIbLb1EESW_IbLb0EEEEDaSS_ST_EUlSS_E_NS1_11comp_targetILNS1_3genE4ELNS1_11target_archE910ELNS1_3gpuE8ELNS1_3repE0EEENS1_30default_config_static_selectorELNS0_4arch9wavefront6targetE0EEEvT1_.numbered_sgpr, 0
	.set _ZN7rocprim17ROCPRIM_400000_NS6detail17trampoline_kernelINS0_14default_configENS1_27scan_by_key_config_selectorIiiEEZZNS1_16scan_by_key_implILNS1_25lookback_scan_determinismE0ELb0ES3_PKiN6hipcub16HIPCUB_304000_NS21ConstantInputIteratorIilEEPiiNSB_3SumENSB_8EqualityEiEE10hipError_tPvRmT2_T3_T4_T5_mT6_T7_P12ihipStream_tbENKUlT_T0_E_clISt17integral_constantIbLb1EESW_IbLb0EEEEDaSS_ST_EUlSS_E_NS1_11comp_targetILNS1_3genE4ELNS1_11target_archE910ELNS1_3gpuE8ELNS1_3repE0EEENS1_30default_config_static_selectorELNS0_4arch9wavefront6targetE0EEEvT1_.num_named_barrier, 0
	.set _ZN7rocprim17ROCPRIM_400000_NS6detail17trampoline_kernelINS0_14default_configENS1_27scan_by_key_config_selectorIiiEEZZNS1_16scan_by_key_implILNS1_25lookback_scan_determinismE0ELb0ES3_PKiN6hipcub16HIPCUB_304000_NS21ConstantInputIteratorIilEEPiiNSB_3SumENSB_8EqualityEiEE10hipError_tPvRmT2_T3_T4_T5_mT6_T7_P12ihipStream_tbENKUlT_T0_E_clISt17integral_constantIbLb1EESW_IbLb0EEEEDaSS_ST_EUlSS_E_NS1_11comp_targetILNS1_3genE4ELNS1_11target_archE910ELNS1_3gpuE8ELNS1_3repE0EEENS1_30default_config_static_selectorELNS0_4arch9wavefront6targetE0EEEvT1_.private_seg_size, 0
	.set _ZN7rocprim17ROCPRIM_400000_NS6detail17trampoline_kernelINS0_14default_configENS1_27scan_by_key_config_selectorIiiEEZZNS1_16scan_by_key_implILNS1_25lookback_scan_determinismE0ELb0ES3_PKiN6hipcub16HIPCUB_304000_NS21ConstantInputIteratorIilEEPiiNSB_3SumENSB_8EqualityEiEE10hipError_tPvRmT2_T3_T4_T5_mT6_T7_P12ihipStream_tbENKUlT_T0_E_clISt17integral_constantIbLb1EESW_IbLb0EEEEDaSS_ST_EUlSS_E_NS1_11comp_targetILNS1_3genE4ELNS1_11target_archE910ELNS1_3gpuE8ELNS1_3repE0EEENS1_30default_config_static_selectorELNS0_4arch9wavefront6targetE0EEEvT1_.uses_vcc, 0
	.set _ZN7rocprim17ROCPRIM_400000_NS6detail17trampoline_kernelINS0_14default_configENS1_27scan_by_key_config_selectorIiiEEZZNS1_16scan_by_key_implILNS1_25lookback_scan_determinismE0ELb0ES3_PKiN6hipcub16HIPCUB_304000_NS21ConstantInputIteratorIilEEPiiNSB_3SumENSB_8EqualityEiEE10hipError_tPvRmT2_T3_T4_T5_mT6_T7_P12ihipStream_tbENKUlT_T0_E_clISt17integral_constantIbLb1EESW_IbLb0EEEEDaSS_ST_EUlSS_E_NS1_11comp_targetILNS1_3genE4ELNS1_11target_archE910ELNS1_3gpuE8ELNS1_3repE0EEENS1_30default_config_static_selectorELNS0_4arch9wavefront6targetE0EEEvT1_.uses_flat_scratch, 0
	.set _ZN7rocprim17ROCPRIM_400000_NS6detail17trampoline_kernelINS0_14default_configENS1_27scan_by_key_config_selectorIiiEEZZNS1_16scan_by_key_implILNS1_25lookback_scan_determinismE0ELb0ES3_PKiN6hipcub16HIPCUB_304000_NS21ConstantInputIteratorIilEEPiiNSB_3SumENSB_8EqualityEiEE10hipError_tPvRmT2_T3_T4_T5_mT6_T7_P12ihipStream_tbENKUlT_T0_E_clISt17integral_constantIbLb1EESW_IbLb0EEEEDaSS_ST_EUlSS_E_NS1_11comp_targetILNS1_3genE4ELNS1_11target_archE910ELNS1_3gpuE8ELNS1_3repE0EEENS1_30default_config_static_selectorELNS0_4arch9wavefront6targetE0EEEvT1_.has_dyn_sized_stack, 0
	.set _ZN7rocprim17ROCPRIM_400000_NS6detail17trampoline_kernelINS0_14default_configENS1_27scan_by_key_config_selectorIiiEEZZNS1_16scan_by_key_implILNS1_25lookback_scan_determinismE0ELb0ES3_PKiN6hipcub16HIPCUB_304000_NS21ConstantInputIteratorIilEEPiiNSB_3SumENSB_8EqualityEiEE10hipError_tPvRmT2_T3_T4_T5_mT6_T7_P12ihipStream_tbENKUlT_T0_E_clISt17integral_constantIbLb1EESW_IbLb0EEEEDaSS_ST_EUlSS_E_NS1_11comp_targetILNS1_3genE4ELNS1_11target_archE910ELNS1_3gpuE8ELNS1_3repE0EEENS1_30default_config_static_selectorELNS0_4arch9wavefront6targetE0EEEvT1_.has_recursion, 0
	.set _ZN7rocprim17ROCPRIM_400000_NS6detail17trampoline_kernelINS0_14default_configENS1_27scan_by_key_config_selectorIiiEEZZNS1_16scan_by_key_implILNS1_25lookback_scan_determinismE0ELb0ES3_PKiN6hipcub16HIPCUB_304000_NS21ConstantInputIteratorIilEEPiiNSB_3SumENSB_8EqualityEiEE10hipError_tPvRmT2_T3_T4_T5_mT6_T7_P12ihipStream_tbENKUlT_T0_E_clISt17integral_constantIbLb1EESW_IbLb0EEEEDaSS_ST_EUlSS_E_NS1_11comp_targetILNS1_3genE4ELNS1_11target_archE910ELNS1_3gpuE8ELNS1_3repE0EEENS1_30default_config_static_selectorELNS0_4arch9wavefront6targetE0EEEvT1_.has_indirect_call, 0
	.section	.AMDGPU.csdata,"",@progbits
; Kernel info:
; codeLenInByte = 0
; TotalNumSgprs: 0
; NumVgprs: 0
; ScratchSize: 0
; MemoryBound: 0
; FloatMode: 240
; IeeeMode: 1
; LDSByteSize: 0 bytes/workgroup (compile time only)
; SGPRBlocks: 0
; VGPRBlocks: 0
; NumSGPRsForWavesPerEU: 1
; NumVGPRsForWavesPerEU: 1
; Occupancy: 16
; WaveLimiterHint : 0
; COMPUTE_PGM_RSRC2:SCRATCH_EN: 0
; COMPUTE_PGM_RSRC2:USER_SGPR: 6
; COMPUTE_PGM_RSRC2:TRAP_HANDLER: 0
; COMPUTE_PGM_RSRC2:TGID_X_EN: 1
; COMPUTE_PGM_RSRC2:TGID_Y_EN: 0
; COMPUTE_PGM_RSRC2:TGID_Z_EN: 0
; COMPUTE_PGM_RSRC2:TIDIG_COMP_CNT: 0
	.section	.text._ZN7rocprim17ROCPRIM_400000_NS6detail17trampoline_kernelINS0_14default_configENS1_27scan_by_key_config_selectorIiiEEZZNS1_16scan_by_key_implILNS1_25lookback_scan_determinismE0ELb0ES3_PKiN6hipcub16HIPCUB_304000_NS21ConstantInputIteratorIilEEPiiNSB_3SumENSB_8EqualityEiEE10hipError_tPvRmT2_T3_T4_T5_mT6_T7_P12ihipStream_tbENKUlT_T0_E_clISt17integral_constantIbLb1EESW_IbLb0EEEEDaSS_ST_EUlSS_E_NS1_11comp_targetILNS1_3genE3ELNS1_11target_archE908ELNS1_3gpuE7ELNS1_3repE0EEENS1_30default_config_static_selectorELNS0_4arch9wavefront6targetE0EEEvT1_,"axG",@progbits,_ZN7rocprim17ROCPRIM_400000_NS6detail17trampoline_kernelINS0_14default_configENS1_27scan_by_key_config_selectorIiiEEZZNS1_16scan_by_key_implILNS1_25lookback_scan_determinismE0ELb0ES3_PKiN6hipcub16HIPCUB_304000_NS21ConstantInputIteratorIilEEPiiNSB_3SumENSB_8EqualityEiEE10hipError_tPvRmT2_T3_T4_T5_mT6_T7_P12ihipStream_tbENKUlT_T0_E_clISt17integral_constantIbLb1EESW_IbLb0EEEEDaSS_ST_EUlSS_E_NS1_11comp_targetILNS1_3genE3ELNS1_11target_archE908ELNS1_3gpuE7ELNS1_3repE0EEENS1_30default_config_static_selectorELNS0_4arch9wavefront6targetE0EEEvT1_,comdat
	.protected	_ZN7rocprim17ROCPRIM_400000_NS6detail17trampoline_kernelINS0_14default_configENS1_27scan_by_key_config_selectorIiiEEZZNS1_16scan_by_key_implILNS1_25lookback_scan_determinismE0ELb0ES3_PKiN6hipcub16HIPCUB_304000_NS21ConstantInputIteratorIilEEPiiNSB_3SumENSB_8EqualityEiEE10hipError_tPvRmT2_T3_T4_T5_mT6_T7_P12ihipStream_tbENKUlT_T0_E_clISt17integral_constantIbLb1EESW_IbLb0EEEEDaSS_ST_EUlSS_E_NS1_11comp_targetILNS1_3genE3ELNS1_11target_archE908ELNS1_3gpuE7ELNS1_3repE0EEENS1_30default_config_static_selectorELNS0_4arch9wavefront6targetE0EEEvT1_ ; -- Begin function _ZN7rocprim17ROCPRIM_400000_NS6detail17trampoline_kernelINS0_14default_configENS1_27scan_by_key_config_selectorIiiEEZZNS1_16scan_by_key_implILNS1_25lookback_scan_determinismE0ELb0ES3_PKiN6hipcub16HIPCUB_304000_NS21ConstantInputIteratorIilEEPiiNSB_3SumENSB_8EqualityEiEE10hipError_tPvRmT2_T3_T4_T5_mT6_T7_P12ihipStream_tbENKUlT_T0_E_clISt17integral_constantIbLb1EESW_IbLb0EEEEDaSS_ST_EUlSS_E_NS1_11comp_targetILNS1_3genE3ELNS1_11target_archE908ELNS1_3gpuE7ELNS1_3repE0EEENS1_30default_config_static_selectorELNS0_4arch9wavefront6targetE0EEEvT1_
	.globl	_ZN7rocprim17ROCPRIM_400000_NS6detail17trampoline_kernelINS0_14default_configENS1_27scan_by_key_config_selectorIiiEEZZNS1_16scan_by_key_implILNS1_25lookback_scan_determinismE0ELb0ES3_PKiN6hipcub16HIPCUB_304000_NS21ConstantInputIteratorIilEEPiiNSB_3SumENSB_8EqualityEiEE10hipError_tPvRmT2_T3_T4_T5_mT6_T7_P12ihipStream_tbENKUlT_T0_E_clISt17integral_constantIbLb1EESW_IbLb0EEEEDaSS_ST_EUlSS_E_NS1_11comp_targetILNS1_3genE3ELNS1_11target_archE908ELNS1_3gpuE7ELNS1_3repE0EEENS1_30default_config_static_selectorELNS0_4arch9wavefront6targetE0EEEvT1_
	.p2align	8
	.type	_ZN7rocprim17ROCPRIM_400000_NS6detail17trampoline_kernelINS0_14default_configENS1_27scan_by_key_config_selectorIiiEEZZNS1_16scan_by_key_implILNS1_25lookback_scan_determinismE0ELb0ES3_PKiN6hipcub16HIPCUB_304000_NS21ConstantInputIteratorIilEEPiiNSB_3SumENSB_8EqualityEiEE10hipError_tPvRmT2_T3_T4_T5_mT6_T7_P12ihipStream_tbENKUlT_T0_E_clISt17integral_constantIbLb1EESW_IbLb0EEEEDaSS_ST_EUlSS_E_NS1_11comp_targetILNS1_3genE3ELNS1_11target_archE908ELNS1_3gpuE7ELNS1_3repE0EEENS1_30default_config_static_selectorELNS0_4arch9wavefront6targetE0EEEvT1_,@function
_ZN7rocprim17ROCPRIM_400000_NS6detail17trampoline_kernelINS0_14default_configENS1_27scan_by_key_config_selectorIiiEEZZNS1_16scan_by_key_implILNS1_25lookback_scan_determinismE0ELb0ES3_PKiN6hipcub16HIPCUB_304000_NS21ConstantInputIteratorIilEEPiiNSB_3SumENSB_8EqualityEiEE10hipError_tPvRmT2_T3_T4_T5_mT6_T7_P12ihipStream_tbENKUlT_T0_E_clISt17integral_constantIbLb1EESW_IbLb0EEEEDaSS_ST_EUlSS_E_NS1_11comp_targetILNS1_3genE3ELNS1_11target_archE908ELNS1_3gpuE7ELNS1_3repE0EEENS1_30default_config_static_selectorELNS0_4arch9wavefront6targetE0EEEvT1_: ; @_ZN7rocprim17ROCPRIM_400000_NS6detail17trampoline_kernelINS0_14default_configENS1_27scan_by_key_config_selectorIiiEEZZNS1_16scan_by_key_implILNS1_25lookback_scan_determinismE0ELb0ES3_PKiN6hipcub16HIPCUB_304000_NS21ConstantInputIteratorIilEEPiiNSB_3SumENSB_8EqualityEiEE10hipError_tPvRmT2_T3_T4_T5_mT6_T7_P12ihipStream_tbENKUlT_T0_E_clISt17integral_constantIbLb1EESW_IbLb0EEEEDaSS_ST_EUlSS_E_NS1_11comp_targetILNS1_3genE3ELNS1_11target_archE908ELNS1_3gpuE7ELNS1_3repE0EEENS1_30default_config_static_selectorELNS0_4arch9wavefront6targetE0EEEvT1_
; %bb.0:
	.section	.rodata,"a",@progbits
	.p2align	6, 0x0
	.amdhsa_kernel _ZN7rocprim17ROCPRIM_400000_NS6detail17trampoline_kernelINS0_14default_configENS1_27scan_by_key_config_selectorIiiEEZZNS1_16scan_by_key_implILNS1_25lookback_scan_determinismE0ELb0ES3_PKiN6hipcub16HIPCUB_304000_NS21ConstantInputIteratorIilEEPiiNSB_3SumENSB_8EqualityEiEE10hipError_tPvRmT2_T3_T4_T5_mT6_T7_P12ihipStream_tbENKUlT_T0_E_clISt17integral_constantIbLb1EESW_IbLb0EEEEDaSS_ST_EUlSS_E_NS1_11comp_targetILNS1_3genE3ELNS1_11target_archE908ELNS1_3gpuE7ELNS1_3repE0EEENS1_30default_config_static_selectorELNS0_4arch9wavefront6targetE0EEEvT1_
		.amdhsa_group_segment_fixed_size 0
		.amdhsa_private_segment_fixed_size 0
		.amdhsa_kernarg_size 120
		.amdhsa_user_sgpr_count 6
		.amdhsa_user_sgpr_private_segment_buffer 1
		.amdhsa_user_sgpr_dispatch_ptr 0
		.amdhsa_user_sgpr_queue_ptr 0
		.amdhsa_user_sgpr_kernarg_segment_ptr 1
		.amdhsa_user_sgpr_dispatch_id 0
		.amdhsa_user_sgpr_flat_scratch_init 0
		.amdhsa_user_sgpr_private_segment_size 0
		.amdhsa_wavefront_size32 1
		.amdhsa_uses_dynamic_stack 0
		.amdhsa_system_sgpr_private_segment_wavefront_offset 0
		.amdhsa_system_sgpr_workgroup_id_x 1
		.amdhsa_system_sgpr_workgroup_id_y 0
		.amdhsa_system_sgpr_workgroup_id_z 0
		.amdhsa_system_sgpr_workgroup_info 0
		.amdhsa_system_vgpr_workitem_id 0
		.amdhsa_next_free_vgpr 1
		.amdhsa_next_free_sgpr 1
		.amdhsa_reserve_vcc 0
		.amdhsa_reserve_flat_scratch 0
		.amdhsa_float_round_mode_32 0
		.amdhsa_float_round_mode_16_64 0
		.amdhsa_float_denorm_mode_32 3
		.amdhsa_float_denorm_mode_16_64 3
		.amdhsa_dx10_clamp 1
		.amdhsa_ieee_mode 1
		.amdhsa_fp16_overflow 0
		.amdhsa_workgroup_processor_mode 1
		.amdhsa_memory_ordered 1
		.amdhsa_forward_progress 1
		.amdhsa_shared_vgpr_count 0
		.amdhsa_exception_fp_ieee_invalid_op 0
		.amdhsa_exception_fp_denorm_src 0
		.amdhsa_exception_fp_ieee_div_zero 0
		.amdhsa_exception_fp_ieee_overflow 0
		.amdhsa_exception_fp_ieee_underflow 0
		.amdhsa_exception_fp_ieee_inexact 0
		.amdhsa_exception_int_div_zero 0
	.end_amdhsa_kernel
	.section	.text._ZN7rocprim17ROCPRIM_400000_NS6detail17trampoline_kernelINS0_14default_configENS1_27scan_by_key_config_selectorIiiEEZZNS1_16scan_by_key_implILNS1_25lookback_scan_determinismE0ELb0ES3_PKiN6hipcub16HIPCUB_304000_NS21ConstantInputIteratorIilEEPiiNSB_3SumENSB_8EqualityEiEE10hipError_tPvRmT2_T3_T4_T5_mT6_T7_P12ihipStream_tbENKUlT_T0_E_clISt17integral_constantIbLb1EESW_IbLb0EEEEDaSS_ST_EUlSS_E_NS1_11comp_targetILNS1_3genE3ELNS1_11target_archE908ELNS1_3gpuE7ELNS1_3repE0EEENS1_30default_config_static_selectorELNS0_4arch9wavefront6targetE0EEEvT1_,"axG",@progbits,_ZN7rocprim17ROCPRIM_400000_NS6detail17trampoline_kernelINS0_14default_configENS1_27scan_by_key_config_selectorIiiEEZZNS1_16scan_by_key_implILNS1_25lookback_scan_determinismE0ELb0ES3_PKiN6hipcub16HIPCUB_304000_NS21ConstantInputIteratorIilEEPiiNSB_3SumENSB_8EqualityEiEE10hipError_tPvRmT2_T3_T4_T5_mT6_T7_P12ihipStream_tbENKUlT_T0_E_clISt17integral_constantIbLb1EESW_IbLb0EEEEDaSS_ST_EUlSS_E_NS1_11comp_targetILNS1_3genE3ELNS1_11target_archE908ELNS1_3gpuE7ELNS1_3repE0EEENS1_30default_config_static_selectorELNS0_4arch9wavefront6targetE0EEEvT1_,comdat
.Lfunc_end36:
	.size	_ZN7rocprim17ROCPRIM_400000_NS6detail17trampoline_kernelINS0_14default_configENS1_27scan_by_key_config_selectorIiiEEZZNS1_16scan_by_key_implILNS1_25lookback_scan_determinismE0ELb0ES3_PKiN6hipcub16HIPCUB_304000_NS21ConstantInputIteratorIilEEPiiNSB_3SumENSB_8EqualityEiEE10hipError_tPvRmT2_T3_T4_T5_mT6_T7_P12ihipStream_tbENKUlT_T0_E_clISt17integral_constantIbLb1EESW_IbLb0EEEEDaSS_ST_EUlSS_E_NS1_11comp_targetILNS1_3genE3ELNS1_11target_archE908ELNS1_3gpuE7ELNS1_3repE0EEENS1_30default_config_static_selectorELNS0_4arch9wavefront6targetE0EEEvT1_, .Lfunc_end36-_ZN7rocprim17ROCPRIM_400000_NS6detail17trampoline_kernelINS0_14default_configENS1_27scan_by_key_config_selectorIiiEEZZNS1_16scan_by_key_implILNS1_25lookback_scan_determinismE0ELb0ES3_PKiN6hipcub16HIPCUB_304000_NS21ConstantInputIteratorIilEEPiiNSB_3SumENSB_8EqualityEiEE10hipError_tPvRmT2_T3_T4_T5_mT6_T7_P12ihipStream_tbENKUlT_T0_E_clISt17integral_constantIbLb1EESW_IbLb0EEEEDaSS_ST_EUlSS_E_NS1_11comp_targetILNS1_3genE3ELNS1_11target_archE908ELNS1_3gpuE7ELNS1_3repE0EEENS1_30default_config_static_selectorELNS0_4arch9wavefront6targetE0EEEvT1_
                                        ; -- End function
	.set _ZN7rocprim17ROCPRIM_400000_NS6detail17trampoline_kernelINS0_14default_configENS1_27scan_by_key_config_selectorIiiEEZZNS1_16scan_by_key_implILNS1_25lookback_scan_determinismE0ELb0ES3_PKiN6hipcub16HIPCUB_304000_NS21ConstantInputIteratorIilEEPiiNSB_3SumENSB_8EqualityEiEE10hipError_tPvRmT2_T3_T4_T5_mT6_T7_P12ihipStream_tbENKUlT_T0_E_clISt17integral_constantIbLb1EESW_IbLb0EEEEDaSS_ST_EUlSS_E_NS1_11comp_targetILNS1_3genE3ELNS1_11target_archE908ELNS1_3gpuE7ELNS1_3repE0EEENS1_30default_config_static_selectorELNS0_4arch9wavefront6targetE0EEEvT1_.num_vgpr, 0
	.set _ZN7rocprim17ROCPRIM_400000_NS6detail17trampoline_kernelINS0_14default_configENS1_27scan_by_key_config_selectorIiiEEZZNS1_16scan_by_key_implILNS1_25lookback_scan_determinismE0ELb0ES3_PKiN6hipcub16HIPCUB_304000_NS21ConstantInputIteratorIilEEPiiNSB_3SumENSB_8EqualityEiEE10hipError_tPvRmT2_T3_T4_T5_mT6_T7_P12ihipStream_tbENKUlT_T0_E_clISt17integral_constantIbLb1EESW_IbLb0EEEEDaSS_ST_EUlSS_E_NS1_11comp_targetILNS1_3genE3ELNS1_11target_archE908ELNS1_3gpuE7ELNS1_3repE0EEENS1_30default_config_static_selectorELNS0_4arch9wavefront6targetE0EEEvT1_.num_agpr, 0
	.set _ZN7rocprim17ROCPRIM_400000_NS6detail17trampoline_kernelINS0_14default_configENS1_27scan_by_key_config_selectorIiiEEZZNS1_16scan_by_key_implILNS1_25lookback_scan_determinismE0ELb0ES3_PKiN6hipcub16HIPCUB_304000_NS21ConstantInputIteratorIilEEPiiNSB_3SumENSB_8EqualityEiEE10hipError_tPvRmT2_T3_T4_T5_mT6_T7_P12ihipStream_tbENKUlT_T0_E_clISt17integral_constantIbLb1EESW_IbLb0EEEEDaSS_ST_EUlSS_E_NS1_11comp_targetILNS1_3genE3ELNS1_11target_archE908ELNS1_3gpuE7ELNS1_3repE0EEENS1_30default_config_static_selectorELNS0_4arch9wavefront6targetE0EEEvT1_.numbered_sgpr, 0
	.set _ZN7rocprim17ROCPRIM_400000_NS6detail17trampoline_kernelINS0_14default_configENS1_27scan_by_key_config_selectorIiiEEZZNS1_16scan_by_key_implILNS1_25lookback_scan_determinismE0ELb0ES3_PKiN6hipcub16HIPCUB_304000_NS21ConstantInputIteratorIilEEPiiNSB_3SumENSB_8EqualityEiEE10hipError_tPvRmT2_T3_T4_T5_mT6_T7_P12ihipStream_tbENKUlT_T0_E_clISt17integral_constantIbLb1EESW_IbLb0EEEEDaSS_ST_EUlSS_E_NS1_11comp_targetILNS1_3genE3ELNS1_11target_archE908ELNS1_3gpuE7ELNS1_3repE0EEENS1_30default_config_static_selectorELNS0_4arch9wavefront6targetE0EEEvT1_.num_named_barrier, 0
	.set _ZN7rocprim17ROCPRIM_400000_NS6detail17trampoline_kernelINS0_14default_configENS1_27scan_by_key_config_selectorIiiEEZZNS1_16scan_by_key_implILNS1_25lookback_scan_determinismE0ELb0ES3_PKiN6hipcub16HIPCUB_304000_NS21ConstantInputIteratorIilEEPiiNSB_3SumENSB_8EqualityEiEE10hipError_tPvRmT2_T3_T4_T5_mT6_T7_P12ihipStream_tbENKUlT_T0_E_clISt17integral_constantIbLb1EESW_IbLb0EEEEDaSS_ST_EUlSS_E_NS1_11comp_targetILNS1_3genE3ELNS1_11target_archE908ELNS1_3gpuE7ELNS1_3repE0EEENS1_30default_config_static_selectorELNS0_4arch9wavefront6targetE0EEEvT1_.private_seg_size, 0
	.set _ZN7rocprim17ROCPRIM_400000_NS6detail17trampoline_kernelINS0_14default_configENS1_27scan_by_key_config_selectorIiiEEZZNS1_16scan_by_key_implILNS1_25lookback_scan_determinismE0ELb0ES3_PKiN6hipcub16HIPCUB_304000_NS21ConstantInputIteratorIilEEPiiNSB_3SumENSB_8EqualityEiEE10hipError_tPvRmT2_T3_T4_T5_mT6_T7_P12ihipStream_tbENKUlT_T0_E_clISt17integral_constantIbLb1EESW_IbLb0EEEEDaSS_ST_EUlSS_E_NS1_11comp_targetILNS1_3genE3ELNS1_11target_archE908ELNS1_3gpuE7ELNS1_3repE0EEENS1_30default_config_static_selectorELNS0_4arch9wavefront6targetE0EEEvT1_.uses_vcc, 0
	.set _ZN7rocprim17ROCPRIM_400000_NS6detail17trampoline_kernelINS0_14default_configENS1_27scan_by_key_config_selectorIiiEEZZNS1_16scan_by_key_implILNS1_25lookback_scan_determinismE0ELb0ES3_PKiN6hipcub16HIPCUB_304000_NS21ConstantInputIteratorIilEEPiiNSB_3SumENSB_8EqualityEiEE10hipError_tPvRmT2_T3_T4_T5_mT6_T7_P12ihipStream_tbENKUlT_T0_E_clISt17integral_constantIbLb1EESW_IbLb0EEEEDaSS_ST_EUlSS_E_NS1_11comp_targetILNS1_3genE3ELNS1_11target_archE908ELNS1_3gpuE7ELNS1_3repE0EEENS1_30default_config_static_selectorELNS0_4arch9wavefront6targetE0EEEvT1_.uses_flat_scratch, 0
	.set _ZN7rocprim17ROCPRIM_400000_NS6detail17trampoline_kernelINS0_14default_configENS1_27scan_by_key_config_selectorIiiEEZZNS1_16scan_by_key_implILNS1_25lookback_scan_determinismE0ELb0ES3_PKiN6hipcub16HIPCUB_304000_NS21ConstantInputIteratorIilEEPiiNSB_3SumENSB_8EqualityEiEE10hipError_tPvRmT2_T3_T4_T5_mT6_T7_P12ihipStream_tbENKUlT_T0_E_clISt17integral_constantIbLb1EESW_IbLb0EEEEDaSS_ST_EUlSS_E_NS1_11comp_targetILNS1_3genE3ELNS1_11target_archE908ELNS1_3gpuE7ELNS1_3repE0EEENS1_30default_config_static_selectorELNS0_4arch9wavefront6targetE0EEEvT1_.has_dyn_sized_stack, 0
	.set _ZN7rocprim17ROCPRIM_400000_NS6detail17trampoline_kernelINS0_14default_configENS1_27scan_by_key_config_selectorIiiEEZZNS1_16scan_by_key_implILNS1_25lookback_scan_determinismE0ELb0ES3_PKiN6hipcub16HIPCUB_304000_NS21ConstantInputIteratorIilEEPiiNSB_3SumENSB_8EqualityEiEE10hipError_tPvRmT2_T3_T4_T5_mT6_T7_P12ihipStream_tbENKUlT_T0_E_clISt17integral_constantIbLb1EESW_IbLb0EEEEDaSS_ST_EUlSS_E_NS1_11comp_targetILNS1_3genE3ELNS1_11target_archE908ELNS1_3gpuE7ELNS1_3repE0EEENS1_30default_config_static_selectorELNS0_4arch9wavefront6targetE0EEEvT1_.has_recursion, 0
	.set _ZN7rocprim17ROCPRIM_400000_NS6detail17trampoline_kernelINS0_14default_configENS1_27scan_by_key_config_selectorIiiEEZZNS1_16scan_by_key_implILNS1_25lookback_scan_determinismE0ELb0ES3_PKiN6hipcub16HIPCUB_304000_NS21ConstantInputIteratorIilEEPiiNSB_3SumENSB_8EqualityEiEE10hipError_tPvRmT2_T3_T4_T5_mT6_T7_P12ihipStream_tbENKUlT_T0_E_clISt17integral_constantIbLb1EESW_IbLb0EEEEDaSS_ST_EUlSS_E_NS1_11comp_targetILNS1_3genE3ELNS1_11target_archE908ELNS1_3gpuE7ELNS1_3repE0EEENS1_30default_config_static_selectorELNS0_4arch9wavefront6targetE0EEEvT1_.has_indirect_call, 0
	.section	.AMDGPU.csdata,"",@progbits
; Kernel info:
; codeLenInByte = 0
; TotalNumSgprs: 0
; NumVgprs: 0
; ScratchSize: 0
; MemoryBound: 0
; FloatMode: 240
; IeeeMode: 1
; LDSByteSize: 0 bytes/workgroup (compile time only)
; SGPRBlocks: 0
; VGPRBlocks: 0
; NumSGPRsForWavesPerEU: 1
; NumVGPRsForWavesPerEU: 1
; Occupancy: 16
; WaveLimiterHint : 0
; COMPUTE_PGM_RSRC2:SCRATCH_EN: 0
; COMPUTE_PGM_RSRC2:USER_SGPR: 6
; COMPUTE_PGM_RSRC2:TRAP_HANDLER: 0
; COMPUTE_PGM_RSRC2:TGID_X_EN: 1
; COMPUTE_PGM_RSRC2:TGID_Y_EN: 0
; COMPUTE_PGM_RSRC2:TGID_Z_EN: 0
; COMPUTE_PGM_RSRC2:TIDIG_COMP_CNT: 0
	.section	.text._ZN7rocprim17ROCPRIM_400000_NS6detail17trampoline_kernelINS0_14default_configENS1_27scan_by_key_config_selectorIiiEEZZNS1_16scan_by_key_implILNS1_25lookback_scan_determinismE0ELb0ES3_PKiN6hipcub16HIPCUB_304000_NS21ConstantInputIteratorIilEEPiiNSB_3SumENSB_8EqualityEiEE10hipError_tPvRmT2_T3_T4_T5_mT6_T7_P12ihipStream_tbENKUlT_T0_E_clISt17integral_constantIbLb1EESW_IbLb0EEEEDaSS_ST_EUlSS_E_NS1_11comp_targetILNS1_3genE2ELNS1_11target_archE906ELNS1_3gpuE6ELNS1_3repE0EEENS1_30default_config_static_selectorELNS0_4arch9wavefront6targetE0EEEvT1_,"axG",@progbits,_ZN7rocprim17ROCPRIM_400000_NS6detail17trampoline_kernelINS0_14default_configENS1_27scan_by_key_config_selectorIiiEEZZNS1_16scan_by_key_implILNS1_25lookback_scan_determinismE0ELb0ES3_PKiN6hipcub16HIPCUB_304000_NS21ConstantInputIteratorIilEEPiiNSB_3SumENSB_8EqualityEiEE10hipError_tPvRmT2_T3_T4_T5_mT6_T7_P12ihipStream_tbENKUlT_T0_E_clISt17integral_constantIbLb1EESW_IbLb0EEEEDaSS_ST_EUlSS_E_NS1_11comp_targetILNS1_3genE2ELNS1_11target_archE906ELNS1_3gpuE6ELNS1_3repE0EEENS1_30default_config_static_selectorELNS0_4arch9wavefront6targetE0EEEvT1_,comdat
	.protected	_ZN7rocprim17ROCPRIM_400000_NS6detail17trampoline_kernelINS0_14default_configENS1_27scan_by_key_config_selectorIiiEEZZNS1_16scan_by_key_implILNS1_25lookback_scan_determinismE0ELb0ES3_PKiN6hipcub16HIPCUB_304000_NS21ConstantInputIteratorIilEEPiiNSB_3SumENSB_8EqualityEiEE10hipError_tPvRmT2_T3_T4_T5_mT6_T7_P12ihipStream_tbENKUlT_T0_E_clISt17integral_constantIbLb1EESW_IbLb0EEEEDaSS_ST_EUlSS_E_NS1_11comp_targetILNS1_3genE2ELNS1_11target_archE906ELNS1_3gpuE6ELNS1_3repE0EEENS1_30default_config_static_selectorELNS0_4arch9wavefront6targetE0EEEvT1_ ; -- Begin function _ZN7rocprim17ROCPRIM_400000_NS6detail17trampoline_kernelINS0_14default_configENS1_27scan_by_key_config_selectorIiiEEZZNS1_16scan_by_key_implILNS1_25lookback_scan_determinismE0ELb0ES3_PKiN6hipcub16HIPCUB_304000_NS21ConstantInputIteratorIilEEPiiNSB_3SumENSB_8EqualityEiEE10hipError_tPvRmT2_T3_T4_T5_mT6_T7_P12ihipStream_tbENKUlT_T0_E_clISt17integral_constantIbLb1EESW_IbLb0EEEEDaSS_ST_EUlSS_E_NS1_11comp_targetILNS1_3genE2ELNS1_11target_archE906ELNS1_3gpuE6ELNS1_3repE0EEENS1_30default_config_static_selectorELNS0_4arch9wavefront6targetE0EEEvT1_
	.globl	_ZN7rocprim17ROCPRIM_400000_NS6detail17trampoline_kernelINS0_14default_configENS1_27scan_by_key_config_selectorIiiEEZZNS1_16scan_by_key_implILNS1_25lookback_scan_determinismE0ELb0ES3_PKiN6hipcub16HIPCUB_304000_NS21ConstantInputIteratorIilEEPiiNSB_3SumENSB_8EqualityEiEE10hipError_tPvRmT2_T3_T4_T5_mT6_T7_P12ihipStream_tbENKUlT_T0_E_clISt17integral_constantIbLb1EESW_IbLb0EEEEDaSS_ST_EUlSS_E_NS1_11comp_targetILNS1_3genE2ELNS1_11target_archE906ELNS1_3gpuE6ELNS1_3repE0EEENS1_30default_config_static_selectorELNS0_4arch9wavefront6targetE0EEEvT1_
	.p2align	8
	.type	_ZN7rocprim17ROCPRIM_400000_NS6detail17trampoline_kernelINS0_14default_configENS1_27scan_by_key_config_selectorIiiEEZZNS1_16scan_by_key_implILNS1_25lookback_scan_determinismE0ELb0ES3_PKiN6hipcub16HIPCUB_304000_NS21ConstantInputIteratorIilEEPiiNSB_3SumENSB_8EqualityEiEE10hipError_tPvRmT2_T3_T4_T5_mT6_T7_P12ihipStream_tbENKUlT_T0_E_clISt17integral_constantIbLb1EESW_IbLb0EEEEDaSS_ST_EUlSS_E_NS1_11comp_targetILNS1_3genE2ELNS1_11target_archE906ELNS1_3gpuE6ELNS1_3repE0EEENS1_30default_config_static_selectorELNS0_4arch9wavefront6targetE0EEEvT1_,@function
_ZN7rocprim17ROCPRIM_400000_NS6detail17trampoline_kernelINS0_14default_configENS1_27scan_by_key_config_selectorIiiEEZZNS1_16scan_by_key_implILNS1_25lookback_scan_determinismE0ELb0ES3_PKiN6hipcub16HIPCUB_304000_NS21ConstantInputIteratorIilEEPiiNSB_3SumENSB_8EqualityEiEE10hipError_tPvRmT2_T3_T4_T5_mT6_T7_P12ihipStream_tbENKUlT_T0_E_clISt17integral_constantIbLb1EESW_IbLb0EEEEDaSS_ST_EUlSS_E_NS1_11comp_targetILNS1_3genE2ELNS1_11target_archE906ELNS1_3gpuE6ELNS1_3repE0EEENS1_30default_config_static_selectorELNS0_4arch9wavefront6targetE0EEEvT1_: ; @_ZN7rocprim17ROCPRIM_400000_NS6detail17trampoline_kernelINS0_14default_configENS1_27scan_by_key_config_selectorIiiEEZZNS1_16scan_by_key_implILNS1_25lookback_scan_determinismE0ELb0ES3_PKiN6hipcub16HIPCUB_304000_NS21ConstantInputIteratorIilEEPiiNSB_3SumENSB_8EqualityEiEE10hipError_tPvRmT2_T3_T4_T5_mT6_T7_P12ihipStream_tbENKUlT_T0_E_clISt17integral_constantIbLb1EESW_IbLb0EEEEDaSS_ST_EUlSS_E_NS1_11comp_targetILNS1_3genE2ELNS1_11target_archE906ELNS1_3gpuE6ELNS1_3repE0EEENS1_30default_config_static_selectorELNS0_4arch9wavefront6targetE0EEEvT1_
; %bb.0:
	.section	.rodata,"a",@progbits
	.p2align	6, 0x0
	.amdhsa_kernel _ZN7rocprim17ROCPRIM_400000_NS6detail17trampoline_kernelINS0_14default_configENS1_27scan_by_key_config_selectorIiiEEZZNS1_16scan_by_key_implILNS1_25lookback_scan_determinismE0ELb0ES3_PKiN6hipcub16HIPCUB_304000_NS21ConstantInputIteratorIilEEPiiNSB_3SumENSB_8EqualityEiEE10hipError_tPvRmT2_T3_T4_T5_mT6_T7_P12ihipStream_tbENKUlT_T0_E_clISt17integral_constantIbLb1EESW_IbLb0EEEEDaSS_ST_EUlSS_E_NS1_11comp_targetILNS1_3genE2ELNS1_11target_archE906ELNS1_3gpuE6ELNS1_3repE0EEENS1_30default_config_static_selectorELNS0_4arch9wavefront6targetE0EEEvT1_
		.amdhsa_group_segment_fixed_size 0
		.amdhsa_private_segment_fixed_size 0
		.amdhsa_kernarg_size 120
		.amdhsa_user_sgpr_count 6
		.amdhsa_user_sgpr_private_segment_buffer 1
		.amdhsa_user_sgpr_dispatch_ptr 0
		.amdhsa_user_sgpr_queue_ptr 0
		.amdhsa_user_sgpr_kernarg_segment_ptr 1
		.amdhsa_user_sgpr_dispatch_id 0
		.amdhsa_user_sgpr_flat_scratch_init 0
		.amdhsa_user_sgpr_private_segment_size 0
		.amdhsa_wavefront_size32 1
		.amdhsa_uses_dynamic_stack 0
		.amdhsa_system_sgpr_private_segment_wavefront_offset 0
		.amdhsa_system_sgpr_workgroup_id_x 1
		.amdhsa_system_sgpr_workgroup_id_y 0
		.amdhsa_system_sgpr_workgroup_id_z 0
		.amdhsa_system_sgpr_workgroup_info 0
		.amdhsa_system_vgpr_workitem_id 0
		.amdhsa_next_free_vgpr 1
		.amdhsa_next_free_sgpr 1
		.amdhsa_reserve_vcc 0
		.amdhsa_reserve_flat_scratch 0
		.amdhsa_float_round_mode_32 0
		.amdhsa_float_round_mode_16_64 0
		.amdhsa_float_denorm_mode_32 3
		.amdhsa_float_denorm_mode_16_64 3
		.amdhsa_dx10_clamp 1
		.amdhsa_ieee_mode 1
		.amdhsa_fp16_overflow 0
		.amdhsa_workgroup_processor_mode 1
		.amdhsa_memory_ordered 1
		.amdhsa_forward_progress 1
		.amdhsa_shared_vgpr_count 0
		.amdhsa_exception_fp_ieee_invalid_op 0
		.amdhsa_exception_fp_denorm_src 0
		.amdhsa_exception_fp_ieee_div_zero 0
		.amdhsa_exception_fp_ieee_overflow 0
		.amdhsa_exception_fp_ieee_underflow 0
		.amdhsa_exception_fp_ieee_inexact 0
		.amdhsa_exception_int_div_zero 0
	.end_amdhsa_kernel
	.section	.text._ZN7rocprim17ROCPRIM_400000_NS6detail17trampoline_kernelINS0_14default_configENS1_27scan_by_key_config_selectorIiiEEZZNS1_16scan_by_key_implILNS1_25lookback_scan_determinismE0ELb0ES3_PKiN6hipcub16HIPCUB_304000_NS21ConstantInputIteratorIilEEPiiNSB_3SumENSB_8EqualityEiEE10hipError_tPvRmT2_T3_T4_T5_mT6_T7_P12ihipStream_tbENKUlT_T0_E_clISt17integral_constantIbLb1EESW_IbLb0EEEEDaSS_ST_EUlSS_E_NS1_11comp_targetILNS1_3genE2ELNS1_11target_archE906ELNS1_3gpuE6ELNS1_3repE0EEENS1_30default_config_static_selectorELNS0_4arch9wavefront6targetE0EEEvT1_,"axG",@progbits,_ZN7rocprim17ROCPRIM_400000_NS6detail17trampoline_kernelINS0_14default_configENS1_27scan_by_key_config_selectorIiiEEZZNS1_16scan_by_key_implILNS1_25lookback_scan_determinismE0ELb0ES3_PKiN6hipcub16HIPCUB_304000_NS21ConstantInputIteratorIilEEPiiNSB_3SumENSB_8EqualityEiEE10hipError_tPvRmT2_T3_T4_T5_mT6_T7_P12ihipStream_tbENKUlT_T0_E_clISt17integral_constantIbLb1EESW_IbLb0EEEEDaSS_ST_EUlSS_E_NS1_11comp_targetILNS1_3genE2ELNS1_11target_archE906ELNS1_3gpuE6ELNS1_3repE0EEENS1_30default_config_static_selectorELNS0_4arch9wavefront6targetE0EEEvT1_,comdat
.Lfunc_end37:
	.size	_ZN7rocprim17ROCPRIM_400000_NS6detail17trampoline_kernelINS0_14default_configENS1_27scan_by_key_config_selectorIiiEEZZNS1_16scan_by_key_implILNS1_25lookback_scan_determinismE0ELb0ES3_PKiN6hipcub16HIPCUB_304000_NS21ConstantInputIteratorIilEEPiiNSB_3SumENSB_8EqualityEiEE10hipError_tPvRmT2_T3_T4_T5_mT6_T7_P12ihipStream_tbENKUlT_T0_E_clISt17integral_constantIbLb1EESW_IbLb0EEEEDaSS_ST_EUlSS_E_NS1_11comp_targetILNS1_3genE2ELNS1_11target_archE906ELNS1_3gpuE6ELNS1_3repE0EEENS1_30default_config_static_selectorELNS0_4arch9wavefront6targetE0EEEvT1_, .Lfunc_end37-_ZN7rocprim17ROCPRIM_400000_NS6detail17trampoline_kernelINS0_14default_configENS1_27scan_by_key_config_selectorIiiEEZZNS1_16scan_by_key_implILNS1_25lookback_scan_determinismE0ELb0ES3_PKiN6hipcub16HIPCUB_304000_NS21ConstantInputIteratorIilEEPiiNSB_3SumENSB_8EqualityEiEE10hipError_tPvRmT2_T3_T4_T5_mT6_T7_P12ihipStream_tbENKUlT_T0_E_clISt17integral_constantIbLb1EESW_IbLb0EEEEDaSS_ST_EUlSS_E_NS1_11comp_targetILNS1_3genE2ELNS1_11target_archE906ELNS1_3gpuE6ELNS1_3repE0EEENS1_30default_config_static_selectorELNS0_4arch9wavefront6targetE0EEEvT1_
                                        ; -- End function
	.set _ZN7rocprim17ROCPRIM_400000_NS6detail17trampoline_kernelINS0_14default_configENS1_27scan_by_key_config_selectorIiiEEZZNS1_16scan_by_key_implILNS1_25lookback_scan_determinismE0ELb0ES3_PKiN6hipcub16HIPCUB_304000_NS21ConstantInputIteratorIilEEPiiNSB_3SumENSB_8EqualityEiEE10hipError_tPvRmT2_T3_T4_T5_mT6_T7_P12ihipStream_tbENKUlT_T0_E_clISt17integral_constantIbLb1EESW_IbLb0EEEEDaSS_ST_EUlSS_E_NS1_11comp_targetILNS1_3genE2ELNS1_11target_archE906ELNS1_3gpuE6ELNS1_3repE0EEENS1_30default_config_static_selectorELNS0_4arch9wavefront6targetE0EEEvT1_.num_vgpr, 0
	.set _ZN7rocprim17ROCPRIM_400000_NS6detail17trampoline_kernelINS0_14default_configENS1_27scan_by_key_config_selectorIiiEEZZNS1_16scan_by_key_implILNS1_25lookback_scan_determinismE0ELb0ES3_PKiN6hipcub16HIPCUB_304000_NS21ConstantInputIteratorIilEEPiiNSB_3SumENSB_8EqualityEiEE10hipError_tPvRmT2_T3_T4_T5_mT6_T7_P12ihipStream_tbENKUlT_T0_E_clISt17integral_constantIbLb1EESW_IbLb0EEEEDaSS_ST_EUlSS_E_NS1_11comp_targetILNS1_3genE2ELNS1_11target_archE906ELNS1_3gpuE6ELNS1_3repE0EEENS1_30default_config_static_selectorELNS0_4arch9wavefront6targetE0EEEvT1_.num_agpr, 0
	.set _ZN7rocprim17ROCPRIM_400000_NS6detail17trampoline_kernelINS0_14default_configENS1_27scan_by_key_config_selectorIiiEEZZNS1_16scan_by_key_implILNS1_25lookback_scan_determinismE0ELb0ES3_PKiN6hipcub16HIPCUB_304000_NS21ConstantInputIteratorIilEEPiiNSB_3SumENSB_8EqualityEiEE10hipError_tPvRmT2_T3_T4_T5_mT6_T7_P12ihipStream_tbENKUlT_T0_E_clISt17integral_constantIbLb1EESW_IbLb0EEEEDaSS_ST_EUlSS_E_NS1_11comp_targetILNS1_3genE2ELNS1_11target_archE906ELNS1_3gpuE6ELNS1_3repE0EEENS1_30default_config_static_selectorELNS0_4arch9wavefront6targetE0EEEvT1_.numbered_sgpr, 0
	.set _ZN7rocprim17ROCPRIM_400000_NS6detail17trampoline_kernelINS0_14default_configENS1_27scan_by_key_config_selectorIiiEEZZNS1_16scan_by_key_implILNS1_25lookback_scan_determinismE0ELb0ES3_PKiN6hipcub16HIPCUB_304000_NS21ConstantInputIteratorIilEEPiiNSB_3SumENSB_8EqualityEiEE10hipError_tPvRmT2_T3_T4_T5_mT6_T7_P12ihipStream_tbENKUlT_T0_E_clISt17integral_constantIbLb1EESW_IbLb0EEEEDaSS_ST_EUlSS_E_NS1_11comp_targetILNS1_3genE2ELNS1_11target_archE906ELNS1_3gpuE6ELNS1_3repE0EEENS1_30default_config_static_selectorELNS0_4arch9wavefront6targetE0EEEvT1_.num_named_barrier, 0
	.set _ZN7rocprim17ROCPRIM_400000_NS6detail17trampoline_kernelINS0_14default_configENS1_27scan_by_key_config_selectorIiiEEZZNS1_16scan_by_key_implILNS1_25lookback_scan_determinismE0ELb0ES3_PKiN6hipcub16HIPCUB_304000_NS21ConstantInputIteratorIilEEPiiNSB_3SumENSB_8EqualityEiEE10hipError_tPvRmT2_T3_T4_T5_mT6_T7_P12ihipStream_tbENKUlT_T0_E_clISt17integral_constantIbLb1EESW_IbLb0EEEEDaSS_ST_EUlSS_E_NS1_11comp_targetILNS1_3genE2ELNS1_11target_archE906ELNS1_3gpuE6ELNS1_3repE0EEENS1_30default_config_static_selectorELNS0_4arch9wavefront6targetE0EEEvT1_.private_seg_size, 0
	.set _ZN7rocprim17ROCPRIM_400000_NS6detail17trampoline_kernelINS0_14default_configENS1_27scan_by_key_config_selectorIiiEEZZNS1_16scan_by_key_implILNS1_25lookback_scan_determinismE0ELb0ES3_PKiN6hipcub16HIPCUB_304000_NS21ConstantInputIteratorIilEEPiiNSB_3SumENSB_8EqualityEiEE10hipError_tPvRmT2_T3_T4_T5_mT6_T7_P12ihipStream_tbENKUlT_T0_E_clISt17integral_constantIbLb1EESW_IbLb0EEEEDaSS_ST_EUlSS_E_NS1_11comp_targetILNS1_3genE2ELNS1_11target_archE906ELNS1_3gpuE6ELNS1_3repE0EEENS1_30default_config_static_selectorELNS0_4arch9wavefront6targetE0EEEvT1_.uses_vcc, 0
	.set _ZN7rocprim17ROCPRIM_400000_NS6detail17trampoline_kernelINS0_14default_configENS1_27scan_by_key_config_selectorIiiEEZZNS1_16scan_by_key_implILNS1_25lookback_scan_determinismE0ELb0ES3_PKiN6hipcub16HIPCUB_304000_NS21ConstantInputIteratorIilEEPiiNSB_3SumENSB_8EqualityEiEE10hipError_tPvRmT2_T3_T4_T5_mT6_T7_P12ihipStream_tbENKUlT_T0_E_clISt17integral_constantIbLb1EESW_IbLb0EEEEDaSS_ST_EUlSS_E_NS1_11comp_targetILNS1_3genE2ELNS1_11target_archE906ELNS1_3gpuE6ELNS1_3repE0EEENS1_30default_config_static_selectorELNS0_4arch9wavefront6targetE0EEEvT1_.uses_flat_scratch, 0
	.set _ZN7rocprim17ROCPRIM_400000_NS6detail17trampoline_kernelINS0_14default_configENS1_27scan_by_key_config_selectorIiiEEZZNS1_16scan_by_key_implILNS1_25lookback_scan_determinismE0ELb0ES3_PKiN6hipcub16HIPCUB_304000_NS21ConstantInputIteratorIilEEPiiNSB_3SumENSB_8EqualityEiEE10hipError_tPvRmT2_T3_T4_T5_mT6_T7_P12ihipStream_tbENKUlT_T0_E_clISt17integral_constantIbLb1EESW_IbLb0EEEEDaSS_ST_EUlSS_E_NS1_11comp_targetILNS1_3genE2ELNS1_11target_archE906ELNS1_3gpuE6ELNS1_3repE0EEENS1_30default_config_static_selectorELNS0_4arch9wavefront6targetE0EEEvT1_.has_dyn_sized_stack, 0
	.set _ZN7rocprim17ROCPRIM_400000_NS6detail17trampoline_kernelINS0_14default_configENS1_27scan_by_key_config_selectorIiiEEZZNS1_16scan_by_key_implILNS1_25lookback_scan_determinismE0ELb0ES3_PKiN6hipcub16HIPCUB_304000_NS21ConstantInputIteratorIilEEPiiNSB_3SumENSB_8EqualityEiEE10hipError_tPvRmT2_T3_T4_T5_mT6_T7_P12ihipStream_tbENKUlT_T0_E_clISt17integral_constantIbLb1EESW_IbLb0EEEEDaSS_ST_EUlSS_E_NS1_11comp_targetILNS1_3genE2ELNS1_11target_archE906ELNS1_3gpuE6ELNS1_3repE0EEENS1_30default_config_static_selectorELNS0_4arch9wavefront6targetE0EEEvT1_.has_recursion, 0
	.set _ZN7rocprim17ROCPRIM_400000_NS6detail17trampoline_kernelINS0_14default_configENS1_27scan_by_key_config_selectorIiiEEZZNS1_16scan_by_key_implILNS1_25lookback_scan_determinismE0ELb0ES3_PKiN6hipcub16HIPCUB_304000_NS21ConstantInputIteratorIilEEPiiNSB_3SumENSB_8EqualityEiEE10hipError_tPvRmT2_T3_T4_T5_mT6_T7_P12ihipStream_tbENKUlT_T0_E_clISt17integral_constantIbLb1EESW_IbLb0EEEEDaSS_ST_EUlSS_E_NS1_11comp_targetILNS1_3genE2ELNS1_11target_archE906ELNS1_3gpuE6ELNS1_3repE0EEENS1_30default_config_static_selectorELNS0_4arch9wavefront6targetE0EEEvT1_.has_indirect_call, 0
	.section	.AMDGPU.csdata,"",@progbits
; Kernel info:
; codeLenInByte = 0
; TotalNumSgprs: 0
; NumVgprs: 0
; ScratchSize: 0
; MemoryBound: 0
; FloatMode: 240
; IeeeMode: 1
; LDSByteSize: 0 bytes/workgroup (compile time only)
; SGPRBlocks: 0
; VGPRBlocks: 0
; NumSGPRsForWavesPerEU: 1
; NumVGPRsForWavesPerEU: 1
; Occupancy: 16
; WaveLimiterHint : 0
; COMPUTE_PGM_RSRC2:SCRATCH_EN: 0
; COMPUTE_PGM_RSRC2:USER_SGPR: 6
; COMPUTE_PGM_RSRC2:TRAP_HANDLER: 0
; COMPUTE_PGM_RSRC2:TGID_X_EN: 1
; COMPUTE_PGM_RSRC2:TGID_Y_EN: 0
; COMPUTE_PGM_RSRC2:TGID_Z_EN: 0
; COMPUTE_PGM_RSRC2:TIDIG_COMP_CNT: 0
	.section	.text._ZN7rocprim17ROCPRIM_400000_NS6detail17trampoline_kernelINS0_14default_configENS1_27scan_by_key_config_selectorIiiEEZZNS1_16scan_by_key_implILNS1_25lookback_scan_determinismE0ELb0ES3_PKiN6hipcub16HIPCUB_304000_NS21ConstantInputIteratorIilEEPiiNSB_3SumENSB_8EqualityEiEE10hipError_tPvRmT2_T3_T4_T5_mT6_T7_P12ihipStream_tbENKUlT_T0_E_clISt17integral_constantIbLb1EESW_IbLb0EEEEDaSS_ST_EUlSS_E_NS1_11comp_targetILNS1_3genE10ELNS1_11target_archE1200ELNS1_3gpuE4ELNS1_3repE0EEENS1_30default_config_static_selectorELNS0_4arch9wavefront6targetE0EEEvT1_,"axG",@progbits,_ZN7rocprim17ROCPRIM_400000_NS6detail17trampoline_kernelINS0_14default_configENS1_27scan_by_key_config_selectorIiiEEZZNS1_16scan_by_key_implILNS1_25lookback_scan_determinismE0ELb0ES3_PKiN6hipcub16HIPCUB_304000_NS21ConstantInputIteratorIilEEPiiNSB_3SumENSB_8EqualityEiEE10hipError_tPvRmT2_T3_T4_T5_mT6_T7_P12ihipStream_tbENKUlT_T0_E_clISt17integral_constantIbLb1EESW_IbLb0EEEEDaSS_ST_EUlSS_E_NS1_11comp_targetILNS1_3genE10ELNS1_11target_archE1200ELNS1_3gpuE4ELNS1_3repE0EEENS1_30default_config_static_selectorELNS0_4arch9wavefront6targetE0EEEvT1_,comdat
	.protected	_ZN7rocprim17ROCPRIM_400000_NS6detail17trampoline_kernelINS0_14default_configENS1_27scan_by_key_config_selectorIiiEEZZNS1_16scan_by_key_implILNS1_25lookback_scan_determinismE0ELb0ES3_PKiN6hipcub16HIPCUB_304000_NS21ConstantInputIteratorIilEEPiiNSB_3SumENSB_8EqualityEiEE10hipError_tPvRmT2_T3_T4_T5_mT6_T7_P12ihipStream_tbENKUlT_T0_E_clISt17integral_constantIbLb1EESW_IbLb0EEEEDaSS_ST_EUlSS_E_NS1_11comp_targetILNS1_3genE10ELNS1_11target_archE1200ELNS1_3gpuE4ELNS1_3repE0EEENS1_30default_config_static_selectorELNS0_4arch9wavefront6targetE0EEEvT1_ ; -- Begin function _ZN7rocprim17ROCPRIM_400000_NS6detail17trampoline_kernelINS0_14default_configENS1_27scan_by_key_config_selectorIiiEEZZNS1_16scan_by_key_implILNS1_25lookback_scan_determinismE0ELb0ES3_PKiN6hipcub16HIPCUB_304000_NS21ConstantInputIteratorIilEEPiiNSB_3SumENSB_8EqualityEiEE10hipError_tPvRmT2_T3_T4_T5_mT6_T7_P12ihipStream_tbENKUlT_T0_E_clISt17integral_constantIbLb1EESW_IbLb0EEEEDaSS_ST_EUlSS_E_NS1_11comp_targetILNS1_3genE10ELNS1_11target_archE1200ELNS1_3gpuE4ELNS1_3repE0EEENS1_30default_config_static_selectorELNS0_4arch9wavefront6targetE0EEEvT1_
	.globl	_ZN7rocprim17ROCPRIM_400000_NS6detail17trampoline_kernelINS0_14default_configENS1_27scan_by_key_config_selectorIiiEEZZNS1_16scan_by_key_implILNS1_25lookback_scan_determinismE0ELb0ES3_PKiN6hipcub16HIPCUB_304000_NS21ConstantInputIteratorIilEEPiiNSB_3SumENSB_8EqualityEiEE10hipError_tPvRmT2_T3_T4_T5_mT6_T7_P12ihipStream_tbENKUlT_T0_E_clISt17integral_constantIbLb1EESW_IbLb0EEEEDaSS_ST_EUlSS_E_NS1_11comp_targetILNS1_3genE10ELNS1_11target_archE1200ELNS1_3gpuE4ELNS1_3repE0EEENS1_30default_config_static_selectorELNS0_4arch9wavefront6targetE0EEEvT1_
	.p2align	8
	.type	_ZN7rocprim17ROCPRIM_400000_NS6detail17trampoline_kernelINS0_14default_configENS1_27scan_by_key_config_selectorIiiEEZZNS1_16scan_by_key_implILNS1_25lookback_scan_determinismE0ELb0ES3_PKiN6hipcub16HIPCUB_304000_NS21ConstantInputIteratorIilEEPiiNSB_3SumENSB_8EqualityEiEE10hipError_tPvRmT2_T3_T4_T5_mT6_T7_P12ihipStream_tbENKUlT_T0_E_clISt17integral_constantIbLb1EESW_IbLb0EEEEDaSS_ST_EUlSS_E_NS1_11comp_targetILNS1_3genE10ELNS1_11target_archE1200ELNS1_3gpuE4ELNS1_3repE0EEENS1_30default_config_static_selectorELNS0_4arch9wavefront6targetE0EEEvT1_,@function
_ZN7rocprim17ROCPRIM_400000_NS6detail17trampoline_kernelINS0_14default_configENS1_27scan_by_key_config_selectorIiiEEZZNS1_16scan_by_key_implILNS1_25lookback_scan_determinismE0ELb0ES3_PKiN6hipcub16HIPCUB_304000_NS21ConstantInputIteratorIilEEPiiNSB_3SumENSB_8EqualityEiEE10hipError_tPvRmT2_T3_T4_T5_mT6_T7_P12ihipStream_tbENKUlT_T0_E_clISt17integral_constantIbLb1EESW_IbLb0EEEEDaSS_ST_EUlSS_E_NS1_11comp_targetILNS1_3genE10ELNS1_11target_archE1200ELNS1_3gpuE4ELNS1_3repE0EEENS1_30default_config_static_selectorELNS0_4arch9wavefront6targetE0EEEvT1_: ; @_ZN7rocprim17ROCPRIM_400000_NS6detail17trampoline_kernelINS0_14default_configENS1_27scan_by_key_config_selectorIiiEEZZNS1_16scan_by_key_implILNS1_25lookback_scan_determinismE0ELb0ES3_PKiN6hipcub16HIPCUB_304000_NS21ConstantInputIteratorIilEEPiiNSB_3SumENSB_8EqualityEiEE10hipError_tPvRmT2_T3_T4_T5_mT6_T7_P12ihipStream_tbENKUlT_T0_E_clISt17integral_constantIbLb1EESW_IbLb0EEEEDaSS_ST_EUlSS_E_NS1_11comp_targetILNS1_3genE10ELNS1_11target_archE1200ELNS1_3gpuE4ELNS1_3repE0EEENS1_30default_config_static_selectorELNS0_4arch9wavefront6targetE0EEEvT1_
; %bb.0:
	.section	.rodata,"a",@progbits
	.p2align	6, 0x0
	.amdhsa_kernel _ZN7rocprim17ROCPRIM_400000_NS6detail17trampoline_kernelINS0_14default_configENS1_27scan_by_key_config_selectorIiiEEZZNS1_16scan_by_key_implILNS1_25lookback_scan_determinismE0ELb0ES3_PKiN6hipcub16HIPCUB_304000_NS21ConstantInputIteratorIilEEPiiNSB_3SumENSB_8EqualityEiEE10hipError_tPvRmT2_T3_T4_T5_mT6_T7_P12ihipStream_tbENKUlT_T0_E_clISt17integral_constantIbLb1EESW_IbLb0EEEEDaSS_ST_EUlSS_E_NS1_11comp_targetILNS1_3genE10ELNS1_11target_archE1200ELNS1_3gpuE4ELNS1_3repE0EEENS1_30default_config_static_selectorELNS0_4arch9wavefront6targetE0EEEvT1_
		.amdhsa_group_segment_fixed_size 0
		.amdhsa_private_segment_fixed_size 0
		.amdhsa_kernarg_size 120
		.amdhsa_user_sgpr_count 6
		.amdhsa_user_sgpr_private_segment_buffer 1
		.amdhsa_user_sgpr_dispatch_ptr 0
		.amdhsa_user_sgpr_queue_ptr 0
		.amdhsa_user_sgpr_kernarg_segment_ptr 1
		.amdhsa_user_sgpr_dispatch_id 0
		.amdhsa_user_sgpr_flat_scratch_init 0
		.amdhsa_user_sgpr_private_segment_size 0
		.amdhsa_wavefront_size32 1
		.amdhsa_uses_dynamic_stack 0
		.amdhsa_system_sgpr_private_segment_wavefront_offset 0
		.amdhsa_system_sgpr_workgroup_id_x 1
		.amdhsa_system_sgpr_workgroup_id_y 0
		.amdhsa_system_sgpr_workgroup_id_z 0
		.amdhsa_system_sgpr_workgroup_info 0
		.amdhsa_system_vgpr_workitem_id 0
		.amdhsa_next_free_vgpr 1
		.amdhsa_next_free_sgpr 1
		.amdhsa_reserve_vcc 0
		.amdhsa_reserve_flat_scratch 0
		.amdhsa_float_round_mode_32 0
		.amdhsa_float_round_mode_16_64 0
		.amdhsa_float_denorm_mode_32 3
		.amdhsa_float_denorm_mode_16_64 3
		.amdhsa_dx10_clamp 1
		.amdhsa_ieee_mode 1
		.amdhsa_fp16_overflow 0
		.amdhsa_workgroup_processor_mode 1
		.amdhsa_memory_ordered 1
		.amdhsa_forward_progress 1
		.amdhsa_shared_vgpr_count 0
		.amdhsa_exception_fp_ieee_invalid_op 0
		.amdhsa_exception_fp_denorm_src 0
		.amdhsa_exception_fp_ieee_div_zero 0
		.amdhsa_exception_fp_ieee_overflow 0
		.amdhsa_exception_fp_ieee_underflow 0
		.amdhsa_exception_fp_ieee_inexact 0
		.amdhsa_exception_int_div_zero 0
	.end_amdhsa_kernel
	.section	.text._ZN7rocprim17ROCPRIM_400000_NS6detail17trampoline_kernelINS0_14default_configENS1_27scan_by_key_config_selectorIiiEEZZNS1_16scan_by_key_implILNS1_25lookback_scan_determinismE0ELb0ES3_PKiN6hipcub16HIPCUB_304000_NS21ConstantInputIteratorIilEEPiiNSB_3SumENSB_8EqualityEiEE10hipError_tPvRmT2_T3_T4_T5_mT6_T7_P12ihipStream_tbENKUlT_T0_E_clISt17integral_constantIbLb1EESW_IbLb0EEEEDaSS_ST_EUlSS_E_NS1_11comp_targetILNS1_3genE10ELNS1_11target_archE1200ELNS1_3gpuE4ELNS1_3repE0EEENS1_30default_config_static_selectorELNS0_4arch9wavefront6targetE0EEEvT1_,"axG",@progbits,_ZN7rocprim17ROCPRIM_400000_NS6detail17trampoline_kernelINS0_14default_configENS1_27scan_by_key_config_selectorIiiEEZZNS1_16scan_by_key_implILNS1_25lookback_scan_determinismE0ELb0ES3_PKiN6hipcub16HIPCUB_304000_NS21ConstantInputIteratorIilEEPiiNSB_3SumENSB_8EqualityEiEE10hipError_tPvRmT2_T3_T4_T5_mT6_T7_P12ihipStream_tbENKUlT_T0_E_clISt17integral_constantIbLb1EESW_IbLb0EEEEDaSS_ST_EUlSS_E_NS1_11comp_targetILNS1_3genE10ELNS1_11target_archE1200ELNS1_3gpuE4ELNS1_3repE0EEENS1_30default_config_static_selectorELNS0_4arch9wavefront6targetE0EEEvT1_,comdat
.Lfunc_end38:
	.size	_ZN7rocprim17ROCPRIM_400000_NS6detail17trampoline_kernelINS0_14default_configENS1_27scan_by_key_config_selectorIiiEEZZNS1_16scan_by_key_implILNS1_25lookback_scan_determinismE0ELb0ES3_PKiN6hipcub16HIPCUB_304000_NS21ConstantInputIteratorIilEEPiiNSB_3SumENSB_8EqualityEiEE10hipError_tPvRmT2_T3_T4_T5_mT6_T7_P12ihipStream_tbENKUlT_T0_E_clISt17integral_constantIbLb1EESW_IbLb0EEEEDaSS_ST_EUlSS_E_NS1_11comp_targetILNS1_3genE10ELNS1_11target_archE1200ELNS1_3gpuE4ELNS1_3repE0EEENS1_30default_config_static_selectorELNS0_4arch9wavefront6targetE0EEEvT1_, .Lfunc_end38-_ZN7rocprim17ROCPRIM_400000_NS6detail17trampoline_kernelINS0_14default_configENS1_27scan_by_key_config_selectorIiiEEZZNS1_16scan_by_key_implILNS1_25lookback_scan_determinismE0ELb0ES3_PKiN6hipcub16HIPCUB_304000_NS21ConstantInputIteratorIilEEPiiNSB_3SumENSB_8EqualityEiEE10hipError_tPvRmT2_T3_T4_T5_mT6_T7_P12ihipStream_tbENKUlT_T0_E_clISt17integral_constantIbLb1EESW_IbLb0EEEEDaSS_ST_EUlSS_E_NS1_11comp_targetILNS1_3genE10ELNS1_11target_archE1200ELNS1_3gpuE4ELNS1_3repE0EEENS1_30default_config_static_selectorELNS0_4arch9wavefront6targetE0EEEvT1_
                                        ; -- End function
	.set _ZN7rocprim17ROCPRIM_400000_NS6detail17trampoline_kernelINS0_14default_configENS1_27scan_by_key_config_selectorIiiEEZZNS1_16scan_by_key_implILNS1_25lookback_scan_determinismE0ELb0ES3_PKiN6hipcub16HIPCUB_304000_NS21ConstantInputIteratorIilEEPiiNSB_3SumENSB_8EqualityEiEE10hipError_tPvRmT2_T3_T4_T5_mT6_T7_P12ihipStream_tbENKUlT_T0_E_clISt17integral_constantIbLb1EESW_IbLb0EEEEDaSS_ST_EUlSS_E_NS1_11comp_targetILNS1_3genE10ELNS1_11target_archE1200ELNS1_3gpuE4ELNS1_3repE0EEENS1_30default_config_static_selectorELNS0_4arch9wavefront6targetE0EEEvT1_.num_vgpr, 0
	.set _ZN7rocprim17ROCPRIM_400000_NS6detail17trampoline_kernelINS0_14default_configENS1_27scan_by_key_config_selectorIiiEEZZNS1_16scan_by_key_implILNS1_25lookback_scan_determinismE0ELb0ES3_PKiN6hipcub16HIPCUB_304000_NS21ConstantInputIteratorIilEEPiiNSB_3SumENSB_8EqualityEiEE10hipError_tPvRmT2_T3_T4_T5_mT6_T7_P12ihipStream_tbENKUlT_T0_E_clISt17integral_constantIbLb1EESW_IbLb0EEEEDaSS_ST_EUlSS_E_NS1_11comp_targetILNS1_3genE10ELNS1_11target_archE1200ELNS1_3gpuE4ELNS1_3repE0EEENS1_30default_config_static_selectorELNS0_4arch9wavefront6targetE0EEEvT1_.num_agpr, 0
	.set _ZN7rocprim17ROCPRIM_400000_NS6detail17trampoline_kernelINS0_14default_configENS1_27scan_by_key_config_selectorIiiEEZZNS1_16scan_by_key_implILNS1_25lookback_scan_determinismE0ELb0ES3_PKiN6hipcub16HIPCUB_304000_NS21ConstantInputIteratorIilEEPiiNSB_3SumENSB_8EqualityEiEE10hipError_tPvRmT2_T3_T4_T5_mT6_T7_P12ihipStream_tbENKUlT_T0_E_clISt17integral_constantIbLb1EESW_IbLb0EEEEDaSS_ST_EUlSS_E_NS1_11comp_targetILNS1_3genE10ELNS1_11target_archE1200ELNS1_3gpuE4ELNS1_3repE0EEENS1_30default_config_static_selectorELNS0_4arch9wavefront6targetE0EEEvT1_.numbered_sgpr, 0
	.set _ZN7rocprim17ROCPRIM_400000_NS6detail17trampoline_kernelINS0_14default_configENS1_27scan_by_key_config_selectorIiiEEZZNS1_16scan_by_key_implILNS1_25lookback_scan_determinismE0ELb0ES3_PKiN6hipcub16HIPCUB_304000_NS21ConstantInputIteratorIilEEPiiNSB_3SumENSB_8EqualityEiEE10hipError_tPvRmT2_T3_T4_T5_mT6_T7_P12ihipStream_tbENKUlT_T0_E_clISt17integral_constantIbLb1EESW_IbLb0EEEEDaSS_ST_EUlSS_E_NS1_11comp_targetILNS1_3genE10ELNS1_11target_archE1200ELNS1_3gpuE4ELNS1_3repE0EEENS1_30default_config_static_selectorELNS0_4arch9wavefront6targetE0EEEvT1_.num_named_barrier, 0
	.set _ZN7rocprim17ROCPRIM_400000_NS6detail17trampoline_kernelINS0_14default_configENS1_27scan_by_key_config_selectorIiiEEZZNS1_16scan_by_key_implILNS1_25lookback_scan_determinismE0ELb0ES3_PKiN6hipcub16HIPCUB_304000_NS21ConstantInputIteratorIilEEPiiNSB_3SumENSB_8EqualityEiEE10hipError_tPvRmT2_T3_T4_T5_mT6_T7_P12ihipStream_tbENKUlT_T0_E_clISt17integral_constantIbLb1EESW_IbLb0EEEEDaSS_ST_EUlSS_E_NS1_11comp_targetILNS1_3genE10ELNS1_11target_archE1200ELNS1_3gpuE4ELNS1_3repE0EEENS1_30default_config_static_selectorELNS0_4arch9wavefront6targetE0EEEvT1_.private_seg_size, 0
	.set _ZN7rocprim17ROCPRIM_400000_NS6detail17trampoline_kernelINS0_14default_configENS1_27scan_by_key_config_selectorIiiEEZZNS1_16scan_by_key_implILNS1_25lookback_scan_determinismE0ELb0ES3_PKiN6hipcub16HIPCUB_304000_NS21ConstantInputIteratorIilEEPiiNSB_3SumENSB_8EqualityEiEE10hipError_tPvRmT2_T3_T4_T5_mT6_T7_P12ihipStream_tbENKUlT_T0_E_clISt17integral_constantIbLb1EESW_IbLb0EEEEDaSS_ST_EUlSS_E_NS1_11comp_targetILNS1_3genE10ELNS1_11target_archE1200ELNS1_3gpuE4ELNS1_3repE0EEENS1_30default_config_static_selectorELNS0_4arch9wavefront6targetE0EEEvT1_.uses_vcc, 0
	.set _ZN7rocprim17ROCPRIM_400000_NS6detail17trampoline_kernelINS0_14default_configENS1_27scan_by_key_config_selectorIiiEEZZNS1_16scan_by_key_implILNS1_25lookback_scan_determinismE0ELb0ES3_PKiN6hipcub16HIPCUB_304000_NS21ConstantInputIteratorIilEEPiiNSB_3SumENSB_8EqualityEiEE10hipError_tPvRmT2_T3_T4_T5_mT6_T7_P12ihipStream_tbENKUlT_T0_E_clISt17integral_constantIbLb1EESW_IbLb0EEEEDaSS_ST_EUlSS_E_NS1_11comp_targetILNS1_3genE10ELNS1_11target_archE1200ELNS1_3gpuE4ELNS1_3repE0EEENS1_30default_config_static_selectorELNS0_4arch9wavefront6targetE0EEEvT1_.uses_flat_scratch, 0
	.set _ZN7rocprim17ROCPRIM_400000_NS6detail17trampoline_kernelINS0_14default_configENS1_27scan_by_key_config_selectorIiiEEZZNS1_16scan_by_key_implILNS1_25lookback_scan_determinismE0ELb0ES3_PKiN6hipcub16HIPCUB_304000_NS21ConstantInputIteratorIilEEPiiNSB_3SumENSB_8EqualityEiEE10hipError_tPvRmT2_T3_T4_T5_mT6_T7_P12ihipStream_tbENKUlT_T0_E_clISt17integral_constantIbLb1EESW_IbLb0EEEEDaSS_ST_EUlSS_E_NS1_11comp_targetILNS1_3genE10ELNS1_11target_archE1200ELNS1_3gpuE4ELNS1_3repE0EEENS1_30default_config_static_selectorELNS0_4arch9wavefront6targetE0EEEvT1_.has_dyn_sized_stack, 0
	.set _ZN7rocprim17ROCPRIM_400000_NS6detail17trampoline_kernelINS0_14default_configENS1_27scan_by_key_config_selectorIiiEEZZNS1_16scan_by_key_implILNS1_25lookback_scan_determinismE0ELb0ES3_PKiN6hipcub16HIPCUB_304000_NS21ConstantInputIteratorIilEEPiiNSB_3SumENSB_8EqualityEiEE10hipError_tPvRmT2_T3_T4_T5_mT6_T7_P12ihipStream_tbENKUlT_T0_E_clISt17integral_constantIbLb1EESW_IbLb0EEEEDaSS_ST_EUlSS_E_NS1_11comp_targetILNS1_3genE10ELNS1_11target_archE1200ELNS1_3gpuE4ELNS1_3repE0EEENS1_30default_config_static_selectorELNS0_4arch9wavefront6targetE0EEEvT1_.has_recursion, 0
	.set _ZN7rocprim17ROCPRIM_400000_NS6detail17trampoline_kernelINS0_14default_configENS1_27scan_by_key_config_selectorIiiEEZZNS1_16scan_by_key_implILNS1_25lookback_scan_determinismE0ELb0ES3_PKiN6hipcub16HIPCUB_304000_NS21ConstantInputIteratorIilEEPiiNSB_3SumENSB_8EqualityEiEE10hipError_tPvRmT2_T3_T4_T5_mT6_T7_P12ihipStream_tbENKUlT_T0_E_clISt17integral_constantIbLb1EESW_IbLb0EEEEDaSS_ST_EUlSS_E_NS1_11comp_targetILNS1_3genE10ELNS1_11target_archE1200ELNS1_3gpuE4ELNS1_3repE0EEENS1_30default_config_static_selectorELNS0_4arch9wavefront6targetE0EEEvT1_.has_indirect_call, 0
	.section	.AMDGPU.csdata,"",@progbits
; Kernel info:
; codeLenInByte = 0
; TotalNumSgprs: 0
; NumVgprs: 0
; ScratchSize: 0
; MemoryBound: 0
; FloatMode: 240
; IeeeMode: 1
; LDSByteSize: 0 bytes/workgroup (compile time only)
; SGPRBlocks: 0
; VGPRBlocks: 0
; NumSGPRsForWavesPerEU: 1
; NumVGPRsForWavesPerEU: 1
; Occupancy: 16
; WaveLimiterHint : 0
; COMPUTE_PGM_RSRC2:SCRATCH_EN: 0
; COMPUTE_PGM_RSRC2:USER_SGPR: 6
; COMPUTE_PGM_RSRC2:TRAP_HANDLER: 0
; COMPUTE_PGM_RSRC2:TGID_X_EN: 1
; COMPUTE_PGM_RSRC2:TGID_Y_EN: 0
; COMPUTE_PGM_RSRC2:TGID_Z_EN: 0
; COMPUTE_PGM_RSRC2:TIDIG_COMP_CNT: 0
	.section	.text._ZN7rocprim17ROCPRIM_400000_NS6detail17trampoline_kernelINS0_14default_configENS1_27scan_by_key_config_selectorIiiEEZZNS1_16scan_by_key_implILNS1_25lookback_scan_determinismE0ELb0ES3_PKiN6hipcub16HIPCUB_304000_NS21ConstantInputIteratorIilEEPiiNSB_3SumENSB_8EqualityEiEE10hipError_tPvRmT2_T3_T4_T5_mT6_T7_P12ihipStream_tbENKUlT_T0_E_clISt17integral_constantIbLb1EESW_IbLb0EEEEDaSS_ST_EUlSS_E_NS1_11comp_targetILNS1_3genE9ELNS1_11target_archE1100ELNS1_3gpuE3ELNS1_3repE0EEENS1_30default_config_static_selectorELNS0_4arch9wavefront6targetE0EEEvT1_,"axG",@progbits,_ZN7rocprim17ROCPRIM_400000_NS6detail17trampoline_kernelINS0_14default_configENS1_27scan_by_key_config_selectorIiiEEZZNS1_16scan_by_key_implILNS1_25lookback_scan_determinismE0ELb0ES3_PKiN6hipcub16HIPCUB_304000_NS21ConstantInputIteratorIilEEPiiNSB_3SumENSB_8EqualityEiEE10hipError_tPvRmT2_T3_T4_T5_mT6_T7_P12ihipStream_tbENKUlT_T0_E_clISt17integral_constantIbLb1EESW_IbLb0EEEEDaSS_ST_EUlSS_E_NS1_11comp_targetILNS1_3genE9ELNS1_11target_archE1100ELNS1_3gpuE3ELNS1_3repE0EEENS1_30default_config_static_selectorELNS0_4arch9wavefront6targetE0EEEvT1_,comdat
	.protected	_ZN7rocprim17ROCPRIM_400000_NS6detail17trampoline_kernelINS0_14default_configENS1_27scan_by_key_config_selectorIiiEEZZNS1_16scan_by_key_implILNS1_25lookback_scan_determinismE0ELb0ES3_PKiN6hipcub16HIPCUB_304000_NS21ConstantInputIteratorIilEEPiiNSB_3SumENSB_8EqualityEiEE10hipError_tPvRmT2_T3_T4_T5_mT6_T7_P12ihipStream_tbENKUlT_T0_E_clISt17integral_constantIbLb1EESW_IbLb0EEEEDaSS_ST_EUlSS_E_NS1_11comp_targetILNS1_3genE9ELNS1_11target_archE1100ELNS1_3gpuE3ELNS1_3repE0EEENS1_30default_config_static_selectorELNS0_4arch9wavefront6targetE0EEEvT1_ ; -- Begin function _ZN7rocprim17ROCPRIM_400000_NS6detail17trampoline_kernelINS0_14default_configENS1_27scan_by_key_config_selectorIiiEEZZNS1_16scan_by_key_implILNS1_25lookback_scan_determinismE0ELb0ES3_PKiN6hipcub16HIPCUB_304000_NS21ConstantInputIteratorIilEEPiiNSB_3SumENSB_8EqualityEiEE10hipError_tPvRmT2_T3_T4_T5_mT6_T7_P12ihipStream_tbENKUlT_T0_E_clISt17integral_constantIbLb1EESW_IbLb0EEEEDaSS_ST_EUlSS_E_NS1_11comp_targetILNS1_3genE9ELNS1_11target_archE1100ELNS1_3gpuE3ELNS1_3repE0EEENS1_30default_config_static_selectorELNS0_4arch9wavefront6targetE0EEEvT1_
	.globl	_ZN7rocprim17ROCPRIM_400000_NS6detail17trampoline_kernelINS0_14default_configENS1_27scan_by_key_config_selectorIiiEEZZNS1_16scan_by_key_implILNS1_25lookback_scan_determinismE0ELb0ES3_PKiN6hipcub16HIPCUB_304000_NS21ConstantInputIteratorIilEEPiiNSB_3SumENSB_8EqualityEiEE10hipError_tPvRmT2_T3_T4_T5_mT6_T7_P12ihipStream_tbENKUlT_T0_E_clISt17integral_constantIbLb1EESW_IbLb0EEEEDaSS_ST_EUlSS_E_NS1_11comp_targetILNS1_3genE9ELNS1_11target_archE1100ELNS1_3gpuE3ELNS1_3repE0EEENS1_30default_config_static_selectorELNS0_4arch9wavefront6targetE0EEEvT1_
	.p2align	8
	.type	_ZN7rocprim17ROCPRIM_400000_NS6detail17trampoline_kernelINS0_14default_configENS1_27scan_by_key_config_selectorIiiEEZZNS1_16scan_by_key_implILNS1_25lookback_scan_determinismE0ELb0ES3_PKiN6hipcub16HIPCUB_304000_NS21ConstantInputIteratorIilEEPiiNSB_3SumENSB_8EqualityEiEE10hipError_tPvRmT2_T3_T4_T5_mT6_T7_P12ihipStream_tbENKUlT_T0_E_clISt17integral_constantIbLb1EESW_IbLb0EEEEDaSS_ST_EUlSS_E_NS1_11comp_targetILNS1_3genE9ELNS1_11target_archE1100ELNS1_3gpuE3ELNS1_3repE0EEENS1_30default_config_static_selectorELNS0_4arch9wavefront6targetE0EEEvT1_,@function
_ZN7rocprim17ROCPRIM_400000_NS6detail17trampoline_kernelINS0_14default_configENS1_27scan_by_key_config_selectorIiiEEZZNS1_16scan_by_key_implILNS1_25lookback_scan_determinismE0ELb0ES3_PKiN6hipcub16HIPCUB_304000_NS21ConstantInputIteratorIilEEPiiNSB_3SumENSB_8EqualityEiEE10hipError_tPvRmT2_T3_T4_T5_mT6_T7_P12ihipStream_tbENKUlT_T0_E_clISt17integral_constantIbLb1EESW_IbLb0EEEEDaSS_ST_EUlSS_E_NS1_11comp_targetILNS1_3genE9ELNS1_11target_archE1100ELNS1_3gpuE3ELNS1_3repE0EEENS1_30default_config_static_selectorELNS0_4arch9wavefront6targetE0EEEvT1_: ; @_ZN7rocprim17ROCPRIM_400000_NS6detail17trampoline_kernelINS0_14default_configENS1_27scan_by_key_config_selectorIiiEEZZNS1_16scan_by_key_implILNS1_25lookback_scan_determinismE0ELb0ES3_PKiN6hipcub16HIPCUB_304000_NS21ConstantInputIteratorIilEEPiiNSB_3SumENSB_8EqualityEiEE10hipError_tPvRmT2_T3_T4_T5_mT6_T7_P12ihipStream_tbENKUlT_T0_E_clISt17integral_constantIbLb1EESW_IbLb0EEEEDaSS_ST_EUlSS_E_NS1_11comp_targetILNS1_3genE9ELNS1_11target_archE1100ELNS1_3gpuE3ELNS1_3repE0EEENS1_30default_config_static_selectorELNS0_4arch9wavefront6targetE0EEEvT1_
; %bb.0:
	.section	.rodata,"a",@progbits
	.p2align	6, 0x0
	.amdhsa_kernel _ZN7rocprim17ROCPRIM_400000_NS6detail17trampoline_kernelINS0_14default_configENS1_27scan_by_key_config_selectorIiiEEZZNS1_16scan_by_key_implILNS1_25lookback_scan_determinismE0ELb0ES3_PKiN6hipcub16HIPCUB_304000_NS21ConstantInputIteratorIilEEPiiNSB_3SumENSB_8EqualityEiEE10hipError_tPvRmT2_T3_T4_T5_mT6_T7_P12ihipStream_tbENKUlT_T0_E_clISt17integral_constantIbLb1EESW_IbLb0EEEEDaSS_ST_EUlSS_E_NS1_11comp_targetILNS1_3genE9ELNS1_11target_archE1100ELNS1_3gpuE3ELNS1_3repE0EEENS1_30default_config_static_selectorELNS0_4arch9wavefront6targetE0EEEvT1_
		.amdhsa_group_segment_fixed_size 0
		.amdhsa_private_segment_fixed_size 0
		.amdhsa_kernarg_size 120
		.amdhsa_user_sgpr_count 6
		.amdhsa_user_sgpr_private_segment_buffer 1
		.amdhsa_user_sgpr_dispatch_ptr 0
		.amdhsa_user_sgpr_queue_ptr 0
		.amdhsa_user_sgpr_kernarg_segment_ptr 1
		.amdhsa_user_sgpr_dispatch_id 0
		.amdhsa_user_sgpr_flat_scratch_init 0
		.amdhsa_user_sgpr_private_segment_size 0
		.amdhsa_wavefront_size32 1
		.amdhsa_uses_dynamic_stack 0
		.amdhsa_system_sgpr_private_segment_wavefront_offset 0
		.amdhsa_system_sgpr_workgroup_id_x 1
		.amdhsa_system_sgpr_workgroup_id_y 0
		.amdhsa_system_sgpr_workgroup_id_z 0
		.amdhsa_system_sgpr_workgroup_info 0
		.amdhsa_system_vgpr_workitem_id 0
		.amdhsa_next_free_vgpr 1
		.amdhsa_next_free_sgpr 1
		.amdhsa_reserve_vcc 0
		.amdhsa_reserve_flat_scratch 0
		.amdhsa_float_round_mode_32 0
		.amdhsa_float_round_mode_16_64 0
		.amdhsa_float_denorm_mode_32 3
		.amdhsa_float_denorm_mode_16_64 3
		.amdhsa_dx10_clamp 1
		.amdhsa_ieee_mode 1
		.amdhsa_fp16_overflow 0
		.amdhsa_workgroup_processor_mode 1
		.amdhsa_memory_ordered 1
		.amdhsa_forward_progress 1
		.amdhsa_shared_vgpr_count 0
		.amdhsa_exception_fp_ieee_invalid_op 0
		.amdhsa_exception_fp_denorm_src 0
		.amdhsa_exception_fp_ieee_div_zero 0
		.amdhsa_exception_fp_ieee_overflow 0
		.amdhsa_exception_fp_ieee_underflow 0
		.amdhsa_exception_fp_ieee_inexact 0
		.amdhsa_exception_int_div_zero 0
	.end_amdhsa_kernel
	.section	.text._ZN7rocprim17ROCPRIM_400000_NS6detail17trampoline_kernelINS0_14default_configENS1_27scan_by_key_config_selectorIiiEEZZNS1_16scan_by_key_implILNS1_25lookback_scan_determinismE0ELb0ES3_PKiN6hipcub16HIPCUB_304000_NS21ConstantInputIteratorIilEEPiiNSB_3SumENSB_8EqualityEiEE10hipError_tPvRmT2_T3_T4_T5_mT6_T7_P12ihipStream_tbENKUlT_T0_E_clISt17integral_constantIbLb1EESW_IbLb0EEEEDaSS_ST_EUlSS_E_NS1_11comp_targetILNS1_3genE9ELNS1_11target_archE1100ELNS1_3gpuE3ELNS1_3repE0EEENS1_30default_config_static_selectorELNS0_4arch9wavefront6targetE0EEEvT1_,"axG",@progbits,_ZN7rocprim17ROCPRIM_400000_NS6detail17trampoline_kernelINS0_14default_configENS1_27scan_by_key_config_selectorIiiEEZZNS1_16scan_by_key_implILNS1_25lookback_scan_determinismE0ELb0ES3_PKiN6hipcub16HIPCUB_304000_NS21ConstantInputIteratorIilEEPiiNSB_3SumENSB_8EqualityEiEE10hipError_tPvRmT2_T3_T4_T5_mT6_T7_P12ihipStream_tbENKUlT_T0_E_clISt17integral_constantIbLb1EESW_IbLb0EEEEDaSS_ST_EUlSS_E_NS1_11comp_targetILNS1_3genE9ELNS1_11target_archE1100ELNS1_3gpuE3ELNS1_3repE0EEENS1_30default_config_static_selectorELNS0_4arch9wavefront6targetE0EEEvT1_,comdat
.Lfunc_end39:
	.size	_ZN7rocprim17ROCPRIM_400000_NS6detail17trampoline_kernelINS0_14default_configENS1_27scan_by_key_config_selectorIiiEEZZNS1_16scan_by_key_implILNS1_25lookback_scan_determinismE0ELb0ES3_PKiN6hipcub16HIPCUB_304000_NS21ConstantInputIteratorIilEEPiiNSB_3SumENSB_8EqualityEiEE10hipError_tPvRmT2_T3_T4_T5_mT6_T7_P12ihipStream_tbENKUlT_T0_E_clISt17integral_constantIbLb1EESW_IbLb0EEEEDaSS_ST_EUlSS_E_NS1_11comp_targetILNS1_3genE9ELNS1_11target_archE1100ELNS1_3gpuE3ELNS1_3repE0EEENS1_30default_config_static_selectorELNS0_4arch9wavefront6targetE0EEEvT1_, .Lfunc_end39-_ZN7rocprim17ROCPRIM_400000_NS6detail17trampoline_kernelINS0_14default_configENS1_27scan_by_key_config_selectorIiiEEZZNS1_16scan_by_key_implILNS1_25lookback_scan_determinismE0ELb0ES3_PKiN6hipcub16HIPCUB_304000_NS21ConstantInputIteratorIilEEPiiNSB_3SumENSB_8EqualityEiEE10hipError_tPvRmT2_T3_T4_T5_mT6_T7_P12ihipStream_tbENKUlT_T0_E_clISt17integral_constantIbLb1EESW_IbLb0EEEEDaSS_ST_EUlSS_E_NS1_11comp_targetILNS1_3genE9ELNS1_11target_archE1100ELNS1_3gpuE3ELNS1_3repE0EEENS1_30default_config_static_selectorELNS0_4arch9wavefront6targetE0EEEvT1_
                                        ; -- End function
	.set _ZN7rocprim17ROCPRIM_400000_NS6detail17trampoline_kernelINS0_14default_configENS1_27scan_by_key_config_selectorIiiEEZZNS1_16scan_by_key_implILNS1_25lookback_scan_determinismE0ELb0ES3_PKiN6hipcub16HIPCUB_304000_NS21ConstantInputIteratorIilEEPiiNSB_3SumENSB_8EqualityEiEE10hipError_tPvRmT2_T3_T4_T5_mT6_T7_P12ihipStream_tbENKUlT_T0_E_clISt17integral_constantIbLb1EESW_IbLb0EEEEDaSS_ST_EUlSS_E_NS1_11comp_targetILNS1_3genE9ELNS1_11target_archE1100ELNS1_3gpuE3ELNS1_3repE0EEENS1_30default_config_static_selectorELNS0_4arch9wavefront6targetE0EEEvT1_.num_vgpr, 0
	.set _ZN7rocprim17ROCPRIM_400000_NS6detail17trampoline_kernelINS0_14default_configENS1_27scan_by_key_config_selectorIiiEEZZNS1_16scan_by_key_implILNS1_25lookback_scan_determinismE0ELb0ES3_PKiN6hipcub16HIPCUB_304000_NS21ConstantInputIteratorIilEEPiiNSB_3SumENSB_8EqualityEiEE10hipError_tPvRmT2_T3_T4_T5_mT6_T7_P12ihipStream_tbENKUlT_T0_E_clISt17integral_constantIbLb1EESW_IbLb0EEEEDaSS_ST_EUlSS_E_NS1_11comp_targetILNS1_3genE9ELNS1_11target_archE1100ELNS1_3gpuE3ELNS1_3repE0EEENS1_30default_config_static_selectorELNS0_4arch9wavefront6targetE0EEEvT1_.num_agpr, 0
	.set _ZN7rocprim17ROCPRIM_400000_NS6detail17trampoline_kernelINS0_14default_configENS1_27scan_by_key_config_selectorIiiEEZZNS1_16scan_by_key_implILNS1_25lookback_scan_determinismE0ELb0ES3_PKiN6hipcub16HIPCUB_304000_NS21ConstantInputIteratorIilEEPiiNSB_3SumENSB_8EqualityEiEE10hipError_tPvRmT2_T3_T4_T5_mT6_T7_P12ihipStream_tbENKUlT_T0_E_clISt17integral_constantIbLb1EESW_IbLb0EEEEDaSS_ST_EUlSS_E_NS1_11comp_targetILNS1_3genE9ELNS1_11target_archE1100ELNS1_3gpuE3ELNS1_3repE0EEENS1_30default_config_static_selectorELNS0_4arch9wavefront6targetE0EEEvT1_.numbered_sgpr, 0
	.set _ZN7rocprim17ROCPRIM_400000_NS6detail17trampoline_kernelINS0_14default_configENS1_27scan_by_key_config_selectorIiiEEZZNS1_16scan_by_key_implILNS1_25lookback_scan_determinismE0ELb0ES3_PKiN6hipcub16HIPCUB_304000_NS21ConstantInputIteratorIilEEPiiNSB_3SumENSB_8EqualityEiEE10hipError_tPvRmT2_T3_T4_T5_mT6_T7_P12ihipStream_tbENKUlT_T0_E_clISt17integral_constantIbLb1EESW_IbLb0EEEEDaSS_ST_EUlSS_E_NS1_11comp_targetILNS1_3genE9ELNS1_11target_archE1100ELNS1_3gpuE3ELNS1_3repE0EEENS1_30default_config_static_selectorELNS0_4arch9wavefront6targetE0EEEvT1_.num_named_barrier, 0
	.set _ZN7rocprim17ROCPRIM_400000_NS6detail17trampoline_kernelINS0_14default_configENS1_27scan_by_key_config_selectorIiiEEZZNS1_16scan_by_key_implILNS1_25lookback_scan_determinismE0ELb0ES3_PKiN6hipcub16HIPCUB_304000_NS21ConstantInputIteratorIilEEPiiNSB_3SumENSB_8EqualityEiEE10hipError_tPvRmT2_T3_T4_T5_mT6_T7_P12ihipStream_tbENKUlT_T0_E_clISt17integral_constantIbLb1EESW_IbLb0EEEEDaSS_ST_EUlSS_E_NS1_11comp_targetILNS1_3genE9ELNS1_11target_archE1100ELNS1_3gpuE3ELNS1_3repE0EEENS1_30default_config_static_selectorELNS0_4arch9wavefront6targetE0EEEvT1_.private_seg_size, 0
	.set _ZN7rocprim17ROCPRIM_400000_NS6detail17trampoline_kernelINS0_14default_configENS1_27scan_by_key_config_selectorIiiEEZZNS1_16scan_by_key_implILNS1_25lookback_scan_determinismE0ELb0ES3_PKiN6hipcub16HIPCUB_304000_NS21ConstantInputIteratorIilEEPiiNSB_3SumENSB_8EqualityEiEE10hipError_tPvRmT2_T3_T4_T5_mT6_T7_P12ihipStream_tbENKUlT_T0_E_clISt17integral_constantIbLb1EESW_IbLb0EEEEDaSS_ST_EUlSS_E_NS1_11comp_targetILNS1_3genE9ELNS1_11target_archE1100ELNS1_3gpuE3ELNS1_3repE0EEENS1_30default_config_static_selectorELNS0_4arch9wavefront6targetE0EEEvT1_.uses_vcc, 0
	.set _ZN7rocprim17ROCPRIM_400000_NS6detail17trampoline_kernelINS0_14default_configENS1_27scan_by_key_config_selectorIiiEEZZNS1_16scan_by_key_implILNS1_25lookback_scan_determinismE0ELb0ES3_PKiN6hipcub16HIPCUB_304000_NS21ConstantInputIteratorIilEEPiiNSB_3SumENSB_8EqualityEiEE10hipError_tPvRmT2_T3_T4_T5_mT6_T7_P12ihipStream_tbENKUlT_T0_E_clISt17integral_constantIbLb1EESW_IbLb0EEEEDaSS_ST_EUlSS_E_NS1_11comp_targetILNS1_3genE9ELNS1_11target_archE1100ELNS1_3gpuE3ELNS1_3repE0EEENS1_30default_config_static_selectorELNS0_4arch9wavefront6targetE0EEEvT1_.uses_flat_scratch, 0
	.set _ZN7rocprim17ROCPRIM_400000_NS6detail17trampoline_kernelINS0_14default_configENS1_27scan_by_key_config_selectorIiiEEZZNS1_16scan_by_key_implILNS1_25lookback_scan_determinismE0ELb0ES3_PKiN6hipcub16HIPCUB_304000_NS21ConstantInputIteratorIilEEPiiNSB_3SumENSB_8EqualityEiEE10hipError_tPvRmT2_T3_T4_T5_mT6_T7_P12ihipStream_tbENKUlT_T0_E_clISt17integral_constantIbLb1EESW_IbLb0EEEEDaSS_ST_EUlSS_E_NS1_11comp_targetILNS1_3genE9ELNS1_11target_archE1100ELNS1_3gpuE3ELNS1_3repE0EEENS1_30default_config_static_selectorELNS0_4arch9wavefront6targetE0EEEvT1_.has_dyn_sized_stack, 0
	.set _ZN7rocprim17ROCPRIM_400000_NS6detail17trampoline_kernelINS0_14default_configENS1_27scan_by_key_config_selectorIiiEEZZNS1_16scan_by_key_implILNS1_25lookback_scan_determinismE0ELb0ES3_PKiN6hipcub16HIPCUB_304000_NS21ConstantInputIteratorIilEEPiiNSB_3SumENSB_8EqualityEiEE10hipError_tPvRmT2_T3_T4_T5_mT6_T7_P12ihipStream_tbENKUlT_T0_E_clISt17integral_constantIbLb1EESW_IbLb0EEEEDaSS_ST_EUlSS_E_NS1_11comp_targetILNS1_3genE9ELNS1_11target_archE1100ELNS1_3gpuE3ELNS1_3repE0EEENS1_30default_config_static_selectorELNS0_4arch9wavefront6targetE0EEEvT1_.has_recursion, 0
	.set _ZN7rocprim17ROCPRIM_400000_NS6detail17trampoline_kernelINS0_14default_configENS1_27scan_by_key_config_selectorIiiEEZZNS1_16scan_by_key_implILNS1_25lookback_scan_determinismE0ELb0ES3_PKiN6hipcub16HIPCUB_304000_NS21ConstantInputIteratorIilEEPiiNSB_3SumENSB_8EqualityEiEE10hipError_tPvRmT2_T3_T4_T5_mT6_T7_P12ihipStream_tbENKUlT_T0_E_clISt17integral_constantIbLb1EESW_IbLb0EEEEDaSS_ST_EUlSS_E_NS1_11comp_targetILNS1_3genE9ELNS1_11target_archE1100ELNS1_3gpuE3ELNS1_3repE0EEENS1_30default_config_static_selectorELNS0_4arch9wavefront6targetE0EEEvT1_.has_indirect_call, 0
	.section	.AMDGPU.csdata,"",@progbits
; Kernel info:
; codeLenInByte = 0
; TotalNumSgprs: 0
; NumVgprs: 0
; ScratchSize: 0
; MemoryBound: 0
; FloatMode: 240
; IeeeMode: 1
; LDSByteSize: 0 bytes/workgroup (compile time only)
; SGPRBlocks: 0
; VGPRBlocks: 0
; NumSGPRsForWavesPerEU: 1
; NumVGPRsForWavesPerEU: 1
; Occupancy: 16
; WaveLimiterHint : 0
; COMPUTE_PGM_RSRC2:SCRATCH_EN: 0
; COMPUTE_PGM_RSRC2:USER_SGPR: 6
; COMPUTE_PGM_RSRC2:TRAP_HANDLER: 0
; COMPUTE_PGM_RSRC2:TGID_X_EN: 1
; COMPUTE_PGM_RSRC2:TGID_Y_EN: 0
; COMPUTE_PGM_RSRC2:TGID_Z_EN: 0
; COMPUTE_PGM_RSRC2:TIDIG_COMP_CNT: 0
	.section	.text._ZN7rocprim17ROCPRIM_400000_NS6detail17trampoline_kernelINS0_14default_configENS1_27scan_by_key_config_selectorIiiEEZZNS1_16scan_by_key_implILNS1_25lookback_scan_determinismE0ELb0ES3_PKiN6hipcub16HIPCUB_304000_NS21ConstantInputIteratorIilEEPiiNSB_3SumENSB_8EqualityEiEE10hipError_tPvRmT2_T3_T4_T5_mT6_T7_P12ihipStream_tbENKUlT_T0_E_clISt17integral_constantIbLb1EESW_IbLb0EEEEDaSS_ST_EUlSS_E_NS1_11comp_targetILNS1_3genE8ELNS1_11target_archE1030ELNS1_3gpuE2ELNS1_3repE0EEENS1_30default_config_static_selectorELNS0_4arch9wavefront6targetE0EEEvT1_,"axG",@progbits,_ZN7rocprim17ROCPRIM_400000_NS6detail17trampoline_kernelINS0_14default_configENS1_27scan_by_key_config_selectorIiiEEZZNS1_16scan_by_key_implILNS1_25lookback_scan_determinismE0ELb0ES3_PKiN6hipcub16HIPCUB_304000_NS21ConstantInputIteratorIilEEPiiNSB_3SumENSB_8EqualityEiEE10hipError_tPvRmT2_T3_T4_T5_mT6_T7_P12ihipStream_tbENKUlT_T0_E_clISt17integral_constantIbLb1EESW_IbLb0EEEEDaSS_ST_EUlSS_E_NS1_11comp_targetILNS1_3genE8ELNS1_11target_archE1030ELNS1_3gpuE2ELNS1_3repE0EEENS1_30default_config_static_selectorELNS0_4arch9wavefront6targetE0EEEvT1_,comdat
	.protected	_ZN7rocprim17ROCPRIM_400000_NS6detail17trampoline_kernelINS0_14default_configENS1_27scan_by_key_config_selectorIiiEEZZNS1_16scan_by_key_implILNS1_25lookback_scan_determinismE0ELb0ES3_PKiN6hipcub16HIPCUB_304000_NS21ConstantInputIteratorIilEEPiiNSB_3SumENSB_8EqualityEiEE10hipError_tPvRmT2_T3_T4_T5_mT6_T7_P12ihipStream_tbENKUlT_T0_E_clISt17integral_constantIbLb1EESW_IbLb0EEEEDaSS_ST_EUlSS_E_NS1_11comp_targetILNS1_3genE8ELNS1_11target_archE1030ELNS1_3gpuE2ELNS1_3repE0EEENS1_30default_config_static_selectorELNS0_4arch9wavefront6targetE0EEEvT1_ ; -- Begin function _ZN7rocprim17ROCPRIM_400000_NS6detail17trampoline_kernelINS0_14default_configENS1_27scan_by_key_config_selectorIiiEEZZNS1_16scan_by_key_implILNS1_25lookback_scan_determinismE0ELb0ES3_PKiN6hipcub16HIPCUB_304000_NS21ConstantInputIteratorIilEEPiiNSB_3SumENSB_8EqualityEiEE10hipError_tPvRmT2_T3_T4_T5_mT6_T7_P12ihipStream_tbENKUlT_T0_E_clISt17integral_constantIbLb1EESW_IbLb0EEEEDaSS_ST_EUlSS_E_NS1_11comp_targetILNS1_3genE8ELNS1_11target_archE1030ELNS1_3gpuE2ELNS1_3repE0EEENS1_30default_config_static_selectorELNS0_4arch9wavefront6targetE0EEEvT1_
	.globl	_ZN7rocprim17ROCPRIM_400000_NS6detail17trampoline_kernelINS0_14default_configENS1_27scan_by_key_config_selectorIiiEEZZNS1_16scan_by_key_implILNS1_25lookback_scan_determinismE0ELb0ES3_PKiN6hipcub16HIPCUB_304000_NS21ConstantInputIteratorIilEEPiiNSB_3SumENSB_8EqualityEiEE10hipError_tPvRmT2_T3_T4_T5_mT6_T7_P12ihipStream_tbENKUlT_T0_E_clISt17integral_constantIbLb1EESW_IbLb0EEEEDaSS_ST_EUlSS_E_NS1_11comp_targetILNS1_3genE8ELNS1_11target_archE1030ELNS1_3gpuE2ELNS1_3repE0EEENS1_30default_config_static_selectorELNS0_4arch9wavefront6targetE0EEEvT1_
	.p2align	8
	.type	_ZN7rocprim17ROCPRIM_400000_NS6detail17trampoline_kernelINS0_14default_configENS1_27scan_by_key_config_selectorIiiEEZZNS1_16scan_by_key_implILNS1_25lookback_scan_determinismE0ELb0ES3_PKiN6hipcub16HIPCUB_304000_NS21ConstantInputIteratorIilEEPiiNSB_3SumENSB_8EqualityEiEE10hipError_tPvRmT2_T3_T4_T5_mT6_T7_P12ihipStream_tbENKUlT_T0_E_clISt17integral_constantIbLb1EESW_IbLb0EEEEDaSS_ST_EUlSS_E_NS1_11comp_targetILNS1_3genE8ELNS1_11target_archE1030ELNS1_3gpuE2ELNS1_3repE0EEENS1_30default_config_static_selectorELNS0_4arch9wavefront6targetE0EEEvT1_,@function
_ZN7rocprim17ROCPRIM_400000_NS6detail17trampoline_kernelINS0_14default_configENS1_27scan_by_key_config_selectorIiiEEZZNS1_16scan_by_key_implILNS1_25lookback_scan_determinismE0ELb0ES3_PKiN6hipcub16HIPCUB_304000_NS21ConstantInputIteratorIilEEPiiNSB_3SumENSB_8EqualityEiEE10hipError_tPvRmT2_T3_T4_T5_mT6_T7_P12ihipStream_tbENKUlT_T0_E_clISt17integral_constantIbLb1EESW_IbLb0EEEEDaSS_ST_EUlSS_E_NS1_11comp_targetILNS1_3genE8ELNS1_11target_archE1030ELNS1_3gpuE2ELNS1_3repE0EEENS1_30default_config_static_selectorELNS0_4arch9wavefront6targetE0EEEvT1_: ; @_ZN7rocprim17ROCPRIM_400000_NS6detail17trampoline_kernelINS0_14default_configENS1_27scan_by_key_config_selectorIiiEEZZNS1_16scan_by_key_implILNS1_25lookback_scan_determinismE0ELb0ES3_PKiN6hipcub16HIPCUB_304000_NS21ConstantInputIteratorIilEEPiiNSB_3SumENSB_8EqualityEiEE10hipError_tPvRmT2_T3_T4_T5_mT6_T7_P12ihipStream_tbENKUlT_T0_E_clISt17integral_constantIbLb1EESW_IbLb0EEEEDaSS_ST_EUlSS_E_NS1_11comp_targetILNS1_3genE8ELNS1_11target_archE1030ELNS1_3gpuE2ELNS1_3repE0EEENS1_30default_config_static_selectorELNS0_4arch9wavefront6targetE0EEEvT1_
; %bb.0:
	s_endpgm
	.section	.rodata,"a",@progbits
	.p2align	6, 0x0
	.amdhsa_kernel _ZN7rocprim17ROCPRIM_400000_NS6detail17trampoline_kernelINS0_14default_configENS1_27scan_by_key_config_selectorIiiEEZZNS1_16scan_by_key_implILNS1_25lookback_scan_determinismE0ELb0ES3_PKiN6hipcub16HIPCUB_304000_NS21ConstantInputIteratorIilEEPiiNSB_3SumENSB_8EqualityEiEE10hipError_tPvRmT2_T3_T4_T5_mT6_T7_P12ihipStream_tbENKUlT_T0_E_clISt17integral_constantIbLb1EESW_IbLb0EEEEDaSS_ST_EUlSS_E_NS1_11comp_targetILNS1_3genE8ELNS1_11target_archE1030ELNS1_3gpuE2ELNS1_3repE0EEENS1_30default_config_static_selectorELNS0_4arch9wavefront6targetE0EEEvT1_
		.amdhsa_group_segment_fixed_size 0
		.amdhsa_private_segment_fixed_size 0
		.amdhsa_kernarg_size 120
		.amdhsa_user_sgpr_count 6
		.amdhsa_user_sgpr_private_segment_buffer 1
		.amdhsa_user_sgpr_dispatch_ptr 0
		.amdhsa_user_sgpr_queue_ptr 0
		.amdhsa_user_sgpr_kernarg_segment_ptr 1
		.amdhsa_user_sgpr_dispatch_id 0
		.amdhsa_user_sgpr_flat_scratch_init 0
		.amdhsa_user_sgpr_private_segment_size 0
		.amdhsa_wavefront_size32 1
		.amdhsa_uses_dynamic_stack 0
		.amdhsa_system_sgpr_private_segment_wavefront_offset 0
		.amdhsa_system_sgpr_workgroup_id_x 1
		.amdhsa_system_sgpr_workgroup_id_y 0
		.amdhsa_system_sgpr_workgroup_id_z 0
		.amdhsa_system_sgpr_workgroup_info 0
		.amdhsa_system_vgpr_workitem_id 0
		.amdhsa_next_free_vgpr 1
		.amdhsa_next_free_sgpr 1
		.amdhsa_reserve_vcc 0
		.amdhsa_reserve_flat_scratch 0
		.amdhsa_float_round_mode_32 0
		.amdhsa_float_round_mode_16_64 0
		.amdhsa_float_denorm_mode_32 3
		.amdhsa_float_denorm_mode_16_64 3
		.amdhsa_dx10_clamp 1
		.amdhsa_ieee_mode 1
		.amdhsa_fp16_overflow 0
		.amdhsa_workgroup_processor_mode 1
		.amdhsa_memory_ordered 1
		.amdhsa_forward_progress 1
		.amdhsa_shared_vgpr_count 0
		.amdhsa_exception_fp_ieee_invalid_op 0
		.amdhsa_exception_fp_denorm_src 0
		.amdhsa_exception_fp_ieee_div_zero 0
		.amdhsa_exception_fp_ieee_overflow 0
		.amdhsa_exception_fp_ieee_underflow 0
		.amdhsa_exception_fp_ieee_inexact 0
		.amdhsa_exception_int_div_zero 0
	.end_amdhsa_kernel
	.section	.text._ZN7rocprim17ROCPRIM_400000_NS6detail17trampoline_kernelINS0_14default_configENS1_27scan_by_key_config_selectorIiiEEZZNS1_16scan_by_key_implILNS1_25lookback_scan_determinismE0ELb0ES3_PKiN6hipcub16HIPCUB_304000_NS21ConstantInputIteratorIilEEPiiNSB_3SumENSB_8EqualityEiEE10hipError_tPvRmT2_T3_T4_T5_mT6_T7_P12ihipStream_tbENKUlT_T0_E_clISt17integral_constantIbLb1EESW_IbLb0EEEEDaSS_ST_EUlSS_E_NS1_11comp_targetILNS1_3genE8ELNS1_11target_archE1030ELNS1_3gpuE2ELNS1_3repE0EEENS1_30default_config_static_selectorELNS0_4arch9wavefront6targetE0EEEvT1_,"axG",@progbits,_ZN7rocprim17ROCPRIM_400000_NS6detail17trampoline_kernelINS0_14default_configENS1_27scan_by_key_config_selectorIiiEEZZNS1_16scan_by_key_implILNS1_25lookback_scan_determinismE0ELb0ES3_PKiN6hipcub16HIPCUB_304000_NS21ConstantInputIteratorIilEEPiiNSB_3SumENSB_8EqualityEiEE10hipError_tPvRmT2_T3_T4_T5_mT6_T7_P12ihipStream_tbENKUlT_T0_E_clISt17integral_constantIbLb1EESW_IbLb0EEEEDaSS_ST_EUlSS_E_NS1_11comp_targetILNS1_3genE8ELNS1_11target_archE1030ELNS1_3gpuE2ELNS1_3repE0EEENS1_30default_config_static_selectorELNS0_4arch9wavefront6targetE0EEEvT1_,comdat
.Lfunc_end40:
	.size	_ZN7rocprim17ROCPRIM_400000_NS6detail17trampoline_kernelINS0_14default_configENS1_27scan_by_key_config_selectorIiiEEZZNS1_16scan_by_key_implILNS1_25lookback_scan_determinismE0ELb0ES3_PKiN6hipcub16HIPCUB_304000_NS21ConstantInputIteratorIilEEPiiNSB_3SumENSB_8EqualityEiEE10hipError_tPvRmT2_T3_T4_T5_mT6_T7_P12ihipStream_tbENKUlT_T0_E_clISt17integral_constantIbLb1EESW_IbLb0EEEEDaSS_ST_EUlSS_E_NS1_11comp_targetILNS1_3genE8ELNS1_11target_archE1030ELNS1_3gpuE2ELNS1_3repE0EEENS1_30default_config_static_selectorELNS0_4arch9wavefront6targetE0EEEvT1_, .Lfunc_end40-_ZN7rocprim17ROCPRIM_400000_NS6detail17trampoline_kernelINS0_14default_configENS1_27scan_by_key_config_selectorIiiEEZZNS1_16scan_by_key_implILNS1_25lookback_scan_determinismE0ELb0ES3_PKiN6hipcub16HIPCUB_304000_NS21ConstantInputIteratorIilEEPiiNSB_3SumENSB_8EqualityEiEE10hipError_tPvRmT2_T3_T4_T5_mT6_T7_P12ihipStream_tbENKUlT_T0_E_clISt17integral_constantIbLb1EESW_IbLb0EEEEDaSS_ST_EUlSS_E_NS1_11comp_targetILNS1_3genE8ELNS1_11target_archE1030ELNS1_3gpuE2ELNS1_3repE0EEENS1_30default_config_static_selectorELNS0_4arch9wavefront6targetE0EEEvT1_
                                        ; -- End function
	.set _ZN7rocprim17ROCPRIM_400000_NS6detail17trampoline_kernelINS0_14default_configENS1_27scan_by_key_config_selectorIiiEEZZNS1_16scan_by_key_implILNS1_25lookback_scan_determinismE0ELb0ES3_PKiN6hipcub16HIPCUB_304000_NS21ConstantInputIteratorIilEEPiiNSB_3SumENSB_8EqualityEiEE10hipError_tPvRmT2_T3_T4_T5_mT6_T7_P12ihipStream_tbENKUlT_T0_E_clISt17integral_constantIbLb1EESW_IbLb0EEEEDaSS_ST_EUlSS_E_NS1_11comp_targetILNS1_3genE8ELNS1_11target_archE1030ELNS1_3gpuE2ELNS1_3repE0EEENS1_30default_config_static_selectorELNS0_4arch9wavefront6targetE0EEEvT1_.num_vgpr, 0
	.set _ZN7rocprim17ROCPRIM_400000_NS6detail17trampoline_kernelINS0_14default_configENS1_27scan_by_key_config_selectorIiiEEZZNS1_16scan_by_key_implILNS1_25lookback_scan_determinismE0ELb0ES3_PKiN6hipcub16HIPCUB_304000_NS21ConstantInputIteratorIilEEPiiNSB_3SumENSB_8EqualityEiEE10hipError_tPvRmT2_T3_T4_T5_mT6_T7_P12ihipStream_tbENKUlT_T0_E_clISt17integral_constantIbLb1EESW_IbLb0EEEEDaSS_ST_EUlSS_E_NS1_11comp_targetILNS1_3genE8ELNS1_11target_archE1030ELNS1_3gpuE2ELNS1_3repE0EEENS1_30default_config_static_selectorELNS0_4arch9wavefront6targetE0EEEvT1_.num_agpr, 0
	.set _ZN7rocprim17ROCPRIM_400000_NS6detail17trampoline_kernelINS0_14default_configENS1_27scan_by_key_config_selectorIiiEEZZNS1_16scan_by_key_implILNS1_25lookback_scan_determinismE0ELb0ES3_PKiN6hipcub16HIPCUB_304000_NS21ConstantInputIteratorIilEEPiiNSB_3SumENSB_8EqualityEiEE10hipError_tPvRmT2_T3_T4_T5_mT6_T7_P12ihipStream_tbENKUlT_T0_E_clISt17integral_constantIbLb1EESW_IbLb0EEEEDaSS_ST_EUlSS_E_NS1_11comp_targetILNS1_3genE8ELNS1_11target_archE1030ELNS1_3gpuE2ELNS1_3repE0EEENS1_30default_config_static_selectorELNS0_4arch9wavefront6targetE0EEEvT1_.numbered_sgpr, 0
	.set _ZN7rocprim17ROCPRIM_400000_NS6detail17trampoline_kernelINS0_14default_configENS1_27scan_by_key_config_selectorIiiEEZZNS1_16scan_by_key_implILNS1_25lookback_scan_determinismE0ELb0ES3_PKiN6hipcub16HIPCUB_304000_NS21ConstantInputIteratorIilEEPiiNSB_3SumENSB_8EqualityEiEE10hipError_tPvRmT2_T3_T4_T5_mT6_T7_P12ihipStream_tbENKUlT_T0_E_clISt17integral_constantIbLb1EESW_IbLb0EEEEDaSS_ST_EUlSS_E_NS1_11comp_targetILNS1_3genE8ELNS1_11target_archE1030ELNS1_3gpuE2ELNS1_3repE0EEENS1_30default_config_static_selectorELNS0_4arch9wavefront6targetE0EEEvT1_.num_named_barrier, 0
	.set _ZN7rocprim17ROCPRIM_400000_NS6detail17trampoline_kernelINS0_14default_configENS1_27scan_by_key_config_selectorIiiEEZZNS1_16scan_by_key_implILNS1_25lookback_scan_determinismE0ELb0ES3_PKiN6hipcub16HIPCUB_304000_NS21ConstantInputIteratorIilEEPiiNSB_3SumENSB_8EqualityEiEE10hipError_tPvRmT2_T3_T4_T5_mT6_T7_P12ihipStream_tbENKUlT_T0_E_clISt17integral_constantIbLb1EESW_IbLb0EEEEDaSS_ST_EUlSS_E_NS1_11comp_targetILNS1_3genE8ELNS1_11target_archE1030ELNS1_3gpuE2ELNS1_3repE0EEENS1_30default_config_static_selectorELNS0_4arch9wavefront6targetE0EEEvT1_.private_seg_size, 0
	.set _ZN7rocprim17ROCPRIM_400000_NS6detail17trampoline_kernelINS0_14default_configENS1_27scan_by_key_config_selectorIiiEEZZNS1_16scan_by_key_implILNS1_25lookback_scan_determinismE0ELb0ES3_PKiN6hipcub16HIPCUB_304000_NS21ConstantInputIteratorIilEEPiiNSB_3SumENSB_8EqualityEiEE10hipError_tPvRmT2_T3_T4_T5_mT6_T7_P12ihipStream_tbENKUlT_T0_E_clISt17integral_constantIbLb1EESW_IbLb0EEEEDaSS_ST_EUlSS_E_NS1_11comp_targetILNS1_3genE8ELNS1_11target_archE1030ELNS1_3gpuE2ELNS1_3repE0EEENS1_30default_config_static_selectorELNS0_4arch9wavefront6targetE0EEEvT1_.uses_vcc, 0
	.set _ZN7rocprim17ROCPRIM_400000_NS6detail17trampoline_kernelINS0_14default_configENS1_27scan_by_key_config_selectorIiiEEZZNS1_16scan_by_key_implILNS1_25lookback_scan_determinismE0ELb0ES3_PKiN6hipcub16HIPCUB_304000_NS21ConstantInputIteratorIilEEPiiNSB_3SumENSB_8EqualityEiEE10hipError_tPvRmT2_T3_T4_T5_mT6_T7_P12ihipStream_tbENKUlT_T0_E_clISt17integral_constantIbLb1EESW_IbLb0EEEEDaSS_ST_EUlSS_E_NS1_11comp_targetILNS1_3genE8ELNS1_11target_archE1030ELNS1_3gpuE2ELNS1_3repE0EEENS1_30default_config_static_selectorELNS0_4arch9wavefront6targetE0EEEvT1_.uses_flat_scratch, 0
	.set _ZN7rocprim17ROCPRIM_400000_NS6detail17trampoline_kernelINS0_14default_configENS1_27scan_by_key_config_selectorIiiEEZZNS1_16scan_by_key_implILNS1_25lookback_scan_determinismE0ELb0ES3_PKiN6hipcub16HIPCUB_304000_NS21ConstantInputIteratorIilEEPiiNSB_3SumENSB_8EqualityEiEE10hipError_tPvRmT2_T3_T4_T5_mT6_T7_P12ihipStream_tbENKUlT_T0_E_clISt17integral_constantIbLb1EESW_IbLb0EEEEDaSS_ST_EUlSS_E_NS1_11comp_targetILNS1_3genE8ELNS1_11target_archE1030ELNS1_3gpuE2ELNS1_3repE0EEENS1_30default_config_static_selectorELNS0_4arch9wavefront6targetE0EEEvT1_.has_dyn_sized_stack, 0
	.set _ZN7rocprim17ROCPRIM_400000_NS6detail17trampoline_kernelINS0_14default_configENS1_27scan_by_key_config_selectorIiiEEZZNS1_16scan_by_key_implILNS1_25lookback_scan_determinismE0ELb0ES3_PKiN6hipcub16HIPCUB_304000_NS21ConstantInputIteratorIilEEPiiNSB_3SumENSB_8EqualityEiEE10hipError_tPvRmT2_T3_T4_T5_mT6_T7_P12ihipStream_tbENKUlT_T0_E_clISt17integral_constantIbLb1EESW_IbLb0EEEEDaSS_ST_EUlSS_E_NS1_11comp_targetILNS1_3genE8ELNS1_11target_archE1030ELNS1_3gpuE2ELNS1_3repE0EEENS1_30default_config_static_selectorELNS0_4arch9wavefront6targetE0EEEvT1_.has_recursion, 0
	.set _ZN7rocprim17ROCPRIM_400000_NS6detail17trampoline_kernelINS0_14default_configENS1_27scan_by_key_config_selectorIiiEEZZNS1_16scan_by_key_implILNS1_25lookback_scan_determinismE0ELb0ES3_PKiN6hipcub16HIPCUB_304000_NS21ConstantInputIteratorIilEEPiiNSB_3SumENSB_8EqualityEiEE10hipError_tPvRmT2_T3_T4_T5_mT6_T7_P12ihipStream_tbENKUlT_T0_E_clISt17integral_constantIbLb1EESW_IbLb0EEEEDaSS_ST_EUlSS_E_NS1_11comp_targetILNS1_3genE8ELNS1_11target_archE1030ELNS1_3gpuE2ELNS1_3repE0EEENS1_30default_config_static_selectorELNS0_4arch9wavefront6targetE0EEEvT1_.has_indirect_call, 0
	.section	.AMDGPU.csdata,"",@progbits
; Kernel info:
; codeLenInByte = 4
; TotalNumSgprs: 0
; NumVgprs: 0
; ScratchSize: 0
; MemoryBound: 0
; FloatMode: 240
; IeeeMode: 1
; LDSByteSize: 0 bytes/workgroup (compile time only)
; SGPRBlocks: 0
; VGPRBlocks: 0
; NumSGPRsForWavesPerEU: 1
; NumVGPRsForWavesPerEU: 1
; Occupancy: 16
; WaveLimiterHint : 0
; COMPUTE_PGM_RSRC2:SCRATCH_EN: 0
; COMPUTE_PGM_RSRC2:USER_SGPR: 6
; COMPUTE_PGM_RSRC2:TRAP_HANDLER: 0
; COMPUTE_PGM_RSRC2:TGID_X_EN: 1
; COMPUTE_PGM_RSRC2:TGID_Y_EN: 0
; COMPUTE_PGM_RSRC2:TGID_Z_EN: 0
; COMPUTE_PGM_RSRC2:TIDIG_COMP_CNT: 0
	.section	.text._ZN7rocprim17ROCPRIM_400000_NS6detail30init_device_scan_by_key_kernelINS1_19lookback_scan_stateINS0_5tupleIJibEEELb0ELb1EEEPKijNS1_16block_id_wrapperIjLb1EEEEEvT_jjPNSB_10value_typeET0_PNSt15iterator_traitsISE_E10value_typeEmT1_T2_,"axG",@progbits,_ZN7rocprim17ROCPRIM_400000_NS6detail30init_device_scan_by_key_kernelINS1_19lookback_scan_stateINS0_5tupleIJibEEELb0ELb1EEEPKijNS1_16block_id_wrapperIjLb1EEEEEvT_jjPNSB_10value_typeET0_PNSt15iterator_traitsISE_E10value_typeEmT1_T2_,comdat
	.protected	_ZN7rocprim17ROCPRIM_400000_NS6detail30init_device_scan_by_key_kernelINS1_19lookback_scan_stateINS0_5tupleIJibEEELb0ELb1EEEPKijNS1_16block_id_wrapperIjLb1EEEEEvT_jjPNSB_10value_typeET0_PNSt15iterator_traitsISE_E10value_typeEmT1_T2_ ; -- Begin function _ZN7rocprim17ROCPRIM_400000_NS6detail30init_device_scan_by_key_kernelINS1_19lookback_scan_stateINS0_5tupleIJibEEELb0ELb1EEEPKijNS1_16block_id_wrapperIjLb1EEEEEvT_jjPNSB_10value_typeET0_PNSt15iterator_traitsISE_E10value_typeEmT1_T2_
	.globl	_ZN7rocprim17ROCPRIM_400000_NS6detail30init_device_scan_by_key_kernelINS1_19lookback_scan_stateINS0_5tupleIJibEEELb0ELb1EEEPKijNS1_16block_id_wrapperIjLb1EEEEEvT_jjPNSB_10value_typeET0_PNSt15iterator_traitsISE_E10value_typeEmT1_T2_
	.p2align	8
	.type	_ZN7rocprim17ROCPRIM_400000_NS6detail30init_device_scan_by_key_kernelINS1_19lookback_scan_stateINS0_5tupleIJibEEELb0ELb1EEEPKijNS1_16block_id_wrapperIjLb1EEEEEvT_jjPNSB_10value_typeET0_PNSt15iterator_traitsISE_E10value_typeEmT1_T2_,@function
_ZN7rocprim17ROCPRIM_400000_NS6detail30init_device_scan_by_key_kernelINS1_19lookback_scan_stateINS0_5tupleIJibEEELb0ELb1EEEPKijNS1_16block_id_wrapperIjLb1EEEEEvT_jjPNSB_10value_typeET0_PNSt15iterator_traitsISE_E10value_typeEmT1_T2_: ; @_ZN7rocprim17ROCPRIM_400000_NS6detail30init_device_scan_by_key_kernelINS1_19lookback_scan_stateINS0_5tupleIJibEEELb0ELb1EEEPKijNS1_16block_id_wrapperIjLb1EEEEEvT_jjPNSB_10value_typeET0_PNSt15iterator_traitsISE_E10value_typeEmT1_T2_
; %bb.0:
	s_clause 0x2
	s_load_dword s0, s[4:5], 0x4c
	s_load_dwordx8 s[8:15], s[4:5], 0x0
	s_load_dword s7, s[4:5], 0x40
	s_waitcnt lgkmcnt(0)
	s_and_b32 s16, s0, 0xffff
	s_cmp_eq_u64 s[12:13], 0
	v_mad_u64_u32 v[4:5], null, s6, s16, v[0:1]
	s_cbranch_scc1 .LBB41_8
; %bb.1:
	s_cmp_lt_u32 s11, s10
	s_mov_b32 s1, 0
	s_cselect_b32 s0, s11, 0
	s_mov_b32 s2, exec_lo
	v_cmpx_eq_u32_e64 s0, v4
	s_cbranch_execz .LBB41_7
; %bb.2:
	s_add_i32 s0, s11, 32
	v_mov_b32_e32 v6, 0
	s_lshl_b64 s[0:1], s[0:1], 4
	s_mov_b32 s3, exec_lo
	s_add_u32 s0, s8, s0
	s_addc_u32 s1, s9, s1
	v_mov_b32_e32 v0, s0
	v_mov_b32_e32 v1, s1
	;;#ASMSTART
	global_load_dwordx4 v[0:3], v[0:1] off glc dlc	
s_waitcnt vmcnt(0)
	;;#ASMEND
	v_and_b32_e32 v5, 0xff, v2
	v_cmpx_eq_u64_e32 0, v[5:6]
	s_cbranch_execz .LBB41_6
; %bb.3:
	v_mov_b32_e32 v8, s1
	v_mov_b32_e32 v7, s0
	s_mov_b32 s0, 0
.LBB41_4:                               ; =>This Inner Loop Header: Depth=1
	;;#ASMSTART
	global_load_dwordx4 v[0:3], v[7:8] off glc dlc	
s_waitcnt vmcnt(0)
	;;#ASMEND
	v_and_b32_e32 v5, 0xff, v2
	v_cmp_ne_u64_e32 vcc_lo, 0, v[5:6]
	s_or_b32 s0, vcc_lo, s0
	s_andn2_b32 exec_lo, exec_lo, s0
	s_cbranch_execnz .LBB41_4
; %bb.5:
	s_or_b32 exec_lo, exec_lo, s0
.LBB41_6:
	s_or_b32 exec_lo, exec_lo, s3
	v_mov_b32_e32 v2, 0
	global_store_dword v2, v0, s[12:13]
	global_store_byte v2, v1, s[12:13] offset:4
.LBB41_7:
	s_or_b32 exec_lo, exec_lo, s2
.LBB41_8:
	s_mov_b32 s0, exec_lo
	v_cmpx_eq_u32_e32 0, v4
	s_cbranch_execz .LBB41_10
; %bb.9:
	s_load_dwordx2 s[2:3], s[4:5], 0x38
	v_mov_b32_e32 v0, 0
	s_waitcnt lgkmcnt(0)
	global_store_dword v0, v0, s[2:3]
.LBB41_10:
	s_or_b32 exec_lo, exec_lo, s0
	s_mov_b32 s0, exec_lo
	v_cmpx_gt_u32_e64 s10, v4
	s_cbranch_execz .LBB41_12
; %bb.11:
	v_add_nc_u32_e32 v0, 32, v4
	v_mov_b32_e32 v1, 0
	v_lshlrev_b64 v[5:6], 4, v[0:1]
	v_mov_b32_e32 v0, v1
	v_mov_b32_e32 v2, v1
	;; [unrolled: 1-line block ×3, first 2 shown]
	v_add_co_u32 v5, vcc_lo, s8, v5
	v_add_co_ci_u32_e64 v6, null, s9, v6, vcc_lo
	global_store_dwordx4 v[5:6], v[0:3], off
.LBB41_12:
	s_or_b32 exec_lo, exec_lo, s0
	v_mov_b32_e32 v5, 0
	s_mov_b32 s0, exec_lo
	v_cmpx_gt_u32_e32 32, v4
	s_cbranch_execz .LBB41_14
; %bb.13:
	v_lshlrev_b64 v[6:7], 4, v[4:5]
	v_mov_b32_e32 v2, 0xff
	v_mov_b32_e32 v0, v5
	;; [unrolled: 1-line block ×4, first 2 shown]
	v_add_co_u32 v6, vcc_lo, s8, v6
	v_add_co_ci_u32_e64 v7, null, s9, v7, vcc_lo
	global_store_dwordx4 v[6:7], v[0:3], off
.LBB41_14:
	s_or_b32 exec_lo, exec_lo, s0
	s_load_dwordx2 s[2:3], s[4:5], 0x28
	s_mov_b32 s0, exec_lo
	s_waitcnt lgkmcnt(0)
	v_cmpx_gt_u64_e64 s[2:3], v[4:5]
	s_cbranch_execz .LBB41_17
; %bb.15:
	s_clause 0x1
	s_load_dword s6, s[4:5], 0x30
	s_load_dwordx2 s[8:9], s[4:5], 0x20
	s_mov_b32 s1, 0
	v_lshlrev_b64 v[2:3], 2, v[4:5]
	s_mul_i32 s4, s7, s16
	s_waitcnt lgkmcnt(0)
	v_mad_u64_u32 v[0:1], null, s6, v4, 0
	s_add_i32 s0, s6, -1
	s_mul_hi_u32 s7, s6, s4
	s_lshl_b64 s[10:11], s[0:1], 2
	s_mul_i32 s6, s6, s4
	s_add_u32 s0, s14, s10
	s_addc_u32 s5, s15, s11
	v_lshlrev_b64 v[0:1], 2, v[0:1]
	s_lshl_b64 s[6:7], s[6:7], 2
	v_add_co_u32 v0, vcc_lo, s0, v0
	v_add_co_ci_u32_e64 v1, null, s5, v1, vcc_lo
	v_add_co_u32 v2, vcc_lo, s8, v2
	v_add_co_ci_u32_e64 v3, null, s9, v3, vcc_lo
	s_mov_b32 s5, s1
	s_lshl_b64 s[8:9], s[4:5], 2
	.p2align	6
.LBB41_16:                              ; =>This Inner Loop Header: Depth=1
	global_load_dword v6, v[0:1], off
	v_add_co_u32 v4, vcc_lo, v4, s4
	v_add_co_ci_u32_e64 v5, null, 0, v5, vcc_lo
	v_add_co_u32 v0, vcc_lo, v0, s6
	v_add_co_ci_u32_e64 v1, null, s7, v1, vcc_lo
	v_cmp_le_u64_e32 vcc_lo, s[2:3], v[4:5]
	s_or_b32 s1, vcc_lo, s1
	s_waitcnt vmcnt(0)
	global_store_dword v[2:3], v6, off
	v_add_co_u32 v2, s0, v2, s8
	v_add_co_ci_u32_e64 v3, null, s9, v3, s0
	s_andn2_b32 exec_lo, exec_lo, s1
	s_cbranch_execnz .LBB41_16
.LBB41_17:
	s_endpgm
	.section	.rodata,"a",@progbits
	.p2align	6, 0x0
	.amdhsa_kernel _ZN7rocprim17ROCPRIM_400000_NS6detail30init_device_scan_by_key_kernelINS1_19lookback_scan_stateINS0_5tupleIJibEEELb0ELb1EEEPKijNS1_16block_id_wrapperIjLb1EEEEEvT_jjPNSB_10value_typeET0_PNSt15iterator_traitsISE_E10value_typeEmT1_T2_
		.amdhsa_group_segment_fixed_size 0
		.amdhsa_private_segment_fixed_size 0
		.amdhsa_kernarg_size 320
		.amdhsa_user_sgpr_count 6
		.amdhsa_user_sgpr_private_segment_buffer 1
		.amdhsa_user_sgpr_dispatch_ptr 0
		.amdhsa_user_sgpr_queue_ptr 0
		.amdhsa_user_sgpr_kernarg_segment_ptr 1
		.amdhsa_user_sgpr_dispatch_id 0
		.amdhsa_user_sgpr_flat_scratch_init 0
		.amdhsa_user_sgpr_private_segment_size 0
		.amdhsa_wavefront_size32 1
		.amdhsa_uses_dynamic_stack 0
		.amdhsa_system_sgpr_private_segment_wavefront_offset 0
		.amdhsa_system_sgpr_workgroup_id_x 1
		.amdhsa_system_sgpr_workgroup_id_y 0
		.amdhsa_system_sgpr_workgroup_id_z 0
		.amdhsa_system_sgpr_workgroup_info 0
		.amdhsa_system_vgpr_workitem_id 0
		.amdhsa_next_free_vgpr 9
		.amdhsa_next_free_sgpr 17
		.amdhsa_reserve_vcc 1
		.amdhsa_reserve_flat_scratch 0
		.amdhsa_float_round_mode_32 0
		.amdhsa_float_round_mode_16_64 0
		.amdhsa_float_denorm_mode_32 3
		.amdhsa_float_denorm_mode_16_64 3
		.amdhsa_dx10_clamp 1
		.amdhsa_ieee_mode 1
		.amdhsa_fp16_overflow 0
		.amdhsa_workgroup_processor_mode 1
		.amdhsa_memory_ordered 1
		.amdhsa_forward_progress 1
		.amdhsa_shared_vgpr_count 0
		.amdhsa_exception_fp_ieee_invalid_op 0
		.amdhsa_exception_fp_denorm_src 0
		.amdhsa_exception_fp_ieee_div_zero 0
		.amdhsa_exception_fp_ieee_overflow 0
		.amdhsa_exception_fp_ieee_underflow 0
		.amdhsa_exception_fp_ieee_inexact 0
		.amdhsa_exception_int_div_zero 0
	.end_amdhsa_kernel
	.section	.text._ZN7rocprim17ROCPRIM_400000_NS6detail30init_device_scan_by_key_kernelINS1_19lookback_scan_stateINS0_5tupleIJibEEELb0ELb1EEEPKijNS1_16block_id_wrapperIjLb1EEEEEvT_jjPNSB_10value_typeET0_PNSt15iterator_traitsISE_E10value_typeEmT1_T2_,"axG",@progbits,_ZN7rocprim17ROCPRIM_400000_NS6detail30init_device_scan_by_key_kernelINS1_19lookback_scan_stateINS0_5tupleIJibEEELb0ELb1EEEPKijNS1_16block_id_wrapperIjLb1EEEEEvT_jjPNSB_10value_typeET0_PNSt15iterator_traitsISE_E10value_typeEmT1_T2_,comdat
.Lfunc_end41:
	.size	_ZN7rocprim17ROCPRIM_400000_NS6detail30init_device_scan_by_key_kernelINS1_19lookback_scan_stateINS0_5tupleIJibEEELb0ELb1EEEPKijNS1_16block_id_wrapperIjLb1EEEEEvT_jjPNSB_10value_typeET0_PNSt15iterator_traitsISE_E10value_typeEmT1_T2_, .Lfunc_end41-_ZN7rocprim17ROCPRIM_400000_NS6detail30init_device_scan_by_key_kernelINS1_19lookback_scan_stateINS0_5tupleIJibEEELb0ELb1EEEPKijNS1_16block_id_wrapperIjLb1EEEEEvT_jjPNSB_10value_typeET0_PNSt15iterator_traitsISE_E10value_typeEmT1_T2_
                                        ; -- End function
	.set _ZN7rocprim17ROCPRIM_400000_NS6detail30init_device_scan_by_key_kernelINS1_19lookback_scan_stateINS0_5tupleIJibEEELb0ELb1EEEPKijNS1_16block_id_wrapperIjLb1EEEEEvT_jjPNSB_10value_typeET0_PNSt15iterator_traitsISE_E10value_typeEmT1_T2_.num_vgpr, 9
	.set _ZN7rocprim17ROCPRIM_400000_NS6detail30init_device_scan_by_key_kernelINS1_19lookback_scan_stateINS0_5tupleIJibEEELb0ELb1EEEPKijNS1_16block_id_wrapperIjLb1EEEEEvT_jjPNSB_10value_typeET0_PNSt15iterator_traitsISE_E10value_typeEmT1_T2_.num_agpr, 0
	.set _ZN7rocprim17ROCPRIM_400000_NS6detail30init_device_scan_by_key_kernelINS1_19lookback_scan_stateINS0_5tupleIJibEEELb0ELb1EEEPKijNS1_16block_id_wrapperIjLb1EEEEEvT_jjPNSB_10value_typeET0_PNSt15iterator_traitsISE_E10value_typeEmT1_T2_.numbered_sgpr, 17
	.set _ZN7rocprim17ROCPRIM_400000_NS6detail30init_device_scan_by_key_kernelINS1_19lookback_scan_stateINS0_5tupleIJibEEELb0ELb1EEEPKijNS1_16block_id_wrapperIjLb1EEEEEvT_jjPNSB_10value_typeET0_PNSt15iterator_traitsISE_E10value_typeEmT1_T2_.num_named_barrier, 0
	.set _ZN7rocprim17ROCPRIM_400000_NS6detail30init_device_scan_by_key_kernelINS1_19lookback_scan_stateINS0_5tupleIJibEEELb0ELb1EEEPKijNS1_16block_id_wrapperIjLb1EEEEEvT_jjPNSB_10value_typeET0_PNSt15iterator_traitsISE_E10value_typeEmT1_T2_.private_seg_size, 0
	.set _ZN7rocprim17ROCPRIM_400000_NS6detail30init_device_scan_by_key_kernelINS1_19lookback_scan_stateINS0_5tupleIJibEEELb0ELb1EEEPKijNS1_16block_id_wrapperIjLb1EEEEEvT_jjPNSB_10value_typeET0_PNSt15iterator_traitsISE_E10value_typeEmT1_T2_.uses_vcc, 1
	.set _ZN7rocprim17ROCPRIM_400000_NS6detail30init_device_scan_by_key_kernelINS1_19lookback_scan_stateINS0_5tupleIJibEEELb0ELb1EEEPKijNS1_16block_id_wrapperIjLb1EEEEEvT_jjPNSB_10value_typeET0_PNSt15iterator_traitsISE_E10value_typeEmT1_T2_.uses_flat_scratch, 0
	.set _ZN7rocprim17ROCPRIM_400000_NS6detail30init_device_scan_by_key_kernelINS1_19lookback_scan_stateINS0_5tupleIJibEEELb0ELb1EEEPKijNS1_16block_id_wrapperIjLb1EEEEEvT_jjPNSB_10value_typeET0_PNSt15iterator_traitsISE_E10value_typeEmT1_T2_.has_dyn_sized_stack, 0
	.set _ZN7rocprim17ROCPRIM_400000_NS6detail30init_device_scan_by_key_kernelINS1_19lookback_scan_stateINS0_5tupleIJibEEELb0ELb1EEEPKijNS1_16block_id_wrapperIjLb1EEEEEvT_jjPNSB_10value_typeET0_PNSt15iterator_traitsISE_E10value_typeEmT1_T2_.has_recursion, 0
	.set _ZN7rocprim17ROCPRIM_400000_NS6detail30init_device_scan_by_key_kernelINS1_19lookback_scan_stateINS0_5tupleIJibEEELb0ELb1EEEPKijNS1_16block_id_wrapperIjLb1EEEEEvT_jjPNSB_10value_typeET0_PNSt15iterator_traitsISE_E10value_typeEmT1_T2_.has_indirect_call, 0
	.section	.AMDGPU.csdata,"",@progbits
; Kernel info:
; codeLenInByte = 728
; TotalNumSgprs: 19
; NumVgprs: 9
; ScratchSize: 0
; MemoryBound: 0
; FloatMode: 240
; IeeeMode: 1
; LDSByteSize: 0 bytes/workgroup (compile time only)
; SGPRBlocks: 0
; VGPRBlocks: 1
; NumSGPRsForWavesPerEU: 19
; NumVGPRsForWavesPerEU: 9
; Occupancy: 16
; WaveLimiterHint : 0
; COMPUTE_PGM_RSRC2:SCRATCH_EN: 0
; COMPUTE_PGM_RSRC2:USER_SGPR: 6
; COMPUTE_PGM_RSRC2:TRAP_HANDLER: 0
; COMPUTE_PGM_RSRC2:TGID_X_EN: 1
; COMPUTE_PGM_RSRC2:TGID_Y_EN: 0
; COMPUTE_PGM_RSRC2:TGID_Z_EN: 0
; COMPUTE_PGM_RSRC2:TIDIG_COMP_CNT: 0
	.section	.text._ZN7rocprim17ROCPRIM_400000_NS6detail30init_device_scan_by_key_kernelINS1_19lookback_scan_stateINS0_5tupleIJibEEELb0ELb1EEENS1_16block_id_wrapperIjLb1EEEEEvT_jjPNS9_10value_typeET0_,"axG",@progbits,_ZN7rocprim17ROCPRIM_400000_NS6detail30init_device_scan_by_key_kernelINS1_19lookback_scan_stateINS0_5tupleIJibEEELb0ELb1EEENS1_16block_id_wrapperIjLb1EEEEEvT_jjPNS9_10value_typeET0_,comdat
	.protected	_ZN7rocprim17ROCPRIM_400000_NS6detail30init_device_scan_by_key_kernelINS1_19lookback_scan_stateINS0_5tupleIJibEEELb0ELb1EEENS1_16block_id_wrapperIjLb1EEEEEvT_jjPNS9_10value_typeET0_ ; -- Begin function _ZN7rocprim17ROCPRIM_400000_NS6detail30init_device_scan_by_key_kernelINS1_19lookback_scan_stateINS0_5tupleIJibEEELb0ELb1EEENS1_16block_id_wrapperIjLb1EEEEEvT_jjPNS9_10value_typeET0_
	.globl	_ZN7rocprim17ROCPRIM_400000_NS6detail30init_device_scan_by_key_kernelINS1_19lookback_scan_stateINS0_5tupleIJibEEELb0ELb1EEENS1_16block_id_wrapperIjLb1EEEEEvT_jjPNS9_10value_typeET0_
	.p2align	8
	.type	_ZN7rocprim17ROCPRIM_400000_NS6detail30init_device_scan_by_key_kernelINS1_19lookback_scan_stateINS0_5tupleIJibEEELb0ELb1EEENS1_16block_id_wrapperIjLb1EEEEEvT_jjPNS9_10value_typeET0_,@function
_ZN7rocprim17ROCPRIM_400000_NS6detail30init_device_scan_by_key_kernelINS1_19lookback_scan_stateINS0_5tupleIJibEEELb0ELb1EEENS1_16block_id_wrapperIjLb1EEEEEvT_jjPNS9_10value_typeET0_: ; @_ZN7rocprim17ROCPRIM_400000_NS6detail30init_device_scan_by_key_kernelINS1_19lookback_scan_stateINS0_5tupleIJibEEELb0ELb1EEENS1_16block_id_wrapperIjLb1EEEEEvT_jjPNS9_10value_typeET0_
; %bb.0:
	s_clause 0x1
	s_load_dword s0, s[4:5], 0x2c
	s_load_dwordx8 s[8:15], s[4:5], 0x0
	s_waitcnt lgkmcnt(0)
	s_and_b32 s0, s0, 0xffff
	s_cmp_eq_u64 s[12:13], 0
	v_mad_u64_u32 v[0:1], null, s6, s0, v[0:1]
	s_cbranch_scc1 .LBB42_8
; %bb.1:
	s_cmp_lt_u32 s11, s10
	s_mov_b32 s1, 0
	s_cselect_b32 s0, s11, 0
	s_mov_b32 s2, exec_lo
	v_cmpx_eq_u32_e64 s0, v0
	s_cbranch_execz .LBB42_7
; %bb.2:
	s_add_i32 s0, s11, 32
	v_mov_b32_e32 v5, 0
	s_lshl_b64 s[0:1], s[0:1], 4
	s_mov_b32 s3, exec_lo
	s_add_u32 s0, s8, s0
	s_addc_u32 s1, s9, s1
	v_mov_b32_e32 v2, s1
	v_mov_b32_e32 v1, s0
	;;#ASMSTART
	global_load_dwordx4 v[1:4], v[1:2] off glc dlc	
s_waitcnt vmcnt(0)
	;;#ASMEND
	v_and_b32_e32 v4, 0xff, v3
	v_cmpx_eq_u64_e32 0, v[4:5]
	s_cbranch_execz .LBB42_6
; %bb.3:
	v_mov_b32_e32 v7, s1
	v_mov_b32_e32 v6, s0
	s_mov_b32 s0, 0
.LBB42_4:                               ; =>This Inner Loop Header: Depth=1
	;;#ASMSTART
	global_load_dwordx4 v[1:4], v[6:7] off glc dlc	
s_waitcnt vmcnt(0)
	;;#ASMEND
	v_and_b32_e32 v4, 0xff, v3
	v_cmp_ne_u64_e32 vcc_lo, 0, v[4:5]
	s_or_b32 s0, vcc_lo, s0
	s_andn2_b32 exec_lo, exec_lo, s0
	s_cbranch_execnz .LBB42_4
; %bb.5:
	s_or_b32 exec_lo, exec_lo, s0
.LBB42_6:
	s_or_b32 exec_lo, exec_lo, s3
	v_mov_b32_e32 v3, 0
	global_store_dword v3, v1, s[12:13]
	global_store_byte v3, v2, s[12:13] offset:4
.LBB42_7:
	s_or_b32 exec_lo, exec_lo, s2
.LBB42_8:
	s_mov_b32 s0, exec_lo
	v_cmpx_eq_u32_e32 0, v0
	s_cbranch_execz .LBB42_10
; %bb.9:
	v_mov_b32_e32 v1, 0
	global_store_dword v1, v1, s[14:15]
.LBB42_10:
	s_or_b32 exec_lo, exec_lo, s0
	s_mov_b32 s0, exec_lo
	v_cmpx_gt_u32_e64 s10, v0
	s_cbranch_execz .LBB42_12
; %bb.11:
	v_add_nc_u32_e32 v1, 32, v0
	v_mov_b32_e32 v2, 0
	v_lshlrev_b64 v[4:5], 4, v[1:2]
	v_mov_b32_e32 v1, v2
	v_mov_b32_e32 v3, v2
	v_add_co_u32 v6, vcc_lo, s8, v4
	v_add_co_ci_u32_e64 v7, null, s9, v5, vcc_lo
	v_mov_b32_e32 v4, v2
	global_store_dwordx4 v[6:7], v[1:4], off
.LBB42_12:
	s_or_b32 exec_lo, exec_lo, s0
	s_mov_b32 s0, exec_lo
	v_cmpx_gt_u32_e32 32, v0
	s_cbranch_execz .LBB42_14
; %bb.13:
	v_mov_b32_e32 v1, 0
	v_mov_b32_e32 v2, 0xff
	v_lshlrev_b64 v[3:4], 4, v[0:1]
	v_mov_b32_e32 v0, v1
	v_add_co_u32 v5, vcc_lo, s8, v3
	v_add_co_ci_u32_e64 v6, null, s9, v4, vcc_lo
	v_mov_b32_e32 v3, v1
	global_store_dwordx4 v[5:6], v[0:3], off
.LBB42_14:
	s_endpgm
	.section	.rodata,"a",@progbits
	.p2align	6, 0x0
	.amdhsa_kernel _ZN7rocprim17ROCPRIM_400000_NS6detail30init_device_scan_by_key_kernelINS1_19lookback_scan_stateINS0_5tupleIJibEEELb0ELb1EEENS1_16block_id_wrapperIjLb1EEEEEvT_jjPNS9_10value_typeET0_
		.amdhsa_group_segment_fixed_size 0
		.amdhsa_private_segment_fixed_size 0
		.amdhsa_kernarg_size 288
		.amdhsa_user_sgpr_count 6
		.amdhsa_user_sgpr_private_segment_buffer 1
		.amdhsa_user_sgpr_dispatch_ptr 0
		.amdhsa_user_sgpr_queue_ptr 0
		.amdhsa_user_sgpr_kernarg_segment_ptr 1
		.amdhsa_user_sgpr_dispatch_id 0
		.amdhsa_user_sgpr_flat_scratch_init 0
		.amdhsa_user_sgpr_private_segment_size 0
		.amdhsa_wavefront_size32 1
		.amdhsa_uses_dynamic_stack 0
		.amdhsa_system_sgpr_private_segment_wavefront_offset 0
		.amdhsa_system_sgpr_workgroup_id_x 1
		.amdhsa_system_sgpr_workgroup_id_y 0
		.amdhsa_system_sgpr_workgroup_id_z 0
		.amdhsa_system_sgpr_workgroup_info 0
		.amdhsa_system_vgpr_workitem_id 0
		.amdhsa_next_free_vgpr 8
		.amdhsa_next_free_sgpr 16
		.amdhsa_reserve_vcc 1
		.amdhsa_reserve_flat_scratch 0
		.amdhsa_float_round_mode_32 0
		.amdhsa_float_round_mode_16_64 0
		.amdhsa_float_denorm_mode_32 3
		.amdhsa_float_denorm_mode_16_64 3
		.amdhsa_dx10_clamp 1
		.amdhsa_ieee_mode 1
		.amdhsa_fp16_overflow 0
		.amdhsa_workgroup_processor_mode 1
		.amdhsa_memory_ordered 1
		.amdhsa_forward_progress 1
		.amdhsa_shared_vgpr_count 0
		.amdhsa_exception_fp_ieee_invalid_op 0
		.amdhsa_exception_fp_denorm_src 0
		.amdhsa_exception_fp_ieee_div_zero 0
		.amdhsa_exception_fp_ieee_overflow 0
		.amdhsa_exception_fp_ieee_underflow 0
		.amdhsa_exception_fp_ieee_inexact 0
		.amdhsa_exception_int_div_zero 0
	.end_amdhsa_kernel
	.section	.text._ZN7rocprim17ROCPRIM_400000_NS6detail30init_device_scan_by_key_kernelINS1_19lookback_scan_stateINS0_5tupleIJibEEELb0ELb1EEENS1_16block_id_wrapperIjLb1EEEEEvT_jjPNS9_10value_typeET0_,"axG",@progbits,_ZN7rocprim17ROCPRIM_400000_NS6detail30init_device_scan_by_key_kernelINS1_19lookback_scan_stateINS0_5tupleIJibEEELb0ELb1EEENS1_16block_id_wrapperIjLb1EEEEEvT_jjPNS9_10value_typeET0_,comdat
.Lfunc_end42:
	.size	_ZN7rocprim17ROCPRIM_400000_NS6detail30init_device_scan_by_key_kernelINS1_19lookback_scan_stateINS0_5tupleIJibEEELb0ELb1EEENS1_16block_id_wrapperIjLb1EEEEEvT_jjPNS9_10value_typeET0_, .Lfunc_end42-_ZN7rocprim17ROCPRIM_400000_NS6detail30init_device_scan_by_key_kernelINS1_19lookback_scan_stateINS0_5tupleIJibEEELb0ELb1EEENS1_16block_id_wrapperIjLb1EEEEEvT_jjPNS9_10value_typeET0_
                                        ; -- End function
	.set _ZN7rocprim17ROCPRIM_400000_NS6detail30init_device_scan_by_key_kernelINS1_19lookback_scan_stateINS0_5tupleIJibEEELb0ELb1EEENS1_16block_id_wrapperIjLb1EEEEEvT_jjPNS9_10value_typeET0_.num_vgpr, 8
	.set _ZN7rocprim17ROCPRIM_400000_NS6detail30init_device_scan_by_key_kernelINS1_19lookback_scan_stateINS0_5tupleIJibEEELb0ELb1EEENS1_16block_id_wrapperIjLb1EEEEEvT_jjPNS9_10value_typeET0_.num_agpr, 0
	.set _ZN7rocprim17ROCPRIM_400000_NS6detail30init_device_scan_by_key_kernelINS1_19lookback_scan_stateINS0_5tupleIJibEEELb0ELb1EEENS1_16block_id_wrapperIjLb1EEEEEvT_jjPNS9_10value_typeET0_.numbered_sgpr, 16
	.set _ZN7rocprim17ROCPRIM_400000_NS6detail30init_device_scan_by_key_kernelINS1_19lookback_scan_stateINS0_5tupleIJibEEELb0ELb1EEENS1_16block_id_wrapperIjLb1EEEEEvT_jjPNS9_10value_typeET0_.num_named_barrier, 0
	.set _ZN7rocprim17ROCPRIM_400000_NS6detail30init_device_scan_by_key_kernelINS1_19lookback_scan_stateINS0_5tupleIJibEEELb0ELb1EEENS1_16block_id_wrapperIjLb1EEEEEvT_jjPNS9_10value_typeET0_.private_seg_size, 0
	.set _ZN7rocprim17ROCPRIM_400000_NS6detail30init_device_scan_by_key_kernelINS1_19lookback_scan_stateINS0_5tupleIJibEEELb0ELb1EEENS1_16block_id_wrapperIjLb1EEEEEvT_jjPNS9_10value_typeET0_.uses_vcc, 1
	.set _ZN7rocprim17ROCPRIM_400000_NS6detail30init_device_scan_by_key_kernelINS1_19lookback_scan_stateINS0_5tupleIJibEEELb0ELb1EEENS1_16block_id_wrapperIjLb1EEEEEvT_jjPNS9_10value_typeET0_.uses_flat_scratch, 0
	.set _ZN7rocprim17ROCPRIM_400000_NS6detail30init_device_scan_by_key_kernelINS1_19lookback_scan_stateINS0_5tupleIJibEEELb0ELb1EEENS1_16block_id_wrapperIjLb1EEEEEvT_jjPNS9_10value_typeET0_.has_dyn_sized_stack, 0
	.set _ZN7rocprim17ROCPRIM_400000_NS6detail30init_device_scan_by_key_kernelINS1_19lookback_scan_stateINS0_5tupleIJibEEELb0ELb1EEENS1_16block_id_wrapperIjLb1EEEEEvT_jjPNS9_10value_typeET0_.has_recursion, 0
	.set _ZN7rocprim17ROCPRIM_400000_NS6detail30init_device_scan_by_key_kernelINS1_19lookback_scan_stateINS0_5tupleIJibEEELb0ELb1EEENS1_16block_id_wrapperIjLb1EEEEEvT_jjPNS9_10value_typeET0_.has_indirect_call, 0
	.section	.AMDGPU.csdata,"",@progbits
; Kernel info:
; codeLenInByte = 440
; TotalNumSgprs: 18
; NumVgprs: 8
; ScratchSize: 0
; MemoryBound: 0
; FloatMode: 240
; IeeeMode: 1
; LDSByteSize: 0 bytes/workgroup (compile time only)
; SGPRBlocks: 0
; VGPRBlocks: 0
; NumSGPRsForWavesPerEU: 18
; NumVGPRsForWavesPerEU: 8
; Occupancy: 16
; WaveLimiterHint : 0
; COMPUTE_PGM_RSRC2:SCRATCH_EN: 0
; COMPUTE_PGM_RSRC2:USER_SGPR: 6
; COMPUTE_PGM_RSRC2:TRAP_HANDLER: 0
; COMPUTE_PGM_RSRC2:TGID_X_EN: 1
; COMPUTE_PGM_RSRC2:TGID_Y_EN: 0
; COMPUTE_PGM_RSRC2:TGID_Z_EN: 0
; COMPUTE_PGM_RSRC2:TIDIG_COMP_CNT: 0
	.section	.text._ZN7rocprim17ROCPRIM_400000_NS6detail17trampoline_kernelINS0_14default_configENS1_27scan_by_key_config_selectorIiiEEZZNS1_16scan_by_key_implILNS1_25lookback_scan_determinismE0ELb0ES3_PKiN6hipcub16HIPCUB_304000_NS21ConstantInputIteratorIilEEPiiNSB_3SumENSB_8EqualityEiEE10hipError_tPvRmT2_T3_T4_T5_mT6_T7_P12ihipStream_tbENKUlT_T0_E_clISt17integral_constantIbLb0EESW_IbLb1EEEEDaSS_ST_EUlSS_E_NS1_11comp_targetILNS1_3genE0ELNS1_11target_archE4294967295ELNS1_3gpuE0ELNS1_3repE0EEENS1_30default_config_static_selectorELNS0_4arch9wavefront6targetE0EEEvT1_,"axG",@progbits,_ZN7rocprim17ROCPRIM_400000_NS6detail17trampoline_kernelINS0_14default_configENS1_27scan_by_key_config_selectorIiiEEZZNS1_16scan_by_key_implILNS1_25lookback_scan_determinismE0ELb0ES3_PKiN6hipcub16HIPCUB_304000_NS21ConstantInputIteratorIilEEPiiNSB_3SumENSB_8EqualityEiEE10hipError_tPvRmT2_T3_T4_T5_mT6_T7_P12ihipStream_tbENKUlT_T0_E_clISt17integral_constantIbLb0EESW_IbLb1EEEEDaSS_ST_EUlSS_E_NS1_11comp_targetILNS1_3genE0ELNS1_11target_archE4294967295ELNS1_3gpuE0ELNS1_3repE0EEENS1_30default_config_static_selectorELNS0_4arch9wavefront6targetE0EEEvT1_,comdat
	.protected	_ZN7rocprim17ROCPRIM_400000_NS6detail17trampoline_kernelINS0_14default_configENS1_27scan_by_key_config_selectorIiiEEZZNS1_16scan_by_key_implILNS1_25lookback_scan_determinismE0ELb0ES3_PKiN6hipcub16HIPCUB_304000_NS21ConstantInputIteratorIilEEPiiNSB_3SumENSB_8EqualityEiEE10hipError_tPvRmT2_T3_T4_T5_mT6_T7_P12ihipStream_tbENKUlT_T0_E_clISt17integral_constantIbLb0EESW_IbLb1EEEEDaSS_ST_EUlSS_E_NS1_11comp_targetILNS1_3genE0ELNS1_11target_archE4294967295ELNS1_3gpuE0ELNS1_3repE0EEENS1_30default_config_static_selectorELNS0_4arch9wavefront6targetE0EEEvT1_ ; -- Begin function _ZN7rocprim17ROCPRIM_400000_NS6detail17trampoline_kernelINS0_14default_configENS1_27scan_by_key_config_selectorIiiEEZZNS1_16scan_by_key_implILNS1_25lookback_scan_determinismE0ELb0ES3_PKiN6hipcub16HIPCUB_304000_NS21ConstantInputIteratorIilEEPiiNSB_3SumENSB_8EqualityEiEE10hipError_tPvRmT2_T3_T4_T5_mT6_T7_P12ihipStream_tbENKUlT_T0_E_clISt17integral_constantIbLb0EESW_IbLb1EEEEDaSS_ST_EUlSS_E_NS1_11comp_targetILNS1_3genE0ELNS1_11target_archE4294967295ELNS1_3gpuE0ELNS1_3repE0EEENS1_30default_config_static_selectorELNS0_4arch9wavefront6targetE0EEEvT1_
	.globl	_ZN7rocprim17ROCPRIM_400000_NS6detail17trampoline_kernelINS0_14default_configENS1_27scan_by_key_config_selectorIiiEEZZNS1_16scan_by_key_implILNS1_25lookback_scan_determinismE0ELb0ES3_PKiN6hipcub16HIPCUB_304000_NS21ConstantInputIteratorIilEEPiiNSB_3SumENSB_8EqualityEiEE10hipError_tPvRmT2_T3_T4_T5_mT6_T7_P12ihipStream_tbENKUlT_T0_E_clISt17integral_constantIbLb0EESW_IbLb1EEEEDaSS_ST_EUlSS_E_NS1_11comp_targetILNS1_3genE0ELNS1_11target_archE4294967295ELNS1_3gpuE0ELNS1_3repE0EEENS1_30default_config_static_selectorELNS0_4arch9wavefront6targetE0EEEvT1_
	.p2align	8
	.type	_ZN7rocprim17ROCPRIM_400000_NS6detail17trampoline_kernelINS0_14default_configENS1_27scan_by_key_config_selectorIiiEEZZNS1_16scan_by_key_implILNS1_25lookback_scan_determinismE0ELb0ES3_PKiN6hipcub16HIPCUB_304000_NS21ConstantInputIteratorIilEEPiiNSB_3SumENSB_8EqualityEiEE10hipError_tPvRmT2_T3_T4_T5_mT6_T7_P12ihipStream_tbENKUlT_T0_E_clISt17integral_constantIbLb0EESW_IbLb1EEEEDaSS_ST_EUlSS_E_NS1_11comp_targetILNS1_3genE0ELNS1_11target_archE4294967295ELNS1_3gpuE0ELNS1_3repE0EEENS1_30default_config_static_selectorELNS0_4arch9wavefront6targetE0EEEvT1_,@function
_ZN7rocprim17ROCPRIM_400000_NS6detail17trampoline_kernelINS0_14default_configENS1_27scan_by_key_config_selectorIiiEEZZNS1_16scan_by_key_implILNS1_25lookback_scan_determinismE0ELb0ES3_PKiN6hipcub16HIPCUB_304000_NS21ConstantInputIteratorIilEEPiiNSB_3SumENSB_8EqualityEiEE10hipError_tPvRmT2_T3_T4_T5_mT6_T7_P12ihipStream_tbENKUlT_T0_E_clISt17integral_constantIbLb0EESW_IbLb1EEEEDaSS_ST_EUlSS_E_NS1_11comp_targetILNS1_3genE0ELNS1_11target_archE4294967295ELNS1_3gpuE0ELNS1_3repE0EEENS1_30default_config_static_selectorELNS0_4arch9wavefront6targetE0EEEvT1_: ; @_ZN7rocprim17ROCPRIM_400000_NS6detail17trampoline_kernelINS0_14default_configENS1_27scan_by_key_config_selectorIiiEEZZNS1_16scan_by_key_implILNS1_25lookback_scan_determinismE0ELb0ES3_PKiN6hipcub16HIPCUB_304000_NS21ConstantInputIteratorIilEEPiiNSB_3SumENSB_8EqualityEiEE10hipError_tPvRmT2_T3_T4_T5_mT6_T7_P12ihipStream_tbENKUlT_T0_E_clISt17integral_constantIbLb0EESW_IbLb1EEEEDaSS_ST_EUlSS_E_NS1_11comp_targetILNS1_3genE0ELNS1_11target_archE4294967295ELNS1_3gpuE0ELNS1_3repE0EEENS1_30default_config_static_selectorELNS0_4arch9wavefront6targetE0EEEvT1_
; %bb.0:
	.section	.rodata,"a",@progbits
	.p2align	6, 0x0
	.amdhsa_kernel _ZN7rocprim17ROCPRIM_400000_NS6detail17trampoline_kernelINS0_14default_configENS1_27scan_by_key_config_selectorIiiEEZZNS1_16scan_by_key_implILNS1_25lookback_scan_determinismE0ELb0ES3_PKiN6hipcub16HIPCUB_304000_NS21ConstantInputIteratorIilEEPiiNSB_3SumENSB_8EqualityEiEE10hipError_tPvRmT2_T3_T4_T5_mT6_T7_P12ihipStream_tbENKUlT_T0_E_clISt17integral_constantIbLb0EESW_IbLb1EEEEDaSS_ST_EUlSS_E_NS1_11comp_targetILNS1_3genE0ELNS1_11target_archE4294967295ELNS1_3gpuE0ELNS1_3repE0EEENS1_30default_config_static_selectorELNS0_4arch9wavefront6targetE0EEEvT1_
		.amdhsa_group_segment_fixed_size 0
		.amdhsa_private_segment_fixed_size 0
		.amdhsa_kernarg_size 120
		.amdhsa_user_sgpr_count 6
		.amdhsa_user_sgpr_private_segment_buffer 1
		.amdhsa_user_sgpr_dispatch_ptr 0
		.amdhsa_user_sgpr_queue_ptr 0
		.amdhsa_user_sgpr_kernarg_segment_ptr 1
		.amdhsa_user_sgpr_dispatch_id 0
		.amdhsa_user_sgpr_flat_scratch_init 0
		.amdhsa_user_sgpr_private_segment_size 0
		.amdhsa_wavefront_size32 1
		.amdhsa_uses_dynamic_stack 0
		.amdhsa_system_sgpr_private_segment_wavefront_offset 0
		.amdhsa_system_sgpr_workgroup_id_x 1
		.amdhsa_system_sgpr_workgroup_id_y 0
		.amdhsa_system_sgpr_workgroup_id_z 0
		.amdhsa_system_sgpr_workgroup_info 0
		.amdhsa_system_vgpr_workitem_id 0
		.amdhsa_next_free_vgpr 1
		.amdhsa_next_free_sgpr 1
		.amdhsa_reserve_vcc 0
		.amdhsa_reserve_flat_scratch 0
		.amdhsa_float_round_mode_32 0
		.amdhsa_float_round_mode_16_64 0
		.amdhsa_float_denorm_mode_32 3
		.amdhsa_float_denorm_mode_16_64 3
		.amdhsa_dx10_clamp 1
		.amdhsa_ieee_mode 1
		.amdhsa_fp16_overflow 0
		.amdhsa_workgroup_processor_mode 1
		.amdhsa_memory_ordered 1
		.amdhsa_forward_progress 1
		.amdhsa_shared_vgpr_count 0
		.amdhsa_exception_fp_ieee_invalid_op 0
		.amdhsa_exception_fp_denorm_src 0
		.amdhsa_exception_fp_ieee_div_zero 0
		.amdhsa_exception_fp_ieee_overflow 0
		.amdhsa_exception_fp_ieee_underflow 0
		.amdhsa_exception_fp_ieee_inexact 0
		.amdhsa_exception_int_div_zero 0
	.end_amdhsa_kernel
	.section	.text._ZN7rocprim17ROCPRIM_400000_NS6detail17trampoline_kernelINS0_14default_configENS1_27scan_by_key_config_selectorIiiEEZZNS1_16scan_by_key_implILNS1_25lookback_scan_determinismE0ELb0ES3_PKiN6hipcub16HIPCUB_304000_NS21ConstantInputIteratorIilEEPiiNSB_3SumENSB_8EqualityEiEE10hipError_tPvRmT2_T3_T4_T5_mT6_T7_P12ihipStream_tbENKUlT_T0_E_clISt17integral_constantIbLb0EESW_IbLb1EEEEDaSS_ST_EUlSS_E_NS1_11comp_targetILNS1_3genE0ELNS1_11target_archE4294967295ELNS1_3gpuE0ELNS1_3repE0EEENS1_30default_config_static_selectorELNS0_4arch9wavefront6targetE0EEEvT1_,"axG",@progbits,_ZN7rocprim17ROCPRIM_400000_NS6detail17trampoline_kernelINS0_14default_configENS1_27scan_by_key_config_selectorIiiEEZZNS1_16scan_by_key_implILNS1_25lookback_scan_determinismE0ELb0ES3_PKiN6hipcub16HIPCUB_304000_NS21ConstantInputIteratorIilEEPiiNSB_3SumENSB_8EqualityEiEE10hipError_tPvRmT2_T3_T4_T5_mT6_T7_P12ihipStream_tbENKUlT_T0_E_clISt17integral_constantIbLb0EESW_IbLb1EEEEDaSS_ST_EUlSS_E_NS1_11comp_targetILNS1_3genE0ELNS1_11target_archE4294967295ELNS1_3gpuE0ELNS1_3repE0EEENS1_30default_config_static_selectorELNS0_4arch9wavefront6targetE0EEEvT1_,comdat
.Lfunc_end43:
	.size	_ZN7rocprim17ROCPRIM_400000_NS6detail17trampoline_kernelINS0_14default_configENS1_27scan_by_key_config_selectorIiiEEZZNS1_16scan_by_key_implILNS1_25lookback_scan_determinismE0ELb0ES3_PKiN6hipcub16HIPCUB_304000_NS21ConstantInputIteratorIilEEPiiNSB_3SumENSB_8EqualityEiEE10hipError_tPvRmT2_T3_T4_T5_mT6_T7_P12ihipStream_tbENKUlT_T0_E_clISt17integral_constantIbLb0EESW_IbLb1EEEEDaSS_ST_EUlSS_E_NS1_11comp_targetILNS1_3genE0ELNS1_11target_archE4294967295ELNS1_3gpuE0ELNS1_3repE0EEENS1_30default_config_static_selectorELNS0_4arch9wavefront6targetE0EEEvT1_, .Lfunc_end43-_ZN7rocprim17ROCPRIM_400000_NS6detail17trampoline_kernelINS0_14default_configENS1_27scan_by_key_config_selectorIiiEEZZNS1_16scan_by_key_implILNS1_25lookback_scan_determinismE0ELb0ES3_PKiN6hipcub16HIPCUB_304000_NS21ConstantInputIteratorIilEEPiiNSB_3SumENSB_8EqualityEiEE10hipError_tPvRmT2_T3_T4_T5_mT6_T7_P12ihipStream_tbENKUlT_T0_E_clISt17integral_constantIbLb0EESW_IbLb1EEEEDaSS_ST_EUlSS_E_NS1_11comp_targetILNS1_3genE0ELNS1_11target_archE4294967295ELNS1_3gpuE0ELNS1_3repE0EEENS1_30default_config_static_selectorELNS0_4arch9wavefront6targetE0EEEvT1_
                                        ; -- End function
	.set _ZN7rocprim17ROCPRIM_400000_NS6detail17trampoline_kernelINS0_14default_configENS1_27scan_by_key_config_selectorIiiEEZZNS1_16scan_by_key_implILNS1_25lookback_scan_determinismE0ELb0ES3_PKiN6hipcub16HIPCUB_304000_NS21ConstantInputIteratorIilEEPiiNSB_3SumENSB_8EqualityEiEE10hipError_tPvRmT2_T3_T4_T5_mT6_T7_P12ihipStream_tbENKUlT_T0_E_clISt17integral_constantIbLb0EESW_IbLb1EEEEDaSS_ST_EUlSS_E_NS1_11comp_targetILNS1_3genE0ELNS1_11target_archE4294967295ELNS1_3gpuE0ELNS1_3repE0EEENS1_30default_config_static_selectorELNS0_4arch9wavefront6targetE0EEEvT1_.num_vgpr, 0
	.set _ZN7rocprim17ROCPRIM_400000_NS6detail17trampoline_kernelINS0_14default_configENS1_27scan_by_key_config_selectorIiiEEZZNS1_16scan_by_key_implILNS1_25lookback_scan_determinismE0ELb0ES3_PKiN6hipcub16HIPCUB_304000_NS21ConstantInputIteratorIilEEPiiNSB_3SumENSB_8EqualityEiEE10hipError_tPvRmT2_T3_T4_T5_mT6_T7_P12ihipStream_tbENKUlT_T0_E_clISt17integral_constantIbLb0EESW_IbLb1EEEEDaSS_ST_EUlSS_E_NS1_11comp_targetILNS1_3genE0ELNS1_11target_archE4294967295ELNS1_3gpuE0ELNS1_3repE0EEENS1_30default_config_static_selectorELNS0_4arch9wavefront6targetE0EEEvT1_.num_agpr, 0
	.set _ZN7rocprim17ROCPRIM_400000_NS6detail17trampoline_kernelINS0_14default_configENS1_27scan_by_key_config_selectorIiiEEZZNS1_16scan_by_key_implILNS1_25lookback_scan_determinismE0ELb0ES3_PKiN6hipcub16HIPCUB_304000_NS21ConstantInputIteratorIilEEPiiNSB_3SumENSB_8EqualityEiEE10hipError_tPvRmT2_T3_T4_T5_mT6_T7_P12ihipStream_tbENKUlT_T0_E_clISt17integral_constantIbLb0EESW_IbLb1EEEEDaSS_ST_EUlSS_E_NS1_11comp_targetILNS1_3genE0ELNS1_11target_archE4294967295ELNS1_3gpuE0ELNS1_3repE0EEENS1_30default_config_static_selectorELNS0_4arch9wavefront6targetE0EEEvT1_.numbered_sgpr, 0
	.set _ZN7rocprim17ROCPRIM_400000_NS6detail17trampoline_kernelINS0_14default_configENS1_27scan_by_key_config_selectorIiiEEZZNS1_16scan_by_key_implILNS1_25lookback_scan_determinismE0ELb0ES3_PKiN6hipcub16HIPCUB_304000_NS21ConstantInputIteratorIilEEPiiNSB_3SumENSB_8EqualityEiEE10hipError_tPvRmT2_T3_T4_T5_mT6_T7_P12ihipStream_tbENKUlT_T0_E_clISt17integral_constantIbLb0EESW_IbLb1EEEEDaSS_ST_EUlSS_E_NS1_11comp_targetILNS1_3genE0ELNS1_11target_archE4294967295ELNS1_3gpuE0ELNS1_3repE0EEENS1_30default_config_static_selectorELNS0_4arch9wavefront6targetE0EEEvT1_.num_named_barrier, 0
	.set _ZN7rocprim17ROCPRIM_400000_NS6detail17trampoline_kernelINS0_14default_configENS1_27scan_by_key_config_selectorIiiEEZZNS1_16scan_by_key_implILNS1_25lookback_scan_determinismE0ELb0ES3_PKiN6hipcub16HIPCUB_304000_NS21ConstantInputIteratorIilEEPiiNSB_3SumENSB_8EqualityEiEE10hipError_tPvRmT2_T3_T4_T5_mT6_T7_P12ihipStream_tbENKUlT_T0_E_clISt17integral_constantIbLb0EESW_IbLb1EEEEDaSS_ST_EUlSS_E_NS1_11comp_targetILNS1_3genE0ELNS1_11target_archE4294967295ELNS1_3gpuE0ELNS1_3repE0EEENS1_30default_config_static_selectorELNS0_4arch9wavefront6targetE0EEEvT1_.private_seg_size, 0
	.set _ZN7rocprim17ROCPRIM_400000_NS6detail17trampoline_kernelINS0_14default_configENS1_27scan_by_key_config_selectorIiiEEZZNS1_16scan_by_key_implILNS1_25lookback_scan_determinismE0ELb0ES3_PKiN6hipcub16HIPCUB_304000_NS21ConstantInputIteratorIilEEPiiNSB_3SumENSB_8EqualityEiEE10hipError_tPvRmT2_T3_T4_T5_mT6_T7_P12ihipStream_tbENKUlT_T0_E_clISt17integral_constantIbLb0EESW_IbLb1EEEEDaSS_ST_EUlSS_E_NS1_11comp_targetILNS1_3genE0ELNS1_11target_archE4294967295ELNS1_3gpuE0ELNS1_3repE0EEENS1_30default_config_static_selectorELNS0_4arch9wavefront6targetE0EEEvT1_.uses_vcc, 0
	.set _ZN7rocprim17ROCPRIM_400000_NS6detail17trampoline_kernelINS0_14default_configENS1_27scan_by_key_config_selectorIiiEEZZNS1_16scan_by_key_implILNS1_25lookback_scan_determinismE0ELb0ES3_PKiN6hipcub16HIPCUB_304000_NS21ConstantInputIteratorIilEEPiiNSB_3SumENSB_8EqualityEiEE10hipError_tPvRmT2_T3_T4_T5_mT6_T7_P12ihipStream_tbENKUlT_T0_E_clISt17integral_constantIbLb0EESW_IbLb1EEEEDaSS_ST_EUlSS_E_NS1_11comp_targetILNS1_3genE0ELNS1_11target_archE4294967295ELNS1_3gpuE0ELNS1_3repE0EEENS1_30default_config_static_selectorELNS0_4arch9wavefront6targetE0EEEvT1_.uses_flat_scratch, 0
	.set _ZN7rocprim17ROCPRIM_400000_NS6detail17trampoline_kernelINS0_14default_configENS1_27scan_by_key_config_selectorIiiEEZZNS1_16scan_by_key_implILNS1_25lookback_scan_determinismE0ELb0ES3_PKiN6hipcub16HIPCUB_304000_NS21ConstantInputIteratorIilEEPiiNSB_3SumENSB_8EqualityEiEE10hipError_tPvRmT2_T3_T4_T5_mT6_T7_P12ihipStream_tbENKUlT_T0_E_clISt17integral_constantIbLb0EESW_IbLb1EEEEDaSS_ST_EUlSS_E_NS1_11comp_targetILNS1_3genE0ELNS1_11target_archE4294967295ELNS1_3gpuE0ELNS1_3repE0EEENS1_30default_config_static_selectorELNS0_4arch9wavefront6targetE0EEEvT1_.has_dyn_sized_stack, 0
	.set _ZN7rocprim17ROCPRIM_400000_NS6detail17trampoline_kernelINS0_14default_configENS1_27scan_by_key_config_selectorIiiEEZZNS1_16scan_by_key_implILNS1_25lookback_scan_determinismE0ELb0ES3_PKiN6hipcub16HIPCUB_304000_NS21ConstantInputIteratorIilEEPiiNSB_3SumENSB_8EqualityEiEE10hipError_tPvRmT2_T3_T4_T5_mT6_T7_P12ihipStream_tbENKUlT_T0_E_clISt17integral_constantIbLb0EESW_IbLb1EEEEDaSS_ST_EUlSS_E_NS1_11comp_targetILNS1_3genE0ELNS1_11target_archE4294967295ELNS1_3gpuE0ELNS1_3repE0EEENS1_30default_config_static_selectorELNS0_4arch9wavefront6targetE0EEEvT1_.has_recursion, 0
	.set _ZN7rocprim17ROCPRIM_400000_NS6detail17trampoline_kernelINS0_14default_configENS1_27scan_by_key_config_selectorIiiEEZZNS1_16scan_by_key_implILNS1_25lookback_scan_determinismE0ELb0ES3_PKiN6hipcub16HIPCUB_304000_NS21ConstantInputIteratorIilEEPiiNSB_3SumENSB_8EqualityEiEE10hipError_tPvRmT2_T3_T4_T5_mT6_T7_P12ihipStream_tbENKUlT_T0_E_clISt17integral_constantIbLb0EESW_IbLb1EEEEDaSS_ST_EUlSS_E_NS1_11comp_targetILNS1_3genE0ELNS1_11target_archE4294967295ELNS1_3gpuE0ELNS1_3repE0EEENS1_30default_config_static_selectorELNS0_4arch9wavefront6targetE0EEEvT1_.has_indirect_call, 0
	.section	.AMDGPU.csdata,"",@progbits
; Kernel info:
; codeLenInByte = 0
; TotalNumSgprs: 0
; NumVgprs: 0
; ScratchSize: 0
; MemoryBound: 0
; FloatMode: 240
; IeeeMode: 1
; LDSByteSize: 0 bytes/workgroup (compile time only)
; SGPRBlocks: 0
; VGPRBlocks: 0
; NumSGPRsForWavesPerEU: 1
; NumVGPRsForWavesPerEU: 1
; Occupancy: 16
; WaveLimiterHint : 0
; COMPUTE_PGM_RSRC2:SCRATCH_EN: 0
; COMPUTE_PGM_RSRC2:USER_SGPR: 6
; COMPUTE_PGM_RSRC2:TRAP_HANDLER: 0
; COMPUTE_PGM_RSRC2:TGID_X_EN: 1
; COMPUTE_PGM_RSRC2:TGID_Y_EN: 0
; COMPUTE_PGM_RSRC2:TGID_Z_EN: 0
; COMPUTE_PGM_RSRC2:TIDIG_COMP_CNT: 0
	.section	.text._ZN7rocprim17ROCPRIM_400000_NS6detail17trampoline_kernelINS0_14default_configENS1_27scan_by_key_config_selectorIiiEEZZNS1_16scan_by_key_implILNS1_25lookback_scan_determinismE0ELb0ES3_PKiN6hipcub16HIPCUB_304000_NS21ConstantInputIteratorIilEEPiiNSB_3SumENSB_8EqualityEiEE10hipError_tPvRmT2_T3_T4_T5_mT6_T7_P12ihipStream_tbENKUlT_T0_E_clISt17integral_constantIbLb0EESW_IbLb1EEEEDaSS_ST_EUlSS_E_NS1_11comp_targetILNS1_3genE10ELNS1_11target_archE1201ELNS1_3gpuE5ELNS1_3repE0EEENS1_30default_config_static_selectorELNS0_4arch9wavefront6targetE0EEEvT1_,"axG",@progbits,_ZN7rocprim17ROCPRIM_400000_NS6detail17trampoline_kernelINS0_14default_configENS1_27scan_by_key_config_selectorIiiEEZZNS1_16scan_by_key_implILNS1_25lookback_scan_determinismE0ELb0ES3_PKiN6hipcub16HIPCUB_304000_NS21ConstantInputIteratorIilEEPiiNSB_3SumENSB_8EqualityEiEE10hipError_tPvRmT2_T3_T4_T5_mT6_T7_P12ihipStream_tbENKUlT_T0_E_clISt17integral_constantIbLb0EESW_IbLb1EEEEDaSS_ST_EUlSS_E_NS1_11comp_targetILNS1_3genE10ELNS1_11target_archE1201ELNS1_3gpuE5ELNS1_3repE0EEENS1_30default_config_static_selectorELNS0_4arch9wavefront6targetE0EEEvT1_,comdat
	.protected	_ZN7rocprim17ROCPRIM_400000_NS6detail17trampoline_kernelINS0_14default_configENS1_27scan_by_key_config_selectorIiiEEZZNS1_16scan_by_key_implILNS1_25lookback_scan_determinismE0ELb0ES3_PKiN6hipcub16HIPCUB_304000_NS21ConstantInputIteratorIilEEPiiNSB_3SumENSB_8EqualityEiEE10hipError_tPvRmT2_T3_T4_T5_mT6_T7_P12ihipStream_tbENKUlT_T0_E_clISt17integral_constantIbLb0EESW_IbLb1EEEEDaSS_ST_EUlSS_E_NS1_11comp_targetILNS1_3genE10ELNS1_11target_archE1201ELNS1_3gpuE5ELNS1_3repE0EEENS1_30default_config_static_selectorELNS0_4arch9wavefront6targetE0EEEvT1_ ; -- Begin function _ZN7rocprim17ROCPRIM_400000_NS6detail17trampoline_kernelINS0_14default_configENS1_27scan_by_key_config_selectorIiiEEZZNS1_16scan_by_key_implILNS1_25lookback_scan_determinismE0ELb0ES3_PKiN6hipcub16HIPCUB_304000_NS21ConstantInputIteratorIilEEPiiNSB_3SumENSB_8EqualityEiEE10hipError_tPvRmT2_T3_T4_T5_mT6_T7_P12ihipStream_tbENKUlT_T0_E_clISt17integral_constantIbLb0EESW_IbLb1EEEEDaSS_ST_EUlSS_E_NS1_11comp_targetILNS1_3genE10ELNS1_11target_archE1201ELNS1_3gpuE5ELNS1_3repE0EEENS1_30default_config_static_selectorELNS0_4arch9wavefront6targetE0EEEvT1_
	.globl	_ZN7rocprim17ROCPRIM_400000_NS6detail17trampoline_kernelINS0_14default_configENS1_27scan_by_key_config_selectorIiiEEZZNS1_16scan_by_key_implILNS1_25lookback_scan_determinismE0ELb0ES3_PKiN6hipcub16HIPCUB_304000_NS21ConstantInputIteratorIilEEPiiNSB_3SumENSB_8EqualityEiEE10hipError_tPvRmT2_T3_T4_T5_mT6_T7_P12ihipStream_tbENKUlT_T0_E_clISt17integral_constantIbLb0EESW_IbLb1EEEEDaSS_ST_EUlSS_E_NS1_11comp_targetILNS1_3genE10ELNS1_11target_archE1201ELNS1_3gpuE5ELNS1_3repE0EEENS1_30default_config_static_selectorELNS0_4arch9wavefront6targetE0EEEvT1_
	.p2align	8
	.type	_ZN7rocprim17ROCPRIM_400000_NS6detail17trampoline_kernelINS0_14default_configENS1_27scan_by_key_config_selectorIiiEEZZNS1_16scan_by_key_implILNS1_25lookback_scan_determinismE0ELb0ES3_PKiN6hipcub16HIPCUB_304000_NS21ConstantInputIteratorIilEEPiiNSB_3SumENSB_8EqualityEiEE10hipError_tPvRmT2_T3_T4_T5_mT6_T7_P12ihipStream_tbENKUlT_T0_E_clISt17integral_constantIbLb0EESW_IbLb1EEEEDaSS_ST_EUlSS_E_NS1_11comp_targetILNS1_3genE10ELNS1_11target_archE1201ELNS1_3gpuE5ELNS1_3repE0EEENS1_30default_config_static_selectorELNS0_4arch9wavefront6targetE0EEEvT1_,@function
_ZN7rocprim17ROCPRIM_400000_NS6detail17trampoline_kernelINS0_14default_configENS1_27scan_by_key_config_selectorIiiEEZZNS1_16scan_by_key_implILNS1_25lookback_scan_determinismE0ELb0ES3_PKiN6hipcub16HIPCUB_304000_NS21ConstantInputIteratorIilEEPiiNSB_3SumENSB_8EqualityEiEE10hipError_tPvRmT2_T3_T4_T5_mT6_T7_P12ihipStream_tbENKUlT_T0_E_clISt17integral_constantIbLb0EESW_IbLb1EEEEDaSS_ST_EUlSS_E_NS1_11comp_targetILNS1_3genE10ELNS1_11target_archE1201ELNS1_3gpuE5ELNS1_3repE0EEENS1_30default_config_static_selectorELNS0_4arch9wavefront6targetE0EEEvT1_: ; @_ZN7rocprim17ROCPRIM_400000_NS6detail17trampoline_kernelINS0_14default_configENS1_27scan_by_key_config_selectorIiiEEZZNS1_16scan_by_key_implILNS1_25lookback_scan_determinismE0ELb0ES3_PKiN6hipcub16HIPCUB_304000_NS21ConstantInputIteratorIilEEPiiNSB_3SumENSB_8EqualityEiEE10hipError_tPvRmT2_T3_T4_T5_mT6_T7_P12ihipStream_tbENKUlT_T0_E_clISt17integral_constantIbLb0EESW_IbLb1EEEEDaSS_ST_EUlSS_E_NS1_11comp_targetILNS1_3genE10ELNS1_11target_archE1201ELNS1_3gpuE5ELNS1_3repE0EEENS1_30default_config_static_selectorELNS0_4arch9wavefront6targetE0EEEvT1_
; %bb.0:
	.section	.rodata,"a",@progbits
	.p2align	6, 0x0
	.amdhsa_kernel _ZN7rocprim17ROCPRIM_400000_NS6detail17trampoline_kernelINS0_14default_configENS1_27scan_by_key_config_selectorIiiEEZZNS1_16scan_by_key_implILNS1_25lookback_scan_determinismE0ELb0ES3_PKiN6hipcub16HIPCUB_304000_NS21ConstantInputIteratorIilEEPiiNSB_3SumENSB_8EqualityEiEE10hipError_tPvRmT2_T3_T4_T5_mT6_T7_P12ihipStream_tbENKUlT_T0_E_clISt17integral_constantIbLb0EESW_IbLb1EEEEDaSS_ST_EUlSS_E_NS1_11comp_targetILNS1_3genE10ELNS1_11target_archE1201ELNS1_3gpuE5ELNS1_3repE0EEENS1_30default_config_static_selectorELNS0_4arch9wavefront6targetE0EEEvT1_
		.amdhsa_group_segment_fixed_size 0
		.amdhsa_private_segment_fixed_size 0
		.amdhsa_kernarg_size 120
		.amdhsa_user_sgpr_count 6
		.amdhsa_user_sgpr_private_segment_buffer 1
		.amdhsa_user_sgpr_dispatch_ptr 0
		.amdhsa_user_sgpr_queue_ptr 0
		.amdhsa_user_sgpr_kernarg_segment_ptr 1
		.amdhsa_user_sgpr_dispatch_id 0
		.amdhsa_user_sgpr_flat_scratch_init 0
		.amdhsa_user_sgpr_private_segment_size 0
		.amdhsa_wavefront_size32 1
		.amdhsa_uses_dynamic_stack 0
		.amdhsa_system_sgpr_private_segment_wavefront_offset 0
		.amdhsa_system_sgpr_workgroup_id_x 1
		.amdhsa_system_sgpr_workgroup_id_y 0
		.amdhsa_system_sgpr_workgroup_id_z 0
		.amdhsa_system_sgpr_workgroup_info 0
		.amdhsa_system_vgpr_workitem_id 0
		.amdhsa_next_free_vgpr 1
		.amdhsa_next_free_sgpr 1
		.amdhsa_reserve_vcc 0
		.amdhsa_reserve_flat_scratch 0
		.amdhsa_float_round_mode_32 0
		.amdhsa_float_round_mode_16_64 0
		.amdhsa_float_denorm_mode_32 3
		.amdhsa_float_denorm_mode_16_64 3
		.amdhsa_dx10_clamp 1
		.amdhsa_ieee_mode 1
		.amdhsa_fp16_overflow 0
		.amdhsa_workgroup_processor_mode 1
		.amdhsa_memory_ordered 1
		.amdhsa_forward_progress 1
		.amdhsa_shared_vgpr_count 0
		.amdhsa_exception_fp_ieee_invalid_op 0
		.amdhsa_exception_fp_denorm_src 0
		.amdhsa_exception_fp_ieee_div_zero 0
		.amdhsa_exception_fp_ieee_overflow 0
		.amdhsa_exception_fp_ieee_underflow 0
		.amdhsa_exception_fp_ieee_inexact 0
		.amdhsa_exception_int_div_zero 0
	.end_amdhsa_kernel
	.section	.text._ZN7rocprim17ROCPRIM_400000_NS6detail17trampoline_kernelINS0_14default_configENS1_27scan_by_key_config_selectorIiiEEZZNS1_16scan_by_key_implILNS1_25lookback_scan_determinismE0ELb0ES3_PKiN6hipcub16HIPCUB_304000_NS21ConstantInputIteratorIilEEPiiNSB_3SumENSB_8EqualityEiEE10hipError_tPvRmT2_T3_T4_T5_mT6_T7_P12ihipStream_tbENKUlT_T0_E_clISt17integral_constantIbLb0EESW_IbLb1EEEEDaSS_ST_EUlSS_E_NS1_11comp_targetILNS1_3genE10ELNS1_11target_archE1201ELNS1_3gpuE5ELNS1_3repE0EEENS1_30default_config_static_selectorELNS0_4arch9wavefront6targetE0EEEvT1_,"axG",@progbits,_ZN7rocprim17ROCPRIM_400000_NS6detail17trampoline_kernelINS0_14default_configENS1_27scan_by_key_config_selectorIiiEEZZNS1_16scan_by_key_implILNS1_25lookback_scan_determinismE0ELb0ES3_PKiN6hipcub16HIPCUB_304000_NS21ConstantInputIteratorIilEEPiiNSB_3SumENSB_8EqualityEiEE10hipError_tPvRmT2_T3_T4_T5_mT6_T7_P12ihipStream_tbENKUlT_T0_E_clISt17integral_constantIbLb0EESW_IbLb1EEEEDaSS_ST_EUlSS_E_NS1_11comp_targetILNS1_3genE10ELNS1_11target_archE1201ELNS1_3gpuE5ELNS1_3repE0EEENS1_30default_config_static_selectorELNS0_4arch9wavefront6targetE0EEEvT1_,comdat
.Lfunc_end44:
	.size	_ZN7rocprim17ROCPRIM_400000_NS6detail17trampoline_kernelINS0_14default_configENS1_27scan_by_key_config_selectorIiiEEZZNS1_16scan_by_key_implILNS1_25lookback_scan_determinismE0ELb0ES3_PKiN6hipcub16HIPCUB_304000_NS21ConstantInputIteratorIilEEPiiNSB_3SumENSB_8EqualityEiEE10hipError_tPvRmT2_T3_T4_T5_mT6_T7_P12ihipStream_tbENKUlT_T0_E_clISt17integral_constantIbLb0EESW_IbLb1EEEEDaSS_ST_EUlSS_E_NS1_11comp_targetILNS1_3genE10ELNS1_11target_archE1201ELNS1_3gpuE5ELNS1_3repE0EEENS1_30default_config_static_selectorELNS0_4arch9wavefront6targetE0EEEvT1_, .Lfunc_end44-_ZN7rocprim17ROCPRIM_400000_NS6detail17trampoline_kernelINS0_14default_configENS1_27scan_by_key_config_selectorIiiEEZZNS1_16scan_by_key_implILNS1_25lookback_scan_determinismE0ELb0ES3_PKiN6hipcub16HIPCUB_304000_NS21ConstantInputIteratorIilEEPiiNSB_3SumENSB_8EqualityEiEE10hipError_tPvRmT2_T3_T4_T5_mT6_T7_P12ihipStream_tbENKUlT_T0_E_clISt17integral_constantIbLb0EESW_IbLb1EEEEDaSS_ST_EUlSS_E_NS1_11comp_targetILNS1_3genE10ELNS1_11target_archE1201ELNS1_3gpuE5ELNS1_3repE0EEENS1_30default_config_static_selectorELNS0_4arch9wavefront6targetE0EEEvT1_
                                        ; -- End function
	.set _ZN7rocprim17ROCPRIM_400000_NS6detail17trampoline_kernelINS0_14default_configENS1_27scan_by_key_config_selectorIiiEEZZNS1_16scan_by_key_implILNS1_25lookback_scan_determinismE0ELb0ES3_PKiN6hipcub16HIPCUB_304000_NS21ConstantInputIteratorIilEEPiiNSB_3SumENSB_8EqualityEiEE10hipError_tPvRmT2_T3_T4_T5_mT6_T7_P12ihipStream_tbENKUlT_T0_E_clISt17integral_constantIbLb0EESW_IbLb1EEEEDaSS_ST_EUlSS_E_NS1_11comp_targetILNS1_3genE10ELNS1_11target_archE1201ELNS1_3gpuE5ELNS1_3repE0EEENS1_30default_config_static_selectorELNS0_4arch9wavefront6targetE0EEEvT1_.num_vgpr, 0
	.set _ZN7rocprim17ROCPRIM_400000_NS6detail17trampoline_kernelINS0_14default_configENS1_27scan_by_key_config_selectorIiiEEZZNS1_16scan_by_key_implILNS1_25lookback_scan_determinismE0ELb0ES3_PKiN6hipcub16HIPCUB_304000_NS21ConstantInputIteratorIilEEPiiNSB_3SumENSB_8EqualityEiEE10hipError_tPvRmT2_T3_T4_T5_mT6_T7_P12ihipStream_tbENKUlT_T0_E_clISt17integral_constantIbLb0EESW_IbLb1EEEEDaSS_ST_EUlSS_E_NS1_11comp_targetILNS1_3genE10ELNS1_11target_archE1201ELNS1_3gpuE5ELNS1_3repE0EEENS1_30default_config_static_selectorELNS0_4arch9wavefront6targetE0EEEvT1_.num_agpr, 0
	.set _ZN7rocprim17ROCPRIM_400000_NS6detail17trampoline_kernelINS0_14default_configENS1_27scan_by_key_config_selectorIiiEEZZNS1_16scan_by_key_implILNS1_25lookback_scan_determinismE0ELb0ES3_PKiN6hipcub16HIPCUB_304000_NS21ConstantInputIteratorIilEEPiiNSB_3SumENSB_8EqualityEiEE10hipError_tPvRmT2_T3_T4_T5_mT6_T7_P12ihipStream_tbENKUlT_T0_E_clISt17integral_constantIbLb0EESW_IbLb1EEEEDaSS_ST_EUlSS_E_NS1_11comp_targetILNS1_3genE10ELNS1_11target_archE1201ELNS1_3gpuE5ELNS1_3repE0EEENS1_30default_config_static_selectorELNS0_4arch9wavefront6targetE0EEEvT1_.numbered_sgpr, 0
	.set _ZN7rocprim17ROCPRIM_400000_NS6detail17trampoline_kernelINS0_14default_configENS1_27scan_by_key_config_selectorIiiEEZZNS1_16scan_by_key_implILNS1_25lookback_scan_determinismE0ELb0ES3_PKiN6hipcub16HIPCUB_304000_NS21ConstantInputIteratorIilEEPiiNSB_3SumENSB_8EqualityEiEE10hipError_tPvRmT2_T3_T4_T5_mT6_T7_P12ihipStream_tbENKUlT_T0_E_clISt17integral_constantIbLb0EESW_IbLb1EEEEDaSS_ST_EUlSS_E_NS1_11comp_targetILNS1_3genE10ELNS1_11target_archE1201ELNS1_3gpuE5ELNS1_3repE0EEENS1_30default_config_static_selectorELNS0_4arch9wavefront6targetE0EEEvT1_.num_named_barrier, 0
	.set _ZN7rocprim17ROCPRIM_400000_NS6detail17trampoline_kernelINS0_14default_configENS1_27scan_by_key_config_selectorIiiEEZZNS1_16scan_by_key_implILNS1_25lookback_scan_determinismE0ELb0ES3_PKiN6hipcub16HIPCUB_304000_NS21ConstantInputIteratorIilEEPiiNSB_3SumENSB_8EqualityEiEE10hipError_tPvRmT2_T3_T4_T5_mT6_T7_P12ihipStream_tbENKUlT_T0_E_clISt17integral_constantIbLb0EESW_IbLb1EEEEDaSS_ST_EUlSS_E_NS1_11comp_targetILNS1_3genE10ELNS1_11target_archE1201ELNS1_3gpuE5ELNS1_3repE0EEENS1_30default_config_static_selectorELNS0_4arch9wavefront6targetE0EEEvT1_.private_seg_size, 0
	.set _ZN7rocprim17ROCPRIM_400000_NS6detail17trampoline_kernelINS0_14default_configENS1_27scan_by_key_config_selectorIiiEEZZNS1_16scan_by_key_implILNS1_25lookback_scan_determinismE0ELb0ES3_PKiN6hipcub16HIPCUB_304000_NS21ConstantInputIteratorIilEEPiiNSB_3SumENSB_8EqualityEiEE10hipError_tPvRmT2_T3_T4_T5_mT6_T7_P12ihipStream_tbENKUlT_T0_E_clISt17integral_constantIbLb0EESW_IbLb1EEEEDaSS_ST_EUlSS_E_NS1_11comp_targetILNS1_3genE10ELNS1_11target_archE1201ELNS1_3gpuE5ELNS1_3repE0EEENS1_30default_config_static_selectorELNS0_4arch9wavefront6targetE0EEEvT1_.uses_vcc, 0
	.set _ZN7rocprim17ROCPRIM_400000_NS6detail17trampoline_kernelINS0_14default_configENS1_27scan_by_key_config_selectorIiiEEZZNS1_16scan_by_key_implILNS1_25lookback_scan_determinismE0ELb0ES3_PKiN6hipcub16HIPCUB_304000_NS21ConstantInputIteratorIilEEPiiNSB_3SumENSB_8EqualityEiEE10hipError_tPvRmT2_T3_T4_T5_mT6_T7_P12ihipStream_tbENKUlT_T0_E_clISt17integral_constantIbLb0EESW_IbLb1EEEEDaSS_ST_EUlSS_E_NS1_11comp_targetILNS1_3genE10ELNS1_11target_archE1201ELNS1_3gpuE5ELNS1_3repE0EEENS1_30default_config_static_selectorELNS0_4arch9wavefront6targetE0EEEvT1_.uses_flat_scratch, 0
	.set _ZN7rocprim17ROCPRIM_400000_NS6detail17trampoline_kernelINS0_14default_configENS1_27scan_by_key_config_selectorIiiEEZZNS1_16scan_by_key_implILNS1_25lookback_scan_determinismE0ELb0ES3_PKiN6hipcub16HIPCUB_304000_NS21ConstantInputIteratorIilEEPiiNSB_3SumENSB_8EqualityEiEE10hipError_tPvRmT2_T3_T4_T5_mT6_T7_P12ihipStream_tbENKUlT_T0_E_clISt17integral_constantIbLb0EESW_IbLb1EEEEDaSS_ST_EUlSS_E_NS1_11comp_targetILNS1_3genE10ELNS1_11target_archE1201ELNS1_3gpuE5ELNS1_3repE0EEENS1_30default_config_static_selectorELNS0_4arch9wavefront6targetE0EEEvT1_.has_dyn_sized_stack, 0
	.set _ZN7rocprim17ROCPRIM_400000_NS6detail17trampoline_kernelINS0_14default_configENS1_27scan_by_key_config_selectorIiiEEZZNS1_16scan_by_key_implILNS1_25lookback_scan_determinismE0ELb0ES3_PKiN6hipcub16HIPCUB_304000_NS21ConstantInputIteratorIilEEPiiNSB_3SumENSB_8EqualityEiEE10hipError_tPvRmT2_T3_T4_T5_mT6_T7_P12ihipStream_tbENKUlT_T0_E_clISt17integral_constantIbLb0EESW_IbLb1EEEEDaSS_ST_EUlSS_E_NS1_11comp_targetILNS1_3genE10ELNS1_11target_archE1201ELNS1_3gpuE5ELNS1_3repE0EEENS1_30default_config_static_selectorELNS0_4arch9wavefront6targetE0EEEvT1_.has_recursion, 0
	.set _ZN7rocprim17ROCPRIM_400000_NS6detail17trampoline_kernelINS0_14default_configENS1_27scan_by_key_config_selectorIiiEEZZNS1_16scan_by_key_implILNS1_25lookback_scan_determinismE0ELb0ES3_PKiN6hipcub16HIPCUB_304000_NS21ConstantInputIteratorIilEEPiiNSB_3SumENSB_8EqualityEiEE10hipError_tPvRmT2_T3_T4_T5_mT6_T7_P12ihipStream_tbENKUlT_T0_E_clISt17integral_constantIbLb0EESW_IbLb1EEEEDaSS_ST_EUlSS_E_NS1_11comp_targetILNS1_3genE10ELNS1_11target_archE1201ELNS1_3gpuE5ELNS1_3repE0EEENS1_30default_config_static_selectorELNS0_4arch9wavefront6targetE0EEEvT1_.has_indirect_call, 0
	.section	.AMDGPU.csdata,"",@progbits
; Kernel info:
; codeLenInByte = 0
; TotalNumSgprs: 0
; NumVgprs: 0
; ScratchSize: 0
; MemoryBound: 0
; FloatMode: 240
; IeeeMode: 1
; LDSByteSize: 0 bytes/workgroup (compile time only)
; SGPRBlocks: 0
; VGPRBlocks: 0
; NumSGPRsForWavesPerEU: 1
; NumVGPRsForWavesPerEU: 1
; Occupancy: 16
; WaveLimiterHint : 0
; COMPUTE_PGM_RSRC2:SCRATCH_EN: 0
; COMPUTE_PGM_RSRC2:USER_SGPR: 6
; COMPUTE_PGM_RSRC2:TRAP_HANDLER: 0
; COMPUTE_PGM_RSRC2:TGID_X_EN: 1
; COMPUTE_PGM_RSRC2:TGID_Y_EN: 0
; COMPUTE_PGM_RSRC2:TGID_Z_EN: 0
; COMPUTE_PGM_RSRC2:TIDIG_COMP_CNT: 0
	.section	.text._ZN7rocprim17ROCPRIM_400000_NS6detail17trampoline_kernelINS0_14default_configENS1_27scan_by_key_config_selectorIiiEEZZNS1_16scan_by_key_implILNS1_25lookback_scan_determinismE0ELb0ES3_PKiN6hipcub16HIPCUB_304000_NS21ConstantInputIteratorIilEEPiiNSB_3SumENSB_8EqualityEiEE10hipError_tPvRmT2_T3_T4_T5_mT6_T7_P12ihipStream_tbENKUlT_T0_E_clISt17integral_constantIbLb0EESW_IbLb1EEEEDaSS_ST_EUlSS_E_NS1_11comp_targetILNS1_3genE5ELNS1_11target_archE942ELNS1_3gpuE9ELNS1_3repE0EEENS1_30default_config_static_selectorELNS0_4arch9wavefront6targetE0EEEvT1_,"axG",@progbits,_ZN7rocprim17ROCPRIM_400000_NS6detail17trampoline_kernelINS0_14default_configENS1_27scan_by_key_config_selectorIiiEEZZNS1_16scan_by_key_implILNS1_25lookback_scan_determinismE0ELb0ES3_PKiN6hipcub16HIPCUB_304000_NS21ConstantInputIteratorIilEEPiiNSB_3SumENSB_8EqualityEiEE10hipError_tPvRmT2_T3_T4_T5_mT6_T7_P12ihipStream_tbENKUlT_T0_E_clISt17integral_constantIbLb0EESW_IbLb1EEEEDaSS_ST_EUlSS_E_NS1_11comp_targetILNS1_3genE5ELNS1_11target_archE942ELNS1_3gpuE9ELNS1_3repE0EEENS1_30default_config_static_selectorELNS0_4arch9wavefront6targetE0EEEvT1_,comdat
	.protected	_ZN7rocprim17ROCPRIM_400000_NS6detail17trampoline_kernelINS0_14default_configENS1_27scan_by_key_config_selectorIiiEEZZNS1_16scan_by_key_implILNS1_25lookback_scan_determinismE0ELb0ES3_PKiN6hipcub16HIPCUB_304000_NS21ConstantInputIteratorIilEEPiiNSB_3SumENSB_8EqualityEiEE10hipError_tPvRmT2_T3_T4_T5_mT6_T7_P12ihipStream_tbENKUlT_T0_E_clISt17integral_constantIbLb0EESW_IbLb1EEEEDaSS_ST_EUlSS_E_NS1_11comp_targetILNS1_3genE5ELNS1_11target_archE942ELNS1_3gpuE9ELNS1_3repE0EEENS1_30default_config_static_selectorELNS0_4arch9wavefront6targetE0EEEvT1_ ; -- Begin function _ZN7rocprim17ROCPRIM_400000_NS6detail17trampoline_kernelINS0_14default_configENS1_27scan_by_key_config_selectorIiiEEZZNS1_16scan_by_key_implILNS1_25lookback_scan_determinismE0ELb0ES3_PKiN6hipcub16HIPCUB_304000_NS21ConstantInputIteratorIilEEPiiNSB_3SumENSB_8EqualityEiEE10hipError_tPvRmT2_T3_T4_T5_mT6_T7_P12ihipStream_tbENKUlT_T0_E_clISt17integral_constantIbLb0EESW_IbLb1EEEEDaSS_ST_EUlSS_E_NS1_11comp_targetILNS1_3genE5ELNS1_11target_archE942ELNS1_3gpuE9ELNS1_3repE0EEENS1_30default_config_static_selectorELNS0_4arch9wavefront6targetE0EEEvT1_
	.globl	_ZN7rocprim17ROCPRIM_400000_NS6detail17trampoline_kernelINS0_14default_configENS1_27scan_by_key_config_selectorIiiEEZZNS1_16scan_by_key_implILNS1_25lookback_scan_determinismE0ELb0ES3_PKiN6hipcub16HIPCUB_304000_NS21ConstantInputIteratorIilEEPiiNSB_3SumENSB_8EqualityEiEE10hipError_tPvRmT2_T3_T4_T5_mT6_T7_P12ihipStream_tbENKUlT_T0_E_clISt17integral_constantIbLb0EESW_IbLb1EEEEDaSS_ST_EUlSS_E_NS1_11comp_targetILNS1_3genE5ELNS1_11target_archE942ELNS1_3gpuE9ELNS1_3repE0EEENS1_30default_config_static_selectorELNS0_4arch9wavefront6targetE0EEEvT1_
	.p2align	8
	.type	_ZN7rocprim17ROCPRIM_400000_NS6detail17trampoline_kernelINS0_14default_configENS1_27scan_by_key_config_selectorIiiEEZZNS1_16scan_by_key_implILNS1_25lookback_scan_determinismE0ELb0ES3_PKiN6hipcub16HIPCUB_304000_NS21ConstantInputIteratorIilEEPiiNSB_3SumENSB_8EqualityEiEE10hipError_tPvRmT2_T3_T4_T5_mT6_T7_P12ihipStream_tbENKUlT_T0_E_clISt17integral_constantIbLb0EESW_IbLb1EEEEDaSS_ST_EUlSS_E_NS1_11comp_targetILNS1_3genE5ELNS1_11target_archE942ELNS1_3gpuE9ELNS1_3repE0EEENS1_30default_config_static_selectorELNS0_4arch9wavefront6targetE0EEEvT1_,@function
_ZN7rocprim17ROCPRIM_400000_NS6detail17trampoline_kernelINS0_14default_configENS1_27scan_by_key_config_selectorIiiEEZZNS1_16scan_by_key_implILNS1_25lookback_scan_determinismE0ELb0ES3_PKiN6hipcub16HIPCUB_304000_NS21ConstantInputIteratorIilEEPiiNSB_3SumENSB_8EqualityEiEE10hipError_tPvRmT2_T3_T4_T5_mT6_T7_P12ihipStream_tbENKUlT_T0_E_clISt17integral_constantIbLb0EESW_IbLb1EEEEDaSS_ST_EUlSS_E_NS1_11comp_targetILNS1_3genE5ELNS1_11target_archE942ELNS1_3gpuE9ELNS1_3repE0EEENS1_30default_config_static_selectorELNS0_4arch9wavefront6targetE0EEEvT1_: ; @_ZN7rocprim17ROCPRIM_400000_NS6detail17trampoline_kernelINS0_14default_configENS1_27scan_by_key_config_selectorIiiEEZZNS1_16scan_by_key_implILNS1_25lookback_scan_determinismE0ELb0ES3_PKiN6hipcub16HIPCUB_304000_NS21ConstantInputIteratorIilEEPiiNSB_3SumENSB_8EqualityEiEE10hipError_tPvRmT2_T3_T4_T5_mT6_T7_P12ihipStream_tbENKUlT_T0_E_clISt17integral_constantIbLb0EESW_IbLb1EEEEDaSS_ST_EUlSS_E_NS1_11comp_targetILNS1_3genE5ELNS1_11target_archE942ELNS1_3gpuE9ELNS1_3repE0EEENS1_30default_config_static_selectorELNS0_4arch9wavefront6targetE0EEEvT1_
; %bb.0:
	.section	.rodata,"a",@progbits
	.p2align	6, 0x0
	.amdhsa_kernel _ZN7rocprim17ROCPRIM_400000_NS6detail17trampoline_kernelINS0_14default_configENS1_27scan_by_key_config_selectorIiiEEZZNS1_16scan_by_key_implILNS1_25lookback_scan_determinismE0ELb0ES3_PKiN6hipcub16HIPCUB_304000_NS21ConstantInputIteratorIilEEPiiNSB_3SumENSB_8EqualityEiEE10hipError_tPvRmT2_T3_T4_T5_mT6_T7_P12ihipStream_tbENKUlT_T0_E_clISt17integral_constantIbLb0EESW_IbLb1EEEEDaSS_ST_EUlSS_E_NS1_11comp_targetILNS1_3genE5ELNS1_11target_archE942ELNS1_3gpuE9ELNS1_3repE0EEENS1_30default_config_static_selectorELNS0_4arch9wavefront6targetE0EEEvT1_
		.amdhsa_group_segment_fixed_size 0
		.amdhsa_private_segment_fixed_size 0
		.amdhsa_kernarg_size 120
		.amdhsa_user_sgpr_count 6
		.amdhsa_user_sgpr_private_segment_buffer 1
		.amdhsa_user_sgpr_dispatch_ptr 0
		.amdhsa_user_sgpr_queue_ptr 0
		.amdhsa_user_sgpr_kernarg_segment_ptr 1
		.amdhsa_user_sgpr_dispatch_id 0
		.amdhsa_user_sgpr_flat_scratch_init 0
		.amdhsa_user_sgpr_private_segment_size 0
		.amdhsa_wavefront_size32 1
		.amdhsa_uses_dynamic_stack 0
		.amdhsa_system_sgpr_private_segment_wavefront_offset 0
		.amdhsa_system_sgpr_workgroup_id_x 1
		.amdhsa_system_sgpr_workgroup_id_y 0
		.amdhsa_system_sgpr_workgroup_id_z 0
		.amdhsa_system_sgpr_workgroup_info 0
		.amdhsa_system_vgpr_workitem_id 0
		.amdhsa_next_free_vgpr 1
		.amdhsa_next_free_sgpr 1
		.amdhsa_reserve_vcc 0
		.amdhsa_reserve_flat_scratch 0
		.amdhsa_float_round_mode_32 0
		.amdhsa_float_round_mode_16_64 0
		.amdhsa_float_denorm_mode_32 3
		.amdhsa_float_denorm_mode_16_64 3
		.amdhsa_dx10_clamp 1
		.amdhsa_ieee_mode 1
		.amdhsa_fp16_overflow 0
		.amdhsa_workgroup_processor_mode 1
		.amdhsa_memory_ordered 1
		.amdhsa_forward_progress 1
		.amdhsa_shared_vgpr_count 0
		.amdhsa_exception_fp_ieee_invalid_op 0
		.amdhsa_exception_fp_denorm_src 0
		.amdhsa_exception_fp_ieee_div_zero 0
		.amdhsa_exception_fp_ieee_overflow 0
		.amdhsa_exception_fp_ieee_underflow 0
		.amdhsa_exception_fp_ieee_inexact 0
		.amdhsa_exception_int_div_zero 0
	.end_amdhsa_kernel
	.section	.text._ZN7rocprim17ROCPRIM_400000_NS6detail17trampoline_kernelINS0_14default_configENS1_27scan_by_key_config_selectorIiiEEZZNS1_16scan_by_key_implILNS1_25lookback_scan_determinismE0ELb0ES3_PKiN6hipcub16HIPCUB_304000_NS21ConstantInputIteratorIilEEPiiNSB_3SumENSB_8EqualityEiEE10hipError_tPvRmT2_T3_T4_T5_mT6_T7_P12ihipStream_tbENKUlT_T0_E_clISt17integral_constantIbLb0EESW_IbLb1EEEEDaSS_ST_EUlSS_E_NS1_11comp_targetILNS1_3genE5ELNS1_11target_archE942ELNS1_3gpuE9ELNS1_3repE0EEENS1_30default_config_static_selectorELNS0_4arch9wavefront6targetE0EEEvT1_,"axG",@progbits,_ZN7rocprim17ROCPRIM_400000_NS6detail17trampoline_kernelINS0_14default_configENS1_27scan_by_key_config_selectorIiiEEZZNS1_16scan_by_key_implILNS1_25lookback_scan_determinismE0ELb0ES3_PKiN6hipcub16HIPCUB_304000_NS21ConstantInputIteratorIilEEPiiNSB_3SumENSB_8EqualityEiEE10hipError_tPvRmT2_T3_T4_T5_mT6_T7_P12ihipStream_tbENKUlT_T0_E_clISt17integral_constantIbLb0EESW_IbLb1EEEEDaSS_ST_EUlSS_E_NS1_11comp_targetILNS1_3genE5ELNS1_11target_archE942ELNS1_3gpuE9ELNS1_3repE0EEENS1_30default_config_static_selectorELNS0_4arch9wavefront6targetE0EEEvT1_,comdat
.Lfunc_end45:
	.size	_ZN7rocprim17ROCPRIM_400000_NS6detail17trampoline_kernelINS0_14default_configENS1_27scan_by_key_config_selectorIiiEEZZNS1_16scan_by_key_implILNS1_25lookback_scan_determinismE0ELb0ES3_PKiN6hipcub16HIPCUB_304000_NS21ConstantInputIteratorIilEEPiiNSB_3SumENSB_8EqualityEiEE10hipError_tPvRmT2_T3_T4_T5_mT6_T7_P12ihipStream_tbENKUlT_T0_E_clISt17integral_constantIbLb0EESW_IbLb1EEEEDaSS_ST_EUlSS_E_NS1_11comp_targetILNS1_3genE5ELNS1_11target_archE942ELNS1_3gpuE9ELNS1_3repE0EEENS1_30default_config_static_selectorELNS0_4arch9wavefront6targetE0EEEvT1_, .Lfunc_end45-_ZN7rocprim17ROCPRIM_400000_NS6detail17trampoline_kernelINS0_14default_configENS1_27scan_by_key_config_selectorIiiEEZZNS1_16scan_by_key_implILNS1_25lookback_scan_determinismE0ELb0ES3_PKiN6hipcub16HIPCUB_304000_NS21ConstantInputIteratorIilEEPiiNSB_3SumENSB_8EqualityEiEE10hipError_tPvRmT2_T3_T4_T5_mT6_T7_P12ihipStream_tbENKUlT_T0_E_clISt17integral_constantIbLb0EESW_IbLb1EEEEDaSS_ST_EUlSS_E_NS1_11comp_targetILNS1_3genE5ELNS1_11target_archE942ELNS1_3gpuE9ELNS1_3repE0EEENS1_30default_config_static_selectorELNS0_4arch9wavefront6targetE0EEEvT1_
                                        ; -- End function
	.set _ZN7rocprim17ROCPRIM_400000_NS6detail17trampoline_kernelINS0_14default_configENS1_27scan_by_key_config_selectorIiiEEZZNS1_16scan_by_key_implILNS1_25lookback_scan_determinismE0ELb0ES3_PKiN6hipcub16HIPCUB_304000_NS21ConstantInputIteratorIilEEPiiNSB_3SumENSB_8EqualityEiEE10hipError_tPvRmT2_T3_T4_T5_mT6_T7_P12ihipStream_tbENKUlT_T0_E_clISt17integral_constantIbLb0EESW_IbLb1EEEEDaSS_ST_EUlSS_E_NS1_11comp_targetILNS1_3genE5ELNS1_11target_archE942ELNS1_3gpuE9ELNS1_3repE0EEENS1_30default_config_static_selectorELNS0_4arch9wavefront6targetE0EEEvT1_.num_vgpr, 0
	.set _ZN7rocprim17ROCPRIM_400000_NS6detail17trampoline_kernelINS0_14default_configENS1_27scan_by_key_config_selectorIiiEEZZNS1_16scan_by_key_implILNS1_25lookback_scan_determinismE0ELb0ES3_PKiN6hipcub16HIPCUB_304000_NS21ConstantInputIteratorIilEEPiiNSB_3SumENSB_8EqualityEiEE10hipError_tPvRmT2_T3_T4_T5_mT6_T7_P12ihipStream_tbENKUlT_T0_E_clISt17integral_constantIbLb0EESW_IbLb1EEEEDaSS_ST_EUlSS_E_NS1_11comp_targetILNS1_3genE5ELNS1_11target_archE942ELNS1_3gpuE9ELNS1_3repE0EEENS1_30default_config_static_selectorELNS0_4arch9wavefront6targetE0EEEvT1_.num_agpr, 0
	.set _ZN7rocprim17ROCPRIM_400000_NS6detail17trampoline_kernelINS0_14default_configENS1_27scan_by_key_config_selectorIiiEEZZNS1_16scan_by_key_implILNS1_25lookback_scan_determinismE0ELb0ES3_PKiN6hipcub16HIPCUB_304000_NS21ConstantInputIteratorIilEEPiiNSB_3SumENSB_8EqualityEiEE10hipError_tPvRmT2_T3_T4_T5_mT6_T7_P12ihipStream_tbENKUlT_T0_E_clISt17integral_constantIbLb0EESW_IbLb1EEEEDaSS_ST_EUlSS_E_NS1_11comp_targetILNS1_3genE5ELNS1_11target_archE942ELNS1_3gpuE9ELNS1_3repE0EEENS1_30default_config_static_selectorELNS0_4arch9wavefront6targetE0EEEvT1_.numbered_sgpr, 0
	.set _ZN7rocprim17ROCPRIM_400000_NS6detail17trampoline_kernelINS0_14default_configENS1_27scan_by_key_config_selectorIiiEEZZNS1_16scan_by_key_implILNS1_25lookback_scan_determinismE0ELb0ES3_PKiN6hipcub16HIPCUB_304000_NS21ConstantInputIteratorIilEEPiiNSB_3SumENSB_8EqualityEiEE10hipError_tPvRmT2_T3_T4_T5_mT6_T7_P12ihipStream_tbENKUlT_T0_E_clISt17integral_constantIbLb0EESW_IbLb1EEEEDaSS_ST_EUlSS_E_NS1_11comp_targetILNS1_3genE5ELNS1_11target_archE942ELNS1_3gpuE9ELNS1_3repE0EEENS1_30default_config_static_selectorELNS0_4arch9wavefront6targetE0EEEvT1_.num_named_barrier, 0
	.set _ZN7rocprim17ROCPRIM_400000_NS6detail17trampoline_kernelINS0_14default_configENS1_27scan_by_key_config_selectorIiiEEZZNS1_16scan_by_key_implILNS1_25lookback_scan_determinismE0ELb0ES3_PKiN6hipcub16HIPCUB_304000_NS21ConstantInputIteratorIilEEPiiNSB_3SumENSB_8EqualityEiEE10hipError_tPvRmT2_T3_T4_T5_mT6_T7_P12ihipStream_tbENKUlT_T0_E_clISt17integral_constantIbLb0EESW_IbLb1EEEEDaSS_ST_EUlSS_E_NS1_11comp_targetILNS1_3genE5ELNS1_11target_archE942ELNS1_3gpuE9ELNS1_3repE0EEENS1_30default_config_static_selectorELNS0_4arch9wavefront6targetE0EEEvT1_.private_seg_size, 0
	.set _ZN7rocprim17ROCPRIM_400000_NS6detail17trampoline_kernelINS0_14default_configENS1_27scan_by_key_config_selectorIiiEEZZNS1_16scan_by_key_implILNS1_25lookback_scan_determinismE0ELb0ES3_PKiN6hipcub16HIPCUB_304000_NS21ConstantInputIteratorIilEEPiiNSB_3SumENSB_8EqualityEiEE10hipError_tPvRmT2_T3_T4_T5_mT6_T7_P12ihipStream_tbENKUlT_T0_E_clISt17integral_constantIbLb0EESW_IbLb1EEEEDaSS_ST_EUlSS_E_NS1_11comp_targetILNS1_3genE5ELNS1_11target_archE942ELNS1_3gpuE9ELNS1_3repE0EEENS1_30default_config_static_selectorELNS0_4arch9wavefront6targetE0EEEvT1_.uses_vcc, 0
	.set _ZN7rocprim17ROCPRIM_400000_NS6detail17trampoline_kernelINS0_14default_configENS1_27scan_by_key_config_selectorIiiEEZZNS1_16scan_by_key_implILNS1_25lookback_scan_determinismE0ELb0ES3_PKiN6hipcub16HIPCUB_304000_NS21ConstantInputIteratorIilEEPiiNSB_3SumENSB_8EqualityEiEE10hipError_tPvRmT2_T3_T4_T5_mT6_T7_P12ihipStream_tbENKUlT_T0_E_clISt17integral_constantIbLb0EESW_IbLb1EEEEDaSS_ST_EUlSS_E_NS1_11comp_targetILNS1_3genE5ELNS1_11target_archE942ELNS1_3gpuE9ELNS1_3repE0EEENS1_30default_config_static_selectorELNS0_4arch9wavefront6targetE0EEEvT1_.uses_flat_scratch, 0
	.set _ZN7rocprim17ROCPRIM_400000_NS6detail17trampoline_kernelINS0_14default_configENS1_27scan_by_key_config_selectorIiiEEZZNS1_16scan_by_key_implILNS1_25lookback_scan_determinismE0ELb0ES3_PKiN6hipcub16HIPCUB_304000_NS21ConstantInputIteratorIilEEPiiNSB_3SumENSB_8EqualityEiEE10hipError_tPvRmT2_T3_T4_T5_mT6_T7_P12ihipStream_tbENKUlT_T0_E_clISt17integral_constantIbLb0EESW_IbLb1EEEEDaSS_ST_EUlSS_E_NS1_11comp_targetILNS1_3genE5ELNS1_11target_archE942ELNS1_3gpuE9ELNS1_3repE0EEENS1_30default_config_static_selectorELNS0_4arch9wavefront6targetE0EEEvT1_.has_dyn_sized_stack, 0
	.set _ZN7rocprim17ROCPRIM_400000_NS6detail17trampoline_kernelINS0_14default_configENS1_27scan_by_key_config_selectorIiiEEZZNS1_16scan_by_key_implILNS1_25lookback_scan_determinismE0ELb0ES3_PKiN6hipcub16HIPCUB_304000_NS21ConstantInputIteratorIilEEPiiNSB_3SumENSB_8EqualityEiEE10hipError_tPvRmT2_T3_T4_T5_mT6_T7_P12ihipStream_tbENKUlT_T0_E_clISt17integral_constantIbLb0EESW_IbLb1EEEEDaSS_ST_EUlSS_E_NS1_11comp_targetILNS1_3genE5ELNS1_11target_archE942ELNS1_3gpuE9ELNS1_3repE0EEENS1_30default_config_static_selectorELNS0_4arch9wavefront6targetE0EEEvT1_.has_recursion, 0
	.set _ZN7rocprim17ROCPRIM_400000_NS6detail17trampoline_kernelINS0_14default_configENS1_27scan_by_key_config_selectorIiiEEZZNS1_16scan_by_key_implILNS1_25lookback_scan_determinismE0ELb0ES3_PKiN6hipcub16HIPCUB_304000_NS21ConstantInputIteratorIilEEPiiNSB_3SumENSB_8EqualityEiEE10hipError_tPvRmT2_T3_T4_T5_mT6_T7_P12ihipStream_tbENKUlT_T0_E_clISt17integral_constantIbLb0EESW_IbLb1EEEEDaSS_ST_EUlSS_E_NS1_11comp_targetILNS1_3genE5ELNS1_11target_archE942ELNS1_3gpuE9ELNS1_3repE0EEENS1_30default_config_static_selectorELNS0_4arch9wavefront6targetE0EEEvT1_.has_indirect_call, 0
	.section	.AMDGPU.csdata,"",@progbits
; Kernel info:
; codeLenInByte = 0
; TotalNumSgprs: 0
; NumVgprs: 0
; ScratchSize: 0
; MemoryBound: 0
; FloatMode: 240
; IeeeMode: 1
; LDSByteSize: 0 bytes/workgroup (compile time only)
; SGPRBlocks: 0
; VGPRBlocks: 0
; NumSGPRsForWavesPerEU: 1
; NumVGPRsForWavesPerEU: 1
; Occupancy: 16
; WaveLimiterHint : 0
; COMPUTE_PGM_RSRC2:SCRATCH_EN: 0
; COMPUTE_PGM_RSRC2:USER_SGPR: 6
; COMPUTE_PGM_RSRC2:TRAP_HANDLER: 0
; COMPUTE_PGM_RSRC2:TGID_X_EN: 1
; COMPUTE_PGM_RSRC2:TGID_Y_EN: 0
; COMPUTE_PGM_RSRC2:TGID_Z_EN: 0
; COMPUTE_PGM_RSRC2:TIDIG_COMP_CNT: 0
	.section	.text._ZN7rocprim17ROCPRIM_400000_NS6detail17trampoline_kernelINS0_14default_configENS1_27scan_by_key_config_selectorIiiEEZZNS1_16scan_by_key_implILNS1_25lookback_scan_determinismE0ELb0ES3_PKiN6hipcub16HIPCUB_304000_NS21ConstantInputIteratorIilEEPiiNSB_3SumENSB_8EqualityEiEE10hipError_tPvRmT2_T3_T4_T5_mT6_T7_P12ihipStream_tbENKUlT_T0_E_clISt17integral_constantIbLb0EESW_IbLb1EEEEDaSS_ST_EUlSS_E_NS1_11comp_targetILNS1_3genE4ELNS1_11target_archE910ELNS1_3gpuE8ELNS1_3repE0EEENS1_30default_config_static_selectorELNS0_4arch9wavefront6targetE0EEEvT1_,"axG",@progbits,_ZN7rocprim17ROCPRIM_400000_NS6detail17trampoline_kernelINS0_14default_configENS1_27scan_by_key_config_selectorIiiEEZZNS1_16scan_by_key_implILNS1_25lookback_scan_determinismE0ELb0ES3_PKiN6hipcub16HIPCUB_304000_NS21ConstantInputIteratorIilEEPiiNSB_3SumENSB_8EqualityEiEE10hipError_tPvRmT2_T3_T4_T5_mT6_T7_P12ihipStream_tbENKUlT_T0_E_clISt17integral_constantIbLb0EESW_IbLb1EEEEDaSS_ST_EUlSS_E_NS1_11comp_targetILNS1_3genE4ELNS1_11target_archE910ELNS1_3gpuE8ELNS1_3repE0EEENS1_30default_config_static_selectorELNS0_4arch9wavefront6targetE0EEEvT1_,comdat
	.protected	_ZN7rocprim17ROCPRIM_400000_NS6detail17trampoline_kernelINS0_14default_configENS1_27scan_by_key_config_selectorIiiEEZZNS1_16scan_by_key_implILNS1_25lookback_scan_determinismE0ELb0ES3_PKiN6hipcub16HIPCUB_304000_NS21ConstantInputIteratorIilEEPiiNSB_3SumENSB_8EqualityEiEE10hipError_tPvRmT2_T3_T4_T5_mT6_T7_P12ihipStream_tbENKUlT_T0_E_clISt17integral_constantIbLb0EESW_IbLb1EEEEDaSS_ST_EUlSS_E_NS1_11comp_targetILNS1_3genE4ELNS1_11target_archE910ELNS1_3gpuE8ELNS1_3repE0EEENS1_30default_config_static_selectorELNS0_4arch9wavefront6targetE0EEEvT1_ ; -- Begin function _ZN7rocprim17ROCPRIM_400000_NS6detail17trampoline_kernelINS0_14default_configENS1_27scan_by_key_config_selectorIiiEEZZNS1_16scan_by_key_implILNS1_25lookback_scan_determinismE0ELb0ES3_PKiN6hipcub16HIPCUB_304000_NS21ConstantInputIteratorIilEEPiiNSB_3SumENSB_8EqualityEiEE10hipError_tPvRmT2_T3_T4_T5_mT6_T7_P12ihipStream_tbENKUlT_T0_E_clISt17integral_constantIbLb0EESW_IbLb1EEEEDaSS_ST_EUlSS_E_NS1_11comp_targetILNS1_3genE4ELNS1_11target_archE910ELNS1_3gpuE8ELNS1_3repE0EEENS1_30default_config_static_selectorELNS0_4arch9wavefront6targetE0EEEvT1_
	.globl	_ZN7rocprim17ROCPRIM_400000_NS6detail17trampoline_kernelINS0_14default_configENS1_27scan_by_key_config_selectorIiiEEZZNS1_16scan_by_key_implILNS1_25lookback_scan_determinismE0ELb0ES3_PKiN6hipcub16HIPCUB_304000_NS21ConstantInputIteratorIilEEPiiNSB_3SumENSB_8EqualityEiEE10hipError_tPvRmT2_T3_T4_T5_mT6_T7_P12ihipStream_tbENKUlT_T0_E_clISt17integral_constantIbLb0EESW_IbLb1EEEEDaSS_ST_EUlSS_E_NS1_11comp_targetILNS1_3genE4ELNS1_11target_archE910ELNS1_3gpuE8ELNS1_3repE0EEENS1_30default_config_static_selectorELNS0_4arch9wavefront6targetE0EEEvT1_
	.p2align	8
	.type	_ZN7rocprim17ROCPRIM_400000_NS6detail17trampoline_kernelINS0_14default_configENS1_27scan_by_key_config_selectorIiiEEZZNS1_16scan_by_key_implILNS1_25lookback_scan_determinismE0ELb0ES3_PKiN6hipcub16HIPCUB_304000_NS21ConstantInputIteratorIilEEPiiNSB_3SumENSB_8EqualityEiEE10hipError_tPvRmT2_T3_T4_T5_mT6_T7_P12ihipStream_tbENKUlT_T0_E_clISt17integral_constantIbLb0EESW_IbLb1EEEEDaSS_ST_EUlSS_E_NS1_11comp_targetILNS1_3genE4ELNS1_11target_archE910ELNS1_3gpuE8ELNS1_3repE0EEENS1_30default_config_static_selectorELNS0_4arch9wavefront6targetE0EEEvT1_,@function
_ZN7rocprim17ROCPRIM_400000_NS6detail17trampoline_kernelINS0_14default_configENS1_27scan_by_key_config_selectorIiiEEZZNS1_16scan_by_key_implILNS1_25lookback_scan_determinismE0ELb0ES3_PKiN6hipcub16HIPCUB_304000_NS21ConstantInputIteratorIilEEPiiNSB_3SumENSB_8EqualityEiEE10hipError_tPvRmT2_T3_T4_T5_mT6_T7_P12ihipStream_tbENKUlT_T0_E_clISt17integral_constantIbLb0EESW_IbLb1EEEEDaSS_ST_EUlSS_E_NS1_11comp_targetILNS1_3genE4ELNS1_11target_archE910ELNS1_3gpuE8ELNS1_3repE0EEENS1_30default_config_static_selectorELNS0_4arch9wavefront6targetE0EEEvT1_: ; @_ZN7rocprim17ROCPRIM_400000_NS6detail17trampoline_kernelINS0_14default_configENS1_27scan_by_key_config_selectorIiiEEZZNS1_16scan_by_key_implILNS1_25lookback_scan_determinismE0ELb0ES3_PKiN6hipcub16HIPCUB_304000_NS21ConstantInputIteratorIilEEPiiNSB_3SumENSB_8EqualityEiEE10hipError_tPvRmT2_T3_T4_T5_mT6_T7_P12ihipStream_tbENKUlT_T0_E_clISt17integral_constantIbLb0EESW_IbLb1EEEEDaSS_ST_EUlSS_E_NS1_11comp_targetILNS1_3genE4ELNS1_11target_archE910ELNS1_3gpuE8ELNS1_3repE0EEENS1_30default_config_static_selectorELNS0_4arch9wavefront6targetE0EEEvT1_
; %bb.0:
	.section	.rodata,"a",@progbits
	.p2align	6, 0x0
	.amdhsa_kernel _ZN7rocprim17ROCPRIM_400000_NS6detail17trampoline_kernelINS0_14default_configENS1_27scan_by_key_config_selectorIiiEEZZNS1_16scan_by_key_implILNS1_25lookback_scan_determinismE0ELb0ES3_PKiN6hipcub16HIPCUB_304000_NS21ConstantInputIteratorIilEEPiiNSB_3SumENSB_8EqualityEiEE10hipError_tPvRmT2_T3_T4_T5_mT6_T7_P12ihipStream_tbENKUlT_T0_E_clISt17integral_constantIbLb0EESW_IbLb1EEEEDaSS_ST_EUlSS_E_NS1_11comp_targetILNS1_3genE4ELNS1_11target_archE910ELNS1_3gpuE8ELNS1_3repE0EEENS1_30default_config_static_selectorELNS0_4arch9wavefront6targetE0EEEvT1_
		.amdhsa_group_segment_fixed_size 0
		.amdhsa_private_segment_fixed_size 0
		.amdhsa_kernarg_size 120
		.amdhsa_user_sgpr_count 6
		.amdhsa_user_sgpr_private_segment_buffer 1
		.amdhsa_user_sgpr_dispatch_ptr 0
		.amdhsa_user_sgpr_queue_ptr 0
		.amdhsa_user_sgpr_kernarg_segment_ptr 1
		.amdhsa_user_sgpr_dispatch_id 0
		.amdhsa_user_sgpr_flat_scratch_init 0
		.amdhsa_user_sgpr_private_segment_size 0
		.amdhsa_wavefront_size32 1
		.amdhsa_uses_dynamic_stack 0
		.amdhsa_system_sgpr_private_segment_wavefront_offset 0
		.amdhsa_system_sgpr_workgroup_id_x 1
		.amdhsa_system_sgpr_workgroup_id_y 0
		.amdhsa_system_sgpr_workgroup_id_z 0
		.amdhsa_system_sgpr_workgroup_info 0
		.amdhsa_system_vgpr_workitem_id 0
		.amdhsa_next_free_vgpr 1
		.amdhsa_next_free_sgpr 1
		.amdhsa_reserve_vcc 0
		.amdhsa_reserve_flat_scratch 0
		.amdhsa_float_round_mode_32 0
		.amdhsa_float_round_mode_16_64 0
		.amdhsa_float_denorm_mode_32 3
		.amdhsa_float_denorm_mode_16_64 3
		.amdhsa_dx10_clamp 1
		.amdhsa_ieee_mode 1
		.amdhsa_fp16_overflow 0
		.amdhsa_workgroup_processor_mode 1
		.amdhsa_memory_ordered 1
		.amdhsa_forward_progress 1
		.amdhsa_shared_vgpr_count 0
		.amdhsa_exception_fp_ieee_invalid_op 0
		.amdhsa_exception_fp_denorm_src 0
		.amdhsa_exception_fp_ieee_div_zero 0
		.amdhsa_exception_fp_ieee_overflow 0
		.amdhsa_exception_fp_ieee_underflow 0
		.amdhsa_exception_fp_ieee_inexact 0
		.amdhsa_exception_int_div_zero 0
	.end_amdhsa_kernel
	.section	.text._ZN7rocprim17ROCPRIM_400000_NS6detail17trampoline_kernelINS0_14default_configENS1_27scan_by_key_config_selectorIiiEEZZNS1_16scan_by_key_implILNS1_25lookback_scan_determinismE0ELb0ES3_PKiN6hipcub16HIPCUB_304000_NS21ConstantInputIteratorIilEEPiiNSB_3SumENSB_8EqualityEiEE10hipError_tPvRmT2_T3_T4_T5_mT6_T7_P12ihipStream_tbENKUlT_T0_E_clISt17integral_constantIbLb0EESW_IbLb1EEEEDaSS_ST_EUlSS_E_NS1_11comp_targetILNS1_3genE4ELNS1_11target_archE910ELNS1_3gpuE8ELNS1_3repE0EEENS1_30default_config_static_selectorELNS0_4arch9wavefront6targetE0EEEvT1_,"axG",@progbits,_ZN7rocprim17ROCPRIM_400000_NS6detail17trampoline_kernelINS0_14default_configENS1_27scan_by_key_config_selectorIiiEEZZNS1_16scan_by_key_implILNS1_25lookback_scan_determinismE0ELb0ES3_PKiN6hipcub16HIPCUB_304000_NS21ConstantInputIteratorIilEEPiiNSB_3SumENSB_8EqualityEiEE10hipError_tPvRmT2_T3_T4_T5_mT6_T7_P12ihipStream_tbENKUlT_T0_E_clISt17integral_constantIbLb0EESW_IbLb1EEEEDaSS_ST_EUlSS_E_NS1_11comp_targetILNS1_3genE4ELNS1_11target_archE910ELNS1_3gpuE8ELNS1_3repE0EEENS1_30default_config_static_selectorELNS0_4arch9wavefront6targetE0EEEvT1_,comdat
.Lfunc_end46:
	.size	_ZN7rocprim17ROCPRIM_400000_NS6detail17trampoline_kernelINS0_14default_configENS1_27scan_by_key_config_selectorIiiEEZZNS1_16scan_by_key_implILNS1_25lookback_scan_determinismE0ELb0ES3_PKiN6hipcub16HIPCUB_304000_NS21ConstantInputIteratorIilEEPiiNSB_3SumENSB_8EqualityEiEE10hipError_tPvRmT2_T3_T4_T5_mT6_T7_P12ihipStream_tbENKUlT_T0_E_clISt17integral_constantIbLb0EESW_IbLb1EEEEDaSS_ST_EUlSS_E_NS1_11comp_targetILNS1_3genE4ELNS1_11target_archE910ELNS1_3gpuE8ELNS1_3repE0EEENS1_30default_config_static_selectorELNS0_4arch9wavefront6targetE0EEEvT1_, .Lfunc_end46-_ZN7rocprim17ROCPRIM_400000_NS6detail17trampoline_kernelINS0_14default_configENS1_27scan_by_key_config_selectorIiiEEZZNS1_16scan_by_key_implILNS1_25lookback_scan_determinismE0ELb0ES3_PKiN6hipcub16HIPCUB_304000_NS21ConstantInputIteratorIilEEPiiNSB_3SumENSB_8EqualityEiEE10hipError_tPvRmT2_T3_T4_T5_mT6_T7_P12ihipStream_tbENKUlT_T0_E_clISt17integral_constantIbLb0EESW_IbLb1EEEEDaSS_ST_EUlSS_E_NS1_11comp_targetILNS1_3genE4ELNS1_11target_archE910ELNS1_3gpuE8ELNS1_3repE0EEENS1_30default_config_static_selectorELNS0_4arch9wavefront6targetE0EEEvT1_
                                        ; -- End function
	.set _ZN7rocprim17ROCPRIM_400000_NS6detail17trampoline_kernelINS0_14default_configENS1_27scan_by_key_config_selectorIiiEEZZNS1_16scan_by_key_implILNS1_25lookback_scan_determinismE0ELb0ES3_PKiN6hipcub16HIPCUB_304000_NS21ConstantInputIteratorIilEEPiiNSB_3SumENSB_8EqualityEiEE10hipError_tPvRmT2_T3_T4_T5_mT6_T7_P12ihipStream_tbENKUlT_T0_E_clISt17integral_constantIbLb0EESW_IbLb1EEEEDaSS_ST_EUlSS_E_NS1_11comp_targetILNS1_3genE4ELNS1_11target_archE910ELNS1_3gpuE8ELNS1_3repE0EEENS1_30default_config_static_selectorELNS0_4arch9wavefront6targetE0EEEvT1_.num_vgpr, 0
	.set _ZN7rocprim17ROCPRIM_400000_NS6detail17trampoline_kernelINS0_14default_configENS1_27scan_by_key_config_selectorIiiEEZZNS1_16scan_by_key_implILNS1_25lookback_scan_determinismE0ELb0ES3_PKiN6hipcub16HIPCUB_304000_NS21ConstantInputIteratorIilEEPiiNSB_3SumENSB_8EqualityEiEE10hipError_tPvRmT2_T3_T4_T5_mT6_T7_P12ihipStream_tbENKUlT_T0_E_clISt17integral_constantIbLb0EESW_IbLb1EEEEDaSS_ST_EUlSS_E_NS1_11comp_targetILNS1_3genE4ELNS1_11target_archE910ELNS1_3gpuE8ELNS1_3repE0EEENS1_30default_config_static_selectorELNS0_4arch9wavefront6targetE0EEEvT1_.num_agpr, 0
	.set _ZN7rocprim17ROCPRIM_400000_NS6detail17trampoline_kernelINS0_14default_configENS1_27scan_by_key_config_selectorIiiEEZZNS1_16scan_by_key_implILNS1_25lookback_scan_determinismE0ELb0ES3_PKiN6hipcub16HIPCUB_304000_NS21ConstantInputIteratorIilEEPiiNSB_3SumENSB_8EqualityEiEE10hipError_tPvRmT2_T3_T4_T5_mT6_T7_P12ihipStream_tbENKUlT_T0_E_clISt17integral_constantIbLb0EESW_IbLb1EEEEDaSS_ST_EUlSS_E_NS1_11comp_targetILNS1_3genE4ELNS1_11target_archE910ELNS1_3gpuE8ELNS1_3repE0EEENS1_30default_config_static_selectorELNS0_4arch9wavefront6targetE0EEEvT1_.numbered_sgpr, 0
	.set _ZN7rocprim17ROCPRIM_400000_NS6detail17trampoline_kernelINS0_14default_configENS1_27scan_by_key_config_selectorIiiEEZZNS1_16scan_by_key_implILNS1_25lookback_scan_determinismE0ELb0ES3_PKiN6hipcub16HIPCUB_304000_NS21ConstantInputIteratorIilEEPiiNSB_3SumENSB_8EqualityEiEE10hipError_tPvRmT2_T3_T4_T5_mT6_T7_P12ihipStream_tbENKUlT_T0_E_clISt17integral_constantIbLb0EESW_IbLb1EEEEDaSS_ST_EUlSS_E_NS1_11comp_targetILNS1_3genE4ELNS1_11target_archE910ELNS1_3gpuE8ELNS1_3repE0EEENS1_30default_config_static_selectorELNS0_4arch9wavefront6targetE0EEEvT1_.num_named_barrier, 0
	.set _ZN7rocprim17ROCPRIM_400000_NS6detail17trampoline_kernelINS0_14default_configENS1_27scan_by_key_config_selectorIiiEEZZNS1_16scan_by_key_implILNS1_25lookback_scan_determinismE0ELb0ES3_PKiN6hipcub16HIPCUB_304000_NS21ConstantInputIteratorIilEEPiiNSB_3SumENSB_8EqualityEiEE10hipError_tPvRmT2_T3_T4_T5_mT6_T7_P12ihipStream_tbENKUlT_T0_E_clISt17integral_constantIbLb0EESW_IbLb1EEEEDaSS_ST_EUlSS_E_NS1_11comp_targetILNS1_3genE4ELNS1_11target_archE910ELNS1_3gpuE8ELNS1_3repE0EEENS1_30default_config_static_selectorELNS0_4arch9wavefront6targetE0EEEvT1_.private_seg_size, 0
	.set _ZN7rocprim17ROCPRIM_400000_NS6detail17trampoline_kernelINS0_14default_configENS1_27scan_by_key_config_selectorIiiEEZZNS1_16scan_by_key_implILNS1_25lookback_scan_determinismE0ELb0ES3_PKiN6hipcub16HIPCUB_304000_NS21ConstantInputIteratorIilEEPiiNSB_3SumENSB_8EqualityEiEE10hipError_tPvRmT2_T3_T4_T5_mT6_T7_P12ihipStream_tbENKUlT_T0_E_clISt17integral_constantIbLb0EESW_IbLb1EEEEDaSS_ST_EUlSS_E_NS1_11comp_targetILNS1_3genE4ELNS1_11target_archE910ELNS1_3gpuE8ELNS1_3repE0EEENS1_30default_config_static_selectorELNS0_4arch9wavefront6targetE0EEEvT1_.uses_vcc, 0
	.set _ZN7rocprim17ROCPRIM_400000_NS6detail17trampoline_kernelINS0_14default_configENS1_27scan_by_key_config_selectorIiiEEZZNS1_16scan_by_key_implILNS1_25lookback_scan_determinismE0ELb0ES3_PKiN6hipcub16HIPCUB_304000_NS21ConstantInputIteratorIilEEPiiNSB_3SumENSB_8EqualityEiEE10hipError_tPvRmT2_T3_T4_T5_mT6_T7_P12ihipStream_tbENKUlT_T0_E_clISt17integral_constantIbLb0EESW_IbLb1EEEEDaSS_ST_EUlSS_E_NS1_11comp_targetILNS1_3genE4ELNS1_11target_archE910ELNS1_3gpuE8ELNS1_3repE0EEENS1_30default_config_static_selectorELNS0_4arch9wavefront6targetE0EEEvT1_.uses_flat_scratch, 0
	.set _ZN7rocprim17ROCPRIM_400000_NS6detail17trampoline_kernelINS0_14default_configENS1_27scan_by_key_config_selectorIiiEEZZNS1_16scan_by_key_implILNS1_25lookback_scan_determinismE0ELb0ES3_PKiN6hipcub16HIPCUB_304000_NS21ConstantInputIteratorIilEEPiiNSB_3SumENSB_8EqualityEiEE10hipError_tPvRmT2_T3_T4_T5_mT6_T7_P12ihipStream_tbENKUlT_T0_E_clISt17integral_constantIbLb0EESW_IbLb1EEEEDaSS_ST_EUlSS_E_NS1_11comp_targetILNS1_3genE4ELNS1_11target_archE910ELNS1_3gpuE8ELNS1_3repE0EEENS1_30default_config_static_selectorELNS0_4arch9wavefront6targetE0EEEvT1_.has_dyn_sized_stack, 0
	.set _ZN7rocprim17ROCPRIM_400000_NS6detail17trampoline_kernelINS0_14default_configENS1_27scan_by_key_config_selectorIiiEEZZNS1_16scan_by_key_implILNS1_25lookback_scan_determinismE0ELb0ES3_PKiN6hipcub16HIPCUB_304000_NS21ConstantInputIteratorIilEEPiiNSB_3SumENSB_8EqualityEiEE10hipError_tPvRmT2_T3_T4_T5_mT6_T7_P12ihipStream_tbENKUlT_T0_E_clISt17integral_constantIbLb0EESW_IbLb1EEEEDaSS_ST_EUlSS_E_NS1_11comp_targetILNS1_3genE4ELNS1_11target_archE910ELNS1_3gpuE8ELNS1_3repE0EEENS1_30default_config_static_selectorELNS0_4arch9wavefront6targetE0EEEvT1_.has_recursion, 0
	.set _ZN7rocprim17ROCPRIM_400000_NS6detail17trampoline_kernelINS0_14default_configENS1_27scan_by_key_config_selectorIiiEEZZNS1_16scan_by_key_implILNS1_25lookback_scan_determinismE0ELb0ES3_PKiN6hipcub16HIPCUB_304000_NS21ConstantInputIteratorIilEEPiiNSB_3SumENSB_8EqualityEiEE10hipError_tPvRmT2_T3_T4_T5_mT6_T7_P12ihipStream_tbENKUlT_T0_E_clISt17integral_constantIbLb0EESW_IbLb1EEEEDaSS_ST_EUlSS_E_NS1_11comp_targetILNS1_3genE4ELNS1_11target_archE910ELNS1_3gpuE8ELNS1_3repE0EEENS1_30default_config_static_selectorELNS0_4arch9wavefront6targetE0EEEvT1_.has_indirect_call, 0
	.section	.AMDGPU.csdata,"",@progbits
; Kernel info:
; codeLenInByte = 0
; TotalNumSgprs: 0
; NumVgprs: 0
; ScratchSize: 0
; MemoryBound: 0
; FloatMode: 240
; IeeeMode: 1
; LDSByteSize: 0 bytes/workgroup (compile time only)
; SGPRBlocks: 0
; VGPRBlocks: 0
; NumSGPRsForWavesPerEU: 1
; NumVGPRsForWavesPerEU: 1
; Occupancy: 16
; WaveLimiterHint : 0
; COMPUTE_PGM_RSRC2:SCRATCH_EN: 0
; COMPUTE_PGM_RSRC2:USER_SGPR: 6
; COMPUTE_PGM_RSRC2:TRAP_HANDLER: 0
; COMPUTE_PGM_RSRC2:TGID_X_EN: 1
; COMPUTE_PGM_RSRC2:TGID_Y_EN: 0
; COMPUTE_PGM_RSRC2:TGID_Z_EN: 0
; COMPUTE_PGM_RSRC2:TIDIG_COMP_CNT: 0
	.section	.text._ZN7rocprim17ROCPRIM_400000_NS6detail17trampoline_kernelINS0_14default_configENS1_27scan_by_key_config_selectorIiiEEZZNS1_16scan_by_key_implILNS1_25lookback_scan_determinismE0ELb0ES3_PKiN6hipcub16HIPCUB_304000_NS21ConstantInputIteratorIilEEPiiNSB_3SumENSB_8EqualityEiEE10hipError_tPvRmT2_T3_T4_T5_mT6_T7_P12ihipStream_tbENKUlT_T0_E_clISt17integral_constantIbLb0EESW_IbLb1EEEEDaSS_ST_EUlSS_E_NS1_11comp_targetILNS1_3genE3ELNS1_11target_archE908ELNS1_3gpuE7ELNS1_3repE0EEENS1_30default_config_static_selectorELNS0_4arch9wavefront6targetE0EEEvT1_,"axG",@progbits,_ZN7rocprim17ROCPRIM_400000_NS6detail17trampoline_kernelINS0_14default_configENS1_27scan_by_key_config_selectorIiiEEZZNS1_16scan_by_key_implILNS1_25lookback_scan_determinismE0ELb0ES3_PKiN6hipcub16HIPCUB_304000_NS21ConstantInputIteratorIilEEPiiNSB_3SumENSB_8EqualityEiEE10hipError_tPvRmT2_T3_T4_T5_mT6_T7_P12ihipStream_tbENKUlT_T0_E_clISt17integral_constantIbLb0EESW_IbLb1EEEEDaSS_ST_EUlSS_E_NS1_11comp_targetILNS1_3genE3ELNS1_11target_archE908ELNS1_3gpuE7ELNS1_3repE0EEENS1_30default_config_static_selectorELNS0_4arch9wavefront6targetE0EEEvT1_,comdat
	.protected	_ZN7rocprim17ROCPRIM_400000_NS6detail17trampoline_kernelINS0_14default_configENS1_27scan_by_key_config_selectorIiiEEZZNS1_16scan_by_key_implILNS1_25lookback_scan_determinismE0ELb0ES3_PKiN6hipcub16HIPCUB_304000_NS21ConstantInputIteratorIilEEPiiNSB_3SumENSB_8EqualityEiEE10hipError_tPvRmT2_T3_T4_T5_mT6_T7_P12ihipStream_tbENKUlT_T0_E_clISt17integral_constantIbLb0EESW_IbLb1EEEEDaSS_ST_EUlSS_E_NS1_11comp_targetILNS1_3genE3ELNS1_11target_archE908ELNS1_3gpuE7ELNS1_3repE0EEENS1_30default_config_static_selectorELNS0_4arch9wavefront6targetE0EEEvT1_ ; -- Begin function _ZN7rocprim17ROCPRIM_400000_NS6detail17trampoline_kernelINS0_14default_configENS1_27scan_by_key_config_selectorIiiEEZZNS1_16scan_by_key_implILNS1_25lookback_scan_determinismE0ELb0ES3_PKiN6hipcub16HIPCUB_304000_NS21ConstantInputIteratorIilEEPiiNSB_3SumENSB_8EqualityEiEE10hipError_tPvRmT2_T3_T4_T5_mT6_T7_P12ihipStream_tbENKUlT_T0_E_clISt17integral_constantIbLb0EESW_IbLb1EEEEDaSS_ST_EUlSS_E_NS1_11comp_targetILNS1_3genE3ELNS1_11target_archE908ELNS1_3gpuE7ELNS1_3repE0EEENS1_30default_config_static_selectorELNS0_4arch9wavefront6targetE0EEEvT1_
	.globl	_ZN7rocprim17ROCPRIM_400000_NS6detail17trampoline_kernelINS0_14default_configENS1_27scan_by_key_config_selectorIiiEEZZNS1_16scan_by_key_implILNS1_25lookback_scan_determinismE0ELb0ES3_PKiN6hipcub16HIPCUB_304000_NS21ConstantInputIteratorIilEEPiiNSB_3SumENSB_8EqualityEiEE10hipError_tPvRmT2_T3_T4_T5_mT6_T7_P12ihipStream_tbENKUlT_T0_E_clISt17integral_constantIbLb0EESW_IbLb1EEEEDaSS_ST_EUlSS_E_NS1_11comp_targetILNS1_3genE3ELNS1_11target_archE908ELNS1_3gpuE7ELNS1_3repE0EEENS1_30default_config_static_selectorELNS0_4arch9wavefront6targetE0EEEvT1_
	.p2align	8
	.type	_ZN7rocprim17ROCPRIM_400000_NS6detail17trampoline_kernelINS0_14default_configENS1_27scan_by_key_config_selectorIiiEEZZNS1_16scan_by_key_implILNS1_25lookback_scan_determinismE0ELb0ES3_PKiN6hipcub16HIPCUB_304000_NS21ConstantInputIteratorIilEEPiiNSB_3SumENSB_8EqualityEiEE10hipError_tPvRmT2_T3_T4_T5_mT6_T7_P12ihipStream_tbENKUlT_T0_E_clISt17integral_constantIbLb0EESW_IbLb1EEEEDaSS_ST_EUlSS_E_NS1_11comp_targetILNS1_3genE3ELNS1_11target_archE908ELNS1_3gpuE7ELNS1_3repE0EEENS1_30default_config_static_selectorELNS0_4arch9wavefront6targetE0EEEvT1_,@function
_ZN7rocprim17ROCPRIM_400000_NS6detail17trampoline_kernelINS0_14default_configENS1_27scan_by_key_config_selectorIiiEEZZNS1_16scan_by_key_implILNS1_25lookback_scan_determinismE0ELb0ES3_PKiN6hipcub16HIPCUB_304000_NS21ConstantInputIteratorIilEEPiiNSB_3SumENSB_8EqualityEiEE10hipError_tPvRmT2_T3_T4_T5_mT6_T7_P12ihipStream_tbENKUlT_T0_E_clISt17integral_constantIbLb0EESW_IbLb1EEEEDaSS_ST_EUlSS_E_NS1_11comp_targetILNS1_3genE3ELNS1_11target_archE908ELNS1_3gpuE7ELNS1_3repE0EEENS1_30default_config_static_selectorELNS0_4arch9wavefront6targetE0EEEvT1_: ; @_ZN7rocprim17ROCPRIM_400000_NS6detail17trampoline_kernelINS0_14default_configENS1_27scan_by_key_config_selectorIiiEEZZNS1_16scan_by_key_implILNS1_25lookback_scan_determinismE0ELb0ES3_PKiN6hipcub16HIPCUB_304000_NS21ConstantInputIteratorIilEEPiiNSB_3SumENSB_8EqualityEiEE10hipError_tPvRmT2_T3_T4_T5_mT6_T7_P12ihipStream_tbENKUlT_T0_E_clISt17integral_constantIbLb0EESW_IbLb1EEEEDaSS_ST_EUlSS_E_NS1_11comp_targetILNS1_3genE3ELNS1_11target_archE908ELNS1_3gpuE7ELNS1_3repE0EEENS1_30default_config_static_selectorELNS0_4arch9wavefront6targetE0EEEvT1_
; %bb.0:
	.section	.rodata,"a",@progbits
	.p2align	6, 0x0
	.amdhsa_kernel _ZN7rocprim17ROCPRIM_400000_NS6detail17trampoline_kernelINS0_14default_configENS1_27scan_by_key_config_selectorIiiEEZZNS1_16scan_by_key_implILNS1_25lookback_scan_determinismE0ELb0ES3_PKiN6hipcub16HIPCUB_304000_NS21ConstantInputIteratorIilEEPiiNSB_3SumENSB_8EqualityEiEE10hipError_tPvRmT2_T3_T4_T5_mT6_T7_P12ihipStream_tbENKUlT_T0_E_clISt17integral_constantIbLb0EESW_IbLb1EEEEDaSS_ST_EUlSS_E_NS1_11comp_targetILNS1_3genE3ELNS1_11target_archE908ELNS1_3gpuE7ELNS1_3repE0EEENS1_30default_config_static_selectorELNS0_4arch9wavefront6targetE0EEEvT1_
		.amdhsa_group_segment_fixed_size 0
		.amdhsa_private_segment_fixed_size 0
		.amdhsa_kernarg_size 120
		.amdhsa_user_sgpr_count 6
		.amdhsa_user_sgpr_private_segment_buffer 1
		.amdhsa_user_sgpr_dispatch_ptr 0
		.amdhsa_user_sgpr_queue_ptr 0
		.amdhsa_user_sgpr_kernarg_segment_ptr 1
		.amdhsa_user_sgpr_dispatch_id 0
		.amdhsa_user_sgpr_flat_scratch_init 0
		.amdhsa_user_sgpr_private_segment_size 0
		.amdhsa_wavefront_size32 1
		.amdhsa_uses_dynamic_stack 0
		.amdhsa_system_sgpr_private_segment_wavefront_offset 0
		.amdhsa_system_sgpr_workgroup_id_x 1
		.amdhsa_system_sgpr_workgroup_id_y 0
		.amdhsa_system_sgpr_workgroup_id_z 0
		.amdhsa_system_sgpr_workgroup_info 0
		.amdhsa_system_vgpr_workitem_id 0
		.amdhsa_next_free_vgpr 1
		.amdhsa_next_free_sgpr 1
		.amdhsa_reserve_vcc 0
		.amdhsa_reserve_flat_scratch 0
		.amdhsa_float_round_mode_32 0
		.amdhsa_float_round_mode_16_64 0
		.amdhsa_float_denorm_mode_32 3
		.amdhsa_float_denorm_mode_16_64 3
		.amdhsa_dx10_clamp 1
		.amdhsa_ieee_mode 1
		.amdhsa_fp16_overflow 0
		.amdhsa_workgroup_processor_mode 1
		.amdhsa_memory_ordered 1
		.amdhsa_forward_progress 1
		.amdhsa_shared_vgpr_count 0
		.amdhsa_exception_fp_ieee_invalid_op 0
		.amdhsa_exception_fp_denorm_src 0
		.amdhsa_exception_fp_ieee_div_zero 0
		.amdhsa_exception_fp_ieee_overflow 0
		.amdhsa_exception_fp_ieee_underflow 0
		.amdhsa_exception_fp_ieee_inexact 0
		.amdhsa_exception_int_div_zero 0
	.end_amdhsa_kernel
	.section	.text._ZN7rocprim17ROCPRIM_400000_NS6detail17trampoline_kernelINS0_14default_configENS1_27scan_by_key_config_selectorIiiEEZZNS1_16scan_by_key_implILNS1_25lookback_scan_determinismE0ELb0ES3_PKiN6hipcub16HIPCUB_304000_NS21ConstantInputIteratorIilEEPiiNSB_3SumENSB_8EqualityEiEE10hipError_tPvRmT2_T3_T4_T5_mT6_T7_P12ihipStream_tbENKUlT_T0_E_clISt17integral_constantIbLb0EESW_IbLb1EEEEDaSS_ST_EUlSS_E_NS1_11comp_targetILNS1_3genE3ELNS1_11target_archE908ELNS1_3gpuE7ELNS1_3repE0EEENS1_30default_config_static_selectorELNS0_4arch9wavefront6targetE0EEEvT1_,"axG",@progbits,_ZN7rocprim17ROCPRIM_400000_NS6detail17trampoline_kernelINS0_14default_configENS1_27scan_by_key_config_selectorIiiEEZZNS1_16scan_by_key_implILNS1_25lookback_scan_determinismE0ELb0ES3_PKiN6hipcub16HIPCUB_304000_NS21ConstantInputIteratorIilEEPiiNSB_3SumENSB_8EqualityEiEE10hipError_tPvRmT2_T3_T4_T5_mT6_T7_P12ihipStream_tbENKUlT_T0_E_clISt17integral_constantIbLb0EESW_IbLb1EEEEDaSS_ST_EUlSS_E_NS1_11comp_targetILNS1_3genE3ELNS1_11target_archE908ELNS1_3gpuE7ELNS1_3repE0EEENS1_30default_config_static_selectorELNS0_4arch9wavefront6targetE0EEEvT1_,comdat
.Lfunc_end47:
	.size	_ZN7rocprim17ROCPRIM_400000_NS6detail17trampoline_kernelINS0_14default_configENS1_27scan_by_key_config_selectorIiiEEZZNS1_16scan_by_key_implILNS1_25lookback_scan_determinismE0ELb0ES3_PKiN6hipcub16HIPCUB_304000_NS21ConstantInputIteratorIilEEPiiNSB_3SumENSB_8EqualityEiEE10hipError_tPvRmT2_T3_T4_T5_mT6_T7_P12ihipStream_tbENKUlT_T0_E_clISt17integral_constantIbLb0EESW_IbLb1EEEEDaSS_ST_EUlSS_E_NS1_11comp_targetILNS1_3genE3ELNS1_11target_archE908ELNS1_3gpuE7ELNS1_3repE0EEENS1_30default_config_static_selectorELNS0_4arch9wavefront6targetE0EEEvT1_, .Lfunc_end47-_ZN7rocprim17ROCPRIM_400000_NS6detail17trampoline_kernelINS0_14default_configENS1_27scan_by_key_config_selectorIiiEEZZNS1_16scan_by_key_implILNS1_25lookback_scan_determinismE0ELb0ES3_PKiN6hipcub16HIPCUB_304000_NS21ConstantInputIteratorIilEEPiiNSB_3SumENSB_8EqualityEiEE10hipError_tPvRmT2_T3_T4_T5_mT6_T7_P12ihipStream_tbENKUlT_T0_E_clISt17integral_constantIbLb0EESW_IbLb1EEEEDaSS_ST_EUlSS_E_NS1_11comp_targetILNS1_3genE3ELNS1_11target_archE908ELNS1_3gpuE7ELNS1_3repE0EEENS1_30default_config_static_selectorELNS0_4arch9wavefront6targetE0EEEvT1_
                                        ; -- End function
	.set _ZN7rocprim17ROCPRIM_400000_NS6detail17trampoline_kernelINS0_14default_configENS1_27scan_by_key_config_selectorIiiEEZZNS1_16scan_by_key_implILNS1_25lookback_scan_determinismE0ELb0ES3_PKiN6hipcub16HIPCUB_304000_NS21ConstantInputIteratorIilEEPiiNSB_3SumENSB_8EqualityEiEE10hipError_tPvRmT2_T3_T4_T5_mT6_T7_P12ihipStream_tbENKUlT_T0_E_clISt17integral_constantIbLb0EESW_IbLb1EEEEDaSS_ST_EUlSS_E_NS1_11comp_targetILNS1_3genE3ELNS1_11target_archE908ELNS1_3gpuE7ELNS1_3repE0EEENS1_30default_config_static_selectorELNS0_4arch9wavefront6targetE0EEEvT1_.num_vgpr, 0
	.set _ZN7rocprim17ROCPRIM_400000_NS6detail17trampoline_kernelINS0_14default_configENS1_27scan_by_key_config_selectorIiiEEZZNS1_16scan_by_key_implILNS1_25lookback_scan_determinismE0ELb0ES3_PKiN6hipcub16HIPCUB_304000_NS21ConstantInputIteratorIilEEPiiNSB_3SumENSB_8EqualityEiEE10hipError_tPvRmT2_T3_T4_T5_mT6_T7_P12ihipStream_tbENKUlT_T0_E_clISt17integral_constantIbLb0EESW_IbLb1EEEEDaSS_ST_EUlSS_E_NS1_11comp_targetILNS1_3genE3ELNS1_11target_archE908ELNS1_3gpuE7ELNS1_3repE0EEENS1_30default_config_static_selectorELNS0_4arch9wavefront6targetE0EEEvT1_.num_agpr, 0
	.set _ZN7rocprim17ROCPRIM_400000_NS6detail17trampoline_kernelINS0_14default_configENS1_27scan_by_key_config_selectorIiiEEZZNS1_16scan_by_key_implILNS1_25lookback_scan_determinismE0ELb0ES3_PKiN6hipcub16HIPCUB_304000_NS21ConstantInputIteratorIilEEPiiNSB_3SumENSB_8EqualityEiEE10hipError_tPvRmT2_T3_T4_T5_mT6_T7_P12ihipStream_tbENKUlT_T0_E_clISt17integral_constantIbLb0EESW_IbLb1EEEEDaSS_ST_EUlSS_E_NS1_11comp_targetILNS1_3genE3ELNS1_11target_archE908ELNS1_3gpuE7ELNS1_3repE0EEENS1_30default_config_static_selectorELNS0_4arch9wavefront6targetE0EEEvT1_.numbered_sgpr, 0
	.set _ZN7rocprim17ROCPRIM_400000_NS6detail17trampoline_kernelINS0_14default_configENS1_27scan_by_key_config_selectorIiiEEZZNS1_16scan_by_key_implILNS1_25lookback_scan_determinismE0ELb0ES3_PKiN6hipcub16HIPCUB_304000_NS21ConstantInputIteratorIilEEPiiNSB_3SumENSB_8EqualityEiEE10hipError_tPvRmT2_T3_T4_T5_mT6_T7_P12ihipStream_tbENKUlT_T0_E_clISt17integral_constantIbLb0EESW_IbLb1EEEEDaSS_ST_EUlSS_E_NS1_11comp_targetILNS1_3genE3ELNS1_11target_archE908ELNS1_3gpuE7ELNS1_3repE0EEENS1_30default_config_static_selectorELNS0_4arch9wavefront6targetE0EEEvT1_.num_named_barrier, 0
	.set _ZN7rocprim17ROCPRIM_400000_NS6detail17trampoline_kernelINS0_14default_configENS1_27scan_by_key_config_selectorIiiEEZZNS1_16scan_by_key_implILNS1_25lookback_scan_determinismE0ELb0ES3_PKiN6hipcub16HIPCUB_304000_NS21ConstantInputIteratorIilEEPiiNSB_3SumENSB_8EqualityEiEE10hipError_tPvRmT2_T3_T4_T5_mT6_T7_P12ihipStream_tbENKUlT_T0_E_clISt17integral_constantIbLb0EESW_IbLb1EEEEDaSS_ST_EUlSS_E_NS1_11comp_targetILNS1_3genE3ELNS1_11target_archE908ELNS1_3gpuE7ELNS1_3repE0EEENS1_30default_config_static_selectorELNS0_4arch9wavefront6targetE0EEEvT1_.private_seg_size, 0
	.set _ZN7rocprim17ROCPRIM_400000_NS6detail17trampoline_kernelINS0_14default_configENS1_27scan_by_key_config_selectorIiiEEZZNS1_16scan_by_key_implILNS1_25lookback_scan_determinismE0ELb0ES3_PKiN6hipcub16HIPCUB_304000_NS21ConstantInputIteratorIilEEPiiNSB_3SumENSB_8EqualityEiEE10hipError_tPvRmT2_T3_T4_T5_mT6_T7_P12ihipStream_tbENKUlT_T0_E_clISt17integral_constantIbLb0EESW_IbLb1EEEEDaSS_ST_EUlSS_E_NS1_11comp_targetILNS1_3genE3ELNS1_11target_archE908ELNS1_3gpuE7ELNS1_3repE0EEENS1_30default_config_static_selectorELNS0_4arch9wavefront6targetE0EEEvT1_.uses_vcc, 0
	.set _ZN7rocprim17ROCPRIM_400000_NS6detail17trampoline_kernelINS0_14default_configENS1_27scan_by_key_config_selectorIiiEEZZNS1_16scan_by_key_implILNS1_25lookback_scan_determinismE0ELb0ES3_PKiN6hipcub16HIPCUB_304000_NS21ConstantInputIteratorIilEEPiiNSB_3SumENSB_8EqualityEiEE10hipError_tPvRmT2_T3_T4_T5_mT6_T7_P12ihipStream_tbENKUlT_T0_E_clISt17integral_constantIbLb0EESW_IbLb1EEEEDaSS_ST_EUlSS_E_NS1_11comp_targetILNS1_3genE3ELNS1_11target_archE908ELNS1_3gpuE7ELNS1_3repE0EEENS1_30default_config_static_selectorELNS0_4arch9wavefront6targetE0EEEvT1_.uses_flat_scratch, 0
	.set _ZN7rocprim17ROCPRIM_400000_NS6detail17trampoline_kernelINS0_14default_configENS1_27scan_by_key_config_selectorIiiEEZZNS1_16scan_by_key_implILNS1_25lookback_scan_determinismE0ELb0ES3_PKiN6hipcub16HIPCUB_304000_NS21ConstantInputIteratorIilEEPiiNSB_3SumENSB_8EqualityEiEE10hipError_tPvRmT2_T3_T4_T5_mT6_T7_P12ihipStream_tbENKUlT_T0_E_clISt17integral_constantIbLb0EESW_IbLb1EEEEDaSS_ST_EUlSS_E_NS1_11comp_targetILNS1_3genE3ELNS1_11target_archE908ELNS1_3gpuE7ELNS1_3repE0EEENS1_30default_config_static_selectorELNS0_4arch9wavefront6targetE0EEEvT1_.has_dyn_sized_stack, 0
	.set _ZN7rocprim17ROCPRIM_400000_NS6detail17trampoline_kernelINS0_14default_configENS1_27scan_by_key_config_selectorIiiEEZZNS1_16scan_by_key_implILNS1_25lookback_scan_determinismE0ELb0ES3_PKiN6hipcub16HIPCUB_304000_NS21ConstantInputIteratorIilEEPiiNSB_3SumENSB_8EqualityEiEE10hipError_tPvRmT2_T3_T4_T5_mT6_T7_P12ihipStream_tbENKUlT_T0_E_clISt17integral_constantIbLb0EESW_IbLb1EEEEDaSS_ST_EUlSS_E_NS1_11comp_targetILNS1_3genE3ELNS1_11target_archE908ELNS1_3gpuE7ELNS1_3repE0EEENS1_30default_config_static_selectorELNS0_4arch9wavefront6targetE0EEEvT1_.has_recursion, 0
	.set _ZN7rocprim17ROCPRIM_400000_NS6detail17trampoline_kernelINS0_14default_configENS1_27scan_by_key_config_selectorIiiEEZZNS1_16scan_by_key_implILNS1_25lookback_scan_determinismE0ELb0ES3_PKiN6hipcub16HIPCUB_304000_NS21ConstantInputIteratorIilEEPiiNSB_3SumENSB_8EqualityEiEE10hipError_tPvRmT2_T3_T4_T5_mT6_T7_P12ihipStream_tbENKUlT_T0_E_clISt17integral_constantIbLb0EESW_IbLb1EEEEDaSS_ST_EUlSS_E_NS1_11comp_targetILNS1_3genE3ELNS1_11target_archE908ELNS1_3gpuE7ELNS1_3repE0EEENS1_30default_config_static_selectorELNS0_4arch9wavefront6targetE0EEEvT1_.has_indirect_call, 0
	.section	.AMDGPU.csdata,"",@progbits
; Kernel info:
; codeLenInByte = 0
; TotalNumSgprs: 0
; NumVgprs: 0
; ScratchSize: 0
; MemoryBound: 0
; FloatMode: 240
; IeeeMode: 1
; LDSByteSize: 0 bytes/workgroup (compile time only)
; SGPRBlocks: 0
; VGPRBlocks: 0
; NumSGPRsForWavesPerEU: 1
; NumVGPRsForWavesPerEU: 1
; Occupancy: 16
; WaveLimiterHint : 0
; COMPUTE_PGM_RSRC2:SCRATCH_EN: 0
; COMPUTE_PGM_RSRC2:USER_SGPR: 6
; COMPUTE_PGM_RSRC2:TRAP_HANDLER: 0
; COMPUTE_PGM_RSRC2:TGID_X_EN: 1
; COMPUTE_PGM_RSRC2:TGID_Y_EN: 0
; COMPUTE_PGM_RSRC2:TGID_Z_EN: 0
; COMPUTE_PGM_RSRC2:TIDIG_COMP_CNT: 0
	.section	.text._ZN7rocprim17ROCPRIM_400000_NS6detail17trampoline_kernelINS0_14default_configENS1_27scan_by_key_config_selectorIiiEEZZNS1_16scan_by_key_implILNS1_25lookback_scan_determinismE0ELb0ES3_PKiN6hipcub16HIPCUB_304000_NS21ConstantInputIteratorIilEEPiiNSB_3SumENSB_8EqualityEiEE10hipError_tPvRmT2_T3_T4_T5_mT6_T7_P12ihipStream_tbENKUlT_T0_E_clISt17integral_constantIbLb0EESW_IbLb1EEEEDaSS_ST_EUlSS_E_NS1_11comp_targetILNS1_3genE2ELNS1_11target_archE906ELNS1_3gpuE6ELNS1_3repE0EEENS1_30default_config_static_selectorELNS0_4arch9wavefront6targetE0EEEvT1_,"axG",@progbits,_ZN7rocprim17ROCPRIM_400000_NS6detail17trampoline_kernelINS0_14default_configENS1_27scan_by_key_config_selectorIiiEEZZNS1_16scan_by_key_implILNS1_25lookback_scan_determinismE0ELb0ES3_PKiN6hipcub16HIPCUB_304000_NS21ConstantInputIteratorIilEEPiiNSB_3SumENSB_8EqualityEiEE10hipError_tPvRmT2_T3_T4_T5_mT6_T7_P12ihipStream_tbENKUlT_T0_E_clISt17integral_constantIbLb0EESW_IbLb1EEEEDaSS_ST_EUlSS_E_NS1_11comp_targetILNS1_3genE2ELNS1_11target_archE906ELNS1_3gpuE6ELNS1_3repE0EEENS1_30default_config_static_selectorELNS0_4arch9wavefront6targetE0EEEvT1_,comdat
	.protected	_ZN7rocprim17ROCPRIM_400000_NS6detail17trampoline_kernelINS0_14default_configENS1_27scan_by_key_config_selectorIiiEEZZNS1_16scan_by_key_implILNS1_25lookback_scan_determinismE0ELb0ES3_PKiN6hipcub16HIPCUB_304000_NS21ConstantInputIteratorIilEEPiiNSB_3SumENSB_8EqualityEiEE10hipError_tPvRmT2_T3_T4_T5_mT6_T7_P12ihipStream_tbENKUlT_T0_E_clISt17integral_constantIbLb0EESW_IbLb1EEEEDaSS_ST_EUlSS_E_NS1_11comp_targetILNS1_3genE2ELNS1_11target_archE906ELNS1_3gpuE6ELNS1_3repE0EEENS1_30default_config_static_selectorELNS0_4arch9wavefront6targetE0EEEvT1_ ; -- Begin function _ZN7rocprim17ROCPRIM_400000_NS6detail17trampoline_kernelINS0_14default_configENS1_27scan_by_key_config_selectorIiiEEZZNS1_16scan_by_key_implILNS1_25lookback_scan_determinismE0ELb0ES3_PKiN6hipcub16HIPCUB_304000_NS21ConstantInputIteratorIilEEPiiNSB_3SumENSB_8EqualityEiEE10hipError_tPvRmT2_T3_T4_T5_mT6_T7_P12ihipStream_tbENKUlT_T0_E_clISt17integral_constantIbLb0EESW_IbLb1EEEEDaSS_ST_EUlSS_E_NS1_11comp_targetILNS1_3genE2ELNS1_11target_archE906ELNS1_3gpuE6ELNS1_3repE0EEENS1_30default_config_static_selectorELNS0_4arch9wavefront6targetE0EEEvT1_
	.globl	_ZN7rocprim17ROCPRIM_400000_NS6detail17trampoline_kernelINS0_14default_configENS1_27scan_by_key_config_selectorIiiEEZZNS1_16scan_by_key_implILNS1_25lookback_scan_determinismE0ELb0ES3_PKiN6hipcub16HIPCUB_304000_NS21ConstantInputIteratorIilEEPiiNSB_3SumENSB_8EqualityEiEE10hipError_tPvRmT2_T3_T4_T5_mT6_T7_P12ihipStream_tbENKUlT_T0_E_clISt17integral_constantIbLb0EESW_IbLb1EEEEDaSS_ST_EUlSS_E_NS1_11comp_targetILNS1_3genE2ELNS1_11target_archE906ELNS1_3gpuE6ELNS1_3repE0EEENS1_30default_config_static_selectorELNS0_4arch9wavefront6targetE0EEEvT1_
	.p2align	8
	.type	_ZN7rocprim17ROCPRIM_400000_NS6detail17trampoline_kernelINS0_14default_configENS1_27scan_by_key_config_selectorIiiEEZZNS1_16scan_by_key_implILNS1_25lookback_scan_determinismE0ELb0ES3_PKiN6hipcub16HIPCUB_304000_NS21ConstantInputIteratorIilEEPiiNSB_3SumENSB_8EqualityEiEE10hipError_tPvRmT2_T3_T4_T5_mT6_T7_P12ihipStream_tbENKUlT_T0_E_clISt17integral_constantIbLb0EESW_IbLb1EEEEDaSS_ST_EUlSS_E_NS1_11comp_targetILNS1_3genE2ELNS1_11target_archE906ELNS1_3gpuE6ELNS1_3repE0EEENS1_30default_config_static_selectorELNS0_4arch9wavefront6targetE0EEEvT1_,@function
_ZN7rocprim17ROCPRIM_400000_NS6detail17trampoline_kernelINS0_14default_configENS1_27scan_by_key_config_selectorIiiEEZZNS1_16scan_by_key_implILNS1_25lookback_scan_determinismE0ELb0ES3_PKiN6hipcub16HIPCUB_304000_NS21ConstantInputIteratorIilEEPiiNSB_3SumENSB_8EqualityEiEE10hipError_tPvRmT2_T3_T4_T5_mT6_T7_P12ihipStream_tbENKUlT_T0_E_clISt17integral_constantIbLb0EESW_IbLb1EEEEDaSS_ST_EUlSS_E_NS1_11comp_targetILNS1_3genE2ELNS1_11target_archE906ELNS1_3gpuE6ELNS1_3repE0EEENS1_30default_config_static_selectorELNS0_4arch9wavefront6targetE0EEEvT1_: ; @_ZN7rocprim17ROCPRIM_400000_NS6detail17trampoline_kernelINS0_14default_configENS1_27scan_by_key_config_selectorIiiEEZZNS1_16scan_by_key_implILNS1_25lookback_scan_determinismE0ELb0ES3_PKiN6hipcub16HIPCUB_304000_NS21ConstantInputIteratorIilEEPiiNSB_3SumENSB_8EqualityEiEE10hipError_tPvRmT2_T3_T4_T5_mT6_T7_P12ihipStream_tbENKUlT_T0_E_clISt17integral_constantIbLb0EESW_IbLb1EEEEDaSS_ST_EUlSS_E_NS1_11comp_targetILNS1_3genE2ELNS1_11target_archE906ELNS1_3gpuE6ELNS1_3repE0EEENS1_30default_config_static_selectorELNS0_4arch9wavefront6targetE0EEEvT1_
; %bb.0:
	.section	.rodata,"a",@progbits
	.p2align	6, 0x0
	.amdhsa_kernel _ZN7rocprim17ROCPRIM_400000_NS6detail17trampoline_kernelINS0_14default_configENS1_27scan_by_key_config_selectorIiiEEZZNS1_16scan_by_key_implILNS1_25lookback_scan_determinismE0ELb0ES3_PKiN6hipcub16HIPCUB_304000_NS21ConstantInputIteratorIilEEPiiNSB_3SumENSB_8EqualityEiEE10hipError_tPvRmT2_T3_T4_T5_mT6_T7_P12ihipStream_tbENKUlT_T0_E_clISt17integral_constantIbLb0EESW_IbLb1EEEEDaSS_ST_EUlSS_E_NS1_11comp_targetILNS1_3genE2ELNS1_11target_archE906ELNS1_3gpuE6ELNS1_3repE0EEENS1_30default_config_static_selectorELNS0_4arch9wavefront6targetE0EEEvT1_
		.amdhsa_group_segment_fixed_size 0
		.amdhsa_private_segment_fixed_size 0
		.amdhsa_kernarg_size 120
		.amdhsa_user_sgpr_count 6
		.amdhsa_user_sgpr_private_segment_buffer 1
		.amdhsa_user_sgpr_dispatch_ptr 0
		.amdhsa_user_sgpr_queue_ptr 0
		.amdhsa_user_sgpr_kernarg_segment_ptr 1
		.amdhsa_user_sgpr_dispatch_id 0
		.amdhsa_user_sgpr_flat_scratch_init 0
		.amdhsa_user_sgpr_private_segment_size 0
		.amdhsa_wavefront_size32 1
		.amdhsa_uses_dynamic_stack 0
		.amdhsa_system_sgpr_private_segment_wavefront_offset 0
		.amdhsa_system_sgpr_workgroup_id_x 1
		.amdhsa_system_sgpr_workgroup_id_y 0
		.amdhsa_system_sgpr_workgroup_id_z 0
		.amdhsa_system_sgpr_workgroup_info 0
		.amdhsa_system_vgpr_workitem_id 0
		.amdhsa_next_free_vgpr 1
		.amdhsa_next_free_sgpr 1
		.amdhsa_reserve_vcc 0
		.amdhsa_reserve_flat_scratch 0
		.amdhsa_float_round_mode_32 0
		.amdhsa_float_round_mode_16_64 0
		.amdhsa_float_denorm_mode_32 3
		.amdhsa_float_denorm_mode_16_64 3
		.amdhsa_dx10_clamp 1
		.amdhsa_ieee_mode 1
		.amdhsa_fp16_overflow 0
		.amdhsa_workgroup_processor_mode 1
		.amdhsa_memory_ordered 1
		.amdhsa_forward_progress 1
		.amdhsa_shared_vgpr_count 0
		.amdhsa_exception_fp_ieee_invalid_op 0
		.amdhsa_exception_fp_denorm_src 0
		.amdhsa_exception_fp_ieee_div_zero 0
		.amdhsa_exception_fp_ieee_overflow 0
		.amdhsa_exception_fp_ieee_underflow 0
		.amdhsa_exception_fp_ieee_inexact 0
		.amdhsa_exception_int_div_zero 0
	.end_amdhsa_kernel
	.section	.text._ZN7rocprim17ROCPRIM_400000_NS6detail17trampoline_kernelINS0_14default_configENS1_27scan_by_key_config_selectorIiiEEZZNS1_16scan_by_key_implILNS1_25lookback_scan_determinismE0ELb0ES3_PKiN6hipcub16HIPCUB_304000_NS21ConstantInputIteratorIilEEPiiNSB_3SumENSB_8EqualityEiEE10hipError_tPvRmT2_T3_T4_T5_mT6_T7_P12ihipStream_tbENKUlT_T0_E_clISt17integral_constantIbLb0EESW_IbLb1EEEEDaSS_ST_EUlSS_E_NS1_11comp_targetILNS1_3genE2ELNS1_11target_archE906ELNS1_3gpuE6ELNS1_3repE0EEENS1_30default_config_static_selectorELNS0_4arch9wavefront6targetE0EEEvT1_,"axG",@progbits,_ZN7rocprim17ROCPRIM_400000_NS6detail17trampoline_kernelINS0_14default_configENS1_27scan_by_key_config_selectorIiiEEZZNS1_16scan_by_key_implILNS1_25lookback_scan_determinismE0ELb0ES3_PKiN6hipcub16HIPCUB_304000_NS21ConstantInputIteratorIilEEPiiNSB_3SumENSB_8EqualityEiEE10hipError_tPvRmT2_T3_T4_T5_mT6_T7_P12ihipStream_tbENKUlT_T0_E_clISt17integral_constantIbLb0EESW_IbLb1EEEEDaSS_ST_EUlSS_E_NS1_11comp_targetILNS1_3genE2ELNS1_11target_archE906ELNS1_3gpuE6ELNS1_3repE0EEENS1_30default_config_static_selectorELNS0_4arch9wavefront6targetE0EEEvT1_,comdat
.Lfunc_end48:
	.size	_ZN7rocprim17ROCPRIM_400000_NS6detail17trampoline_kernelINS0_14default_configENS1_27scan_by_key_config_selectorIiiEEZZNS1_16scan_by_key_implILNS1_25lookback_scan_determinismE0ELb0ES3_PKiN6hipcub16HIPCUB_304000_NS21ConstantInputIteratorIilEEPiiNSB_3SumENSB_8EqualityEiEE10hipError_tPvRmT2_T3_T4_T5_mT6_T7_P12ihipStream_tbENKUlT_T0_E_clISt17integral_constantIbLb0EESW_IbLb1EEEEDaSS_ST_EUlSS_E_NS1_11comp_targetILNS1_3genE2ELNS1_11target_archE906ELNS1_3gpuE6ELNS1_3repE0EEENS1_30default_config_static_selectorELNS0_4arch9wavefront6targetE0EEEvT1_, .Lfunc_end48-_ZN7rocprim17ROCPRIM_400000_NS6detail17trampoline_kernelINS0_14default_configENS1_27scan_by_key_config_selectorIiiEEZZNS1_16scan_by_key_implILNS1_25lookback_scan_determinismE0ELb0ES3_PKiN6hipcub16HIPCUB_304000_NS21ConstantInputIteratorIilEEPiiNSB_3SumENSB_8EqualityEiEE10hipError_tPvRmT2_T3_T4_T5_mT6_T7_P12ihipStream_tbENKUlT_T0_E_clISt17integral_constantIbLb0EESW_IbLb1EEEEDaSS_ST_EUlSS_E_NS1_11comp_targetILNS1_3genE2ELNS1_11target_archE906ELNS1_3gpuE6ELNS1_3repE0EEENS1_30default_config_static_selectorELNS0_4arch9wavefront6targetE0EEEvT1_
                                        ; -- End function
	.set _ZN7rocprim17ROCPRIM_400000_NS6detail17trampoline_kernelINS0_14default_configENS1_27scan_by_key_config_selectorIiiEEZZNS1_16scan_by_key_implILNS1_25lookback_scan_determinismE0ELb0ES3_PKiN6hipcub16HIPCUB_304000_NS21ConstantInputIteratorIilEEPiiNSB_3SumENSB_8EqualityEiEE10hipError_tPvRmT2_T3_T4_T5_mT6_T7_P12ihipStream_tbENKUlT_T0_E_clISt17integral_constantIbLb0EESW_IbLb1EEEEDaSS_ST_EUlSS_E_NS1_11comp_targetILNS1_3genE2ELNS1_11target_archE906ELNS1_3gpuE6ELNS1_3repE0EEENS1_30default_config_static_selectorELNS0_4arch9wavefront6targetE0EEEvT1_.num_vgpr, 0
	.set _ZN7rocprim17ROCPRIM_400000_NS6detail17trampoline_kernelINS0_14default_configENS1_27scan_by_key_config_selectorIiiEEZZNS1_16scan_by_key_implILNS1_25lookback_scan_determinismE0ELb0ES3_PKiN6hipcub16HIPCUB_304000_NS21ConstantInputIteratorIilEEPiiNSB_3SumENSB_8EqualityEiEE10hipError_tPvRmT2_T3_T4_T5_mT6_T7_P12ihipStream_tbENKUlT_T0_E_clISt17integral_constantIbLb0EESW_IbLb1EEEEDaSS_ST_EUlSS_E_NS1_11comp_targetILNS1_3genE2ELNS1_11target_archE906ELNS1_3gpuE6ELNS1_3repE0EEENS1_30default_config_static_selectorELNS0_4arch9wavefront6targetE0EEEvT1_.num_agpr, 0
	.set _ZN7rocprim17ROCPRIM_400000_NS6detail17trampoline_kernelINS0_14default_configENS1_27scan_by_key_config_selectorIiiEEZZNS1_16scan_by_key_implILNS1_25lookback_scan_determinismE0ELb0ES3_PKiN6hipcub16HIPCUB_304000_NS21ConstantInputIteratorIilEEPiiNSB_3SumENSB_8EqualityEiEE10hipError_tPvRmT2_T3_T4_T5_mT6_T7_P12ihipStream_tbENKUlT_T0_E_clISt17integral_constantIbLb0EESW_IbLb1EEEEDaSS_ST_EUlSS_E_NS1_11comp_targetILNS1_3genE2ELNS1_11target_archE906ELNS1_3gpuE6ELNS1_3repE0EEENS1_30default_config_static_selectorELNS0_4arch9wavefront6targetE0EEEvT1_.numbered_sgpr, 0
	.set _ZN7rocprim17ROCPRIM_400000_NS6detail17trampoline_kernelINS0_14default_configENS1_27scan_by_key_config_selectorIiiEEZZNS1_16scan_by_key_implILNS1_25lookback_scan_determinismE0ELb0ES3_PKiN6hipcub16HIPCUB_304000_NS21ConstantInputIteratorIilEEPiiNSB_3SumENSB_8EqualityEiEE10hipError_tPvRmT2_T3_T4_T5_mT6_T7_P12ihipStream_tbENKUlT_T0_E_clISt17integral_constantIbLb0EESW_IbLb1EEEEDaSS_ST_EUlSS_E_NS1_11comp_targetILNS1_3genE2ELNS1_11target_archE906ELNS1_3gpuE6ELNS1_3repE0EEENS1_30default_config_static_selectorELNS0_4arch9wavefront6targetE0EEEvT1_.num_named_barrier, 0
	.set _ZN7rocprim17ROCPRIM_400000_NS6detail17trampoline_kernelINS0_14default_configENS1_27scan_by_key_config_selectorIiiEEZZNS1_16scan_by_key_implILNS1_25lookback_scan_determinismE0ELb0ES3_PKiN6hipcub16HIPCUB_304000_NS21ConstantInputIteratorIilEEPiiNSB_3SumENSB_8EqualityEiEE10hipError_tPvRmT2_T3_T4_T5_mT6_T7_P12ihipStream_tbENKUlT_T0_E_clISt17integral_constantIbLb0EESW_IbLb1EEEEDaSS_ST_EUlSS_E_NS1_11comp_targetILNS1_3genE2ELNS1_11target_archE906ELNS1_3gpuE6ELNS1_3repE0EEENS1_30default_config_static_selectorELNS0_4arch9wavefront6targetE0EEEvT1_.private_seg_size, 0
	.set _ZN7rocprim17ROCPRIM_400000_NS6detail17trampoline_kernelINS0_14default_configENS1_27scan_by_key_config_selectorIiiEEZZNS1_16scan_by_key_implILNS1_25lookback_scan_determinismE0ELb0ES3_PKiN6hipcub16HIPCUB_304000_NS21ConstantInputIteratorIilEEPiiNSB_3SumENSB_8EqualityEiEE10hipError_tPvRmT2_T3_T4_T5_mT6_T7_P12ihipStream_tbENKUlT_T0_E_clISt17integral_constantIbLb0EESW_IbLb1EEEEDaSS_ST_EUlSS_E_NS1_11comp_targetILNS1_3genE2ELNS1_11target_archE906ELNS1_3gpuE6ELNS1_3repE0EEENS1_30default_config_static_selectorELNS0_4arch9wavefront6targetE0EEEvT1_.uses_vcc, 0
	.set _ZN7rocprim17ROCPRIM_400000_NS6detail17trampoline_kernelINS0_14default_configENS1_27scan_by_key_config_selectorIiiEEZZNS1_16scan_by_key_implILNS1_25lookback_scan_determinismE0ELb0ES3_PKiN6hipcub16HIPCUB_304000_NS21ConstantInputIteratorIilEEPiiNSB_3SumENSB_8EqualityEiEE10hipError_tPvRmT2_T3_T4_T5_mT6_T7_P12ihipStream_tbENKUlT_T0_E_clISt17integral_constantIbLb0EESW_IbLb1EEEEDaSS_ST_EUlSS_E_NS1_11comp_targetILNS1_3genE2ELNS1_11target_archE906ELNS1_3gpuE6ELNS1_3repE0EEENS1_30default_config_static_selectorELNS0_4arch9wavefront6targetE0EEEvT1_.uses_flat_scratch, 0
	.set _ZN7rocprim17ROCPRIM_400000_NS6detail17trampoline_kernelINS0_14default_configENS1_27scan_by_key_config_selectorIiiEEZZNS1_16scan_by_key_implILNS1_25lookback_scan_determinismE0ELb0ES3_PKiN6hipcub16HIPCUB_304000_NS21ConstantInputIteratorIilEEPiiNSB_3SumENSB_8EqualityEiEE10hipError_tPvRmT2_T3_T4_T5_mT6_T7_P12ihipStream_tbENKUlT_T0_E_clISt17integral_constantIbLb0EESW_IbLb1EEEEDaSS_ST_EUlSS_E_NS1_11comp_targetILNS1_3genE2ELNS1_11target_archE906ELNS1_3gpuE6ELNS1_3repE0EEENS1_30default_config_static_selectorELNS0_4arch9wavefront6targetE0EEEvT1_.has_dyn_sized_stack, 0
	.set _ZN7rocprim17ROCPRIM_400000_NS6detail17trampoline_kernelINS0_14default_configENS1_27scan_by_key_config_selectorIiiEEZZNS1_16scan_by_key_implILNS1_25lookback_scan_determinismE0ELb0ES3_PKiN6hipcub16HIPCUB_304000_NS21ConstantInputIteratorIilEEPiiNSB_3SumENSB_8EqualityEiEE10hipError_tPvRmT2_T3_T4_T5_mT6_T7_P12ihipStream_tbENKUlT_T0_E_clISt17integral_constantIbLb0EESW_IbLb1EEEEDaSS_ST_EUlSS_E_NS1_11comp_targetILNS1_3genE2ELNS1_11target_archE906ELNS1_3gpuE6ELNS1_3repE0EEENS1_30default_config_static_selectorELNS0_4arch9wavefront6targetE0EEEvT1_.has_recursion, 0
	.set _ZN7rocprim17ROCPRIM_400000_NS6detail17trampoline_kernelINS0_14default_configENS1_27scan_by_key_config_selectorIiiEEZZNS1_16scan_by_key_implILNS1_25lookback_scan_determinismE0ELb0ES3_PKiN6hipcub16HIPCUB_304000_NS21ConstantInputIteratorIilEEPiiNSB_3SumENSB_8EqualityEiEE10hipError_tPvRmT2_T3_T4_T5_mT6_T7_P12ihipStream_tbENKUlT_T0_E_clISt17integral_constantIbLb0EESW_IbLb1EEEEDaSS_ST_EUlSS_E_NS1_11comp_targetILNS1_3genE2ELNS1_11target_archE906ELNS1_3gpuE6ELNS1_3repE0EEENS1_30default_config_static_selectorELNS0_4arch9wavefront6targetE0EEEvT1_.has_indirect_call, 0
	.section	.AMDGPU.csdata,"",@progbits
; Kernel info:
; codeLenInByte = 0
; TotalNumSgprs: 0
; NumVgprs: 0
; ScratchSize: 0
; MemoryBound: 0
; FloatMode: 240
; IeeeMode: 1
; LDSByteSize: 0 bytes/workgroup (compile time only)
; SGPRBlocks: 0
; VGPRBlocks: 0
; NumSGPRsForWavesPerEU: 1
; NumVGPRsForWavesPerEU: 1
; Occupancy: 16
; WaveLimiterHint : 0
; COMPUTE_PGM_RSRC2:SCRATCH_EN: 0
; COMPUTE_PGM_RSRC2:USER_SGPR: 6
; COMPUTE_PGM_RSRC2:TRAP_HANDLER: 0
; COMPUTE_PGM_RSRC2:TGID_X_EN: 1
; COMPUTE_PGM_RSRC2:TGID_Y_EN: 0
; COMPUTE_PGM_RSRC2:TGID_Z_EN: 0
; COMPUTE_PGM_RSRC2:TIDIG_COMP_CNT: 0
	.section	.text._ZN7rocprim17ROCPRIM_400000_NS6detail17trampoline_kernelINS0_14default_configENS1_27scan_by_key_config_selectorIiiEEZZNS1_16scan_by_key_implILNS1_25lookback_scan_determinismE0ELb0ES3_PKiN6hipcub16HIPCUB_304000_NS21ConstantInputIteratorIilEEPiiNSB_3SumENSB_8EqualityEiEE10hipError_tPvRmT2_T3_T4_T5_mT6_T7_P12ihipStream_tbENKUlT_T0_E_clISt17integral_constantIbLb0EESW_IbLb1EEEEDaSS_ST_EUlSS_E_NS1_11comp_targetILNS1_3genE10ELNS1_11target_archE1200ELNS1_3gpuE4ELNS1_3repE0EEENS1_30default_config_static_selectorELNS0_4arch9wavefront6targetE0EEEvT1_,"axG",@progbits,_ZN7rocprim17ROCPRIM_400000_NS6detail17trampoline_kernelINS0_14default_configENS1_27scan_by_key_config_selectorIiiEEZZNS1_16scan_by_key_implILNS1_25lookback_scan_determinismE0ELb0ES3_PKiN6hipcub16HIPCUB_304000_NS21ConstantInputIteratorIilEEPiiNSB_3SumENSB_8EqualityEiEE10hipError_tPvRmT2_T3_T4_T5_mT6_T7_P12ihipStream_tbENKUlT_T0_E_clISt17integral_constantIbLb0EESW_IbLb1EEEEDaSS_ST_EUlSS_E_NS1_11comp_targetILNS1_3genE10ELNS1_11target_archE1200ELNS1_3gpuE4ELNS1_3repE0EEENS1_30default_config_static_selectorELNS0_4arch9wavefront6targetE0EEEvT1_,comdat
	.protected	_ZN7rocprim17ROCPRIM_400000_NS6detail17trampoline_kernelINS0_14default_configENS1_27scan_by_key_config_selectorIiiEEZZNS1_16scan_by_key_implILNS1_25lookback_scan_determinismE0ELb0ES3_PKiN6hipcub16HIPCUB_304000_NS21ConstantInputIteratorIilEEPiiNSB_3SumENSB_8EqualityEiEE10hipError_tPvRmT2_T3_T4_T5_mT6_T7_P12ihipStream_tbENKUlT_T0_E_clISt17integral_constantIbLb0EESW_IbLb1EEEEDaSS_ST_EUlSS_E_NS1_11comp_targetILNS1_3genE10ELNS1_11target_archE1200ELNS1_3gpuE4ELNS1_3repE0EEENS1_30default_config_static_selectorELNS0_4arch9wavefront6targetE0EEEvT1_ ; -- Begin function _ZN7rocprim17ROCPRIM_400000_NS6detail17trampoline_kernelINS0_14default_configENS1_27scan_by_key_config_selectorIiiEEZZNS1_16scan_by_key_implILNS1_25lookback_scan_determinismE0ELb0ES3_PKiN6hipcub16HIPCUB_304000_NS21ConstantInputIteratorIilEEPiiNSB_3SumENSB_8EqualityEiEE10hipError_tPvRmT2_T3_T4_T5_mT6_T7_P12ihipStream_tbENKUlT_T0_E_clISt17integral_constantIbLb0EESW_IbLb1EEEEDaSS_ST_EUlSS_E_NS1_11comp_targetILNS1_3genE10ELNS1_11target_archE1200ELNS1_3gpuE4ELNS1_3repE0EEENS1_30default_config_static_selectorELNS0_4arch9wavefront6targetE0EEEvT1_
	.globl	_ZN7rocprim17ROCPRIM_400000_NS6detail17trampoline_kernelINS0_14default_configENS1_27scan_by_key_config_selectorIiiEEZZNS1_16scan_by_key_implILNS1_25lookback_scan_determinismE0ELb0ES3_PKiN6hipcub16HIPCUB_304000_NS21ConstantInputIteratorIilEEPiiNSB_3SumENSB_8EqualityEiEE10hipError_tPvRmT2_T3_T4_T5_mT6_T7_P12ihipStream_tbENKUlT_T0_E_clISt17integral_constantIbLb0EESW_IbLb1EEEEDaSS_ST_EUlSS_E_NS1_11comp_targetILNS1_3genE10ELNS1_11target_archE1200ELNS1_3gpuE4ELNS1_3repE0EEENS1_30default_config_static_selectorELNS0_4arch9wavefront6targetE0EEEvT1_
	.p2align	8
	.type	_ZN7rocprim17ROCPRIM_400000_NS6detail17trampoline_kernelINS0_14default_configENS1_27scan_by_key_config_selectorIiiEEZZNS1_16scan_by_key_implILNS1_25lookback_scan_determinismE0ELb0ES3_PKiN6hipcub16HIPCUB_304000_NS21ConstantInputIteratorIilEEPiiNSB_3SumENSB_8EqualityEiEE10hipError_tPvRmT2_T3_T4_T5_mT6_T7_P12ihipStream_tbENKUlT_T0_E_clISt17integral_constantIbLb0EESW_IbLb1EEEEDaSS_ST_EUlSS_E_NS1_11comp_targetILNS1_3genE10ELNS1_11target_archE1200ELNS1_3gpuE4ELNS1_3repE0EEENS1_30default_config_static_selectorELNS0_4arch9wavefront6targetE0EEEvT1_,@function
_ZN7rocprim17ROCPRIM_400000_NS6detail17trampoline_kernelINS0_14default_configENS1_27scan_by_key_config_selectorIiiEEZZNS1_16scan_by_key_implILNS1_25lookback_scan_determinismE0ELb0ES3_PKiN6hipcub16HIPCUB_304000_NS21ConstantInputIteratorIilEEPiiNSB_3SumENSB_8EqualityEiEE10hipError_tPvRmT2_T3_T4_T5_mT6_T7_P12ihipStream_tbENKUlT_T0_E_clISt17integral_constantIbLb0EESW_IbLb1EEEEDaSS_ST_EUlSS_E_NS1_11comp_targetILNS1_3genE10ELNS1_11target_archE1200ELNS1_3gpuE4ELNS1_3repE0EEENS1_30default_config_static_selectorELNS0_4arch9wavefront6targetE0EEEvT1_: ; @_ZN7rocprim17ROCPRIM_400000_NS6detail17trampoline_kernelINS0_14default_configENS1_27scan_by_key_config_selectorIiiEEZZNS1_16scan_by_key_implILNS1_25lookback_scan_determinismE0ELb0ES3_PKiN6hipcub16HIPCUB_304000_NS21ConstantInputIteratorIilEEPiiNSB_3SumENSB_8EqualityEiEE10hipError_tPvRmT2_T3_T4_T5_mT6_T7_P12ihipStream_tbENKUlT_T0_E_clISt17integral_constantIbLb0EESW_IbLb1EEEEDaSS_ST_EUlSS_E_NS1_11comp_targetILNS1_3genE10ELNS1_11target_archE1200ELNS1_3gpuE4ELNS1_3repE0EEENS1_30default_config_static_selectorELNS0_4arch9wavefront6targetE0EEEvT1_
; %bb.0:
	.section	.rodata,"a",@progbits
	.p2align	6, 0x0
	.amdhsa_kernel _ZN7rocprim17ROCPRIM_400000_NS6detail17trampoline_kernelINS0_14default_configENS1_27scan_by_key_config_selectorIiiEEZZNS1_16scan_by_key_implILNS1_25lookback_scan_determinismE0ELb0ES3_PKiN6hipcub16HIPCUB_304000_NS21ConstantInputIteratorIilEEPiiNSB_3SumENSB_8EqualityEiEE10hipError_tPvRmT2_T3_T4_T5_mT6_T7_P12ihipStream_tbENKUlT_T0_E_clISt17integral_constantIbLb0EESW_IbLb1EEEEDaSS_ST_EUlSS_E_NS1_11comp_targetILNS1_3genE10ELNS1_11target_archE1200ELNS1_3gpuE4ELNS1_3repE0EEENS1_30default_config_static_selectorELNS0_4arch9wavefront6targetE0EEEvT1_
		.amdhsa_group_segment_fixed_size 0
		.amdhsa_private_segment_fixed_size 0
		.amdhsa_kernarg_size 120
		.amdhsa_user_sgpr_count 6
		.amdhsa_user_sgpr_private_segment_buffer 1
		.amdhsa_user_sgpr_dispatch_ptr 0
		.amdhsa_user_sgpr_queue_ptr 0
		.amdhsa_user_sgpr_kernarg_segment_ptr 1
		.amdhsa_user_sgpr_dispatch_id 0
		.amdhsa_user_sgpr_flat_scratch_init 0
		.amdhsa_user_sgpr_private_segment_size 0
		.amdhsa_wavefront_size32 1
		.amdhsa_uses_dynamic_stack 0
		.amdhsa_system_sgpr_private_segment_wavefront_offset 0
		.amdhsa_system_sgpr_workgroup_id_x 1
		.amdhsa_system_sgpr_workgroup_id_y 0
		.amdhsa_system_sgpr_workgroup_id_z 0
		.amdhsa_system_sgpr_workgroup_info 0
		.amdhsa_system_vgpr_workitem_id 0
		.amdhsa_next_free_vgpr 1
		.amdhsa_next_free_sgpr 1
		.amdhsa_reserve_vcc 0
		.amdhsa_reserve_flat_scratch 0
		.amdhsa_float_round_mode_32 0
		.amdhsa_float_round_mode_16_64 0
		.amdhsa_float_denorm_mode_32 3
		.amdhsa_float_denorm_mode_16_64 3
		.amdhsa_dx10_clamp 1
		.amdhsa_ieee_mode 1
		.amdhsa_fp16_overflow 0
		.amdhsa_workgroup_processor_mode 1
		.amdhsa_memory_ordered 1
		.amdhsa_forward_progress 1
		.amdhsa_shared_vgpr_count 0
		.amdhsa_exception_fp_ieee_invalid_op 0
		.amdhsa_exception_fp_denorm_src 0
		.amdhsa_exception_fp_ieee_div_zero 0
		.amdhsa_exception_fp_ieee_overflow 0
		.amdhsa_exception_fp_ieee_underflow 0
		.amdhsa_exception_fp_ieee_inexact 0
		.amdhsa_exception_int_div_zero 0
	.end_amdhsa_kernel
	.section	.text._ZN7rocprim17ROCPRIM_400000_NS6detail17trampoline_kernelINS0_14default_configENS1_27scan_by_key_config_selectorIiiEEZZNS1_16scan_by_key_implILNS1_25lookback_scan_determinismE0ELb0ES3_PKiN6hipcub16HIPCUB_304000_NS21ConstantInputIteratorIilEEPiiNSB_3SumENSB_8EqualityEiEE10hipError_tPvRmT2_T3_T4_T5_mT6_T7_P12ihipStream_tbENKUlT_T0_E_clISt17integral_constantIbLb0EESW_IbLb1EEEEDaSS_ST_EUlSS_E_NS1_11comp_targetILNS1_3genE10ELNS1_11target_archE1200ELNS1_3gpuE4ELNS1_3repE0EEENS1_30default_config_static_selectorELNS0_4arch9wavefront6targetE0EEEvT1_,"axG",@progbits,_ZN7rocprim17ROCPRIM_400000_NS6detail17trampoline_kernelINS0_14default_configENS1_27scan_by_key_config_selectorIiiEEZZNS1_16scan_by_key_implILNS1_25lookback_scan_determinismE0ELb0ES3_PKiN6hipcub16HIPCUB_304000_NS21ConstantInputIteratorIilEEPiiNSB_3SumENSB_8EqualityEiEE10hipError_tPvRmT2_T3_T4_T5_mT6_T7_P12ihipStream_tbENKUlT_T0_E_clISt17integral_constantIbLb0EESW_IbLb1EEEEDaSS_ST_EUlSS_E_NS1_11comp_targetILNS1_3genE10ELNS1_11target_archE1200ELNS1_3gpuE4ELNS1_3repE0EEENS1_30default_config_static_selectorELNS0_4arch9wavefront6targetE0EEEvT1_,comdat
.Lfunc_end49:
	.size	_ZN7rocprim17ROCPRIM_400000_NS6detail17trampoline_kernelINS0_14default_configENS1_27scan_by_key_config_selectorIiiEEZZNS1_16scan_by_key_implILNS1_25lookback_scan_determinismE0ELb0ES3_PKiN6hipcub16HIPCUB_304000_NS21ConstantInputIteratorIilEEPiiNSB_3SumENSB_8EqualityEiEE10hipError_tPvRmT2_T3_T4_T5_mT6_T7_P12ihipStream_tbENKUlT_T0_E_clISt17integral_constantIbLb0EESW_IbLb1EEEEDaSS_ST_EUlSS_E_NS1_11comp_targetILNS1_3genE10ELNS1_11target_archE1200ELNS1_3gpuE4ELNS1_3repE0EEENS1_30default_config_static_selectorELNS0_4arch9wavefront6targetE0EEEvT1_, .Lfunc_end49-_ZN7rocprim17ROCPRIM_400000_NS6detail17trampoline_kernelINS0_14default_configENS1_27scan_by_key_config_selectorIiiEEZZNS1_16scan_by_key_implILNS1_25lookback_scan_determinismE0ELb0ES3_PKiN6hipcub16HIPCUB_304000_NS21ConstantInputIteratorIilEEPiiNSB_3SumENSB_8EqualityEiEE10hipError_tPvRmT2_T3_T4_T5_mT6_T7_P12ihipStream_tbENKUlT_T0_E_clISt17integral_constantIbLb0EESW_IbLb1EEEEDaSS_ST_EUlSS_E_NS1_11comp_targetILNS1_3genE10ELNS1_11target_archE1200ELNS1_3gpuE4ELNS1_3repE0EEENS1_30default_config_static_selectorELNS0_4arch9wavefront6targetE0EEEvT1_
                                        ; -- End function
	.set _ZN7rocprim17ROCPRIM_400000_NS6detail17trampoline_kernelINS0_14default_configENS1_27scan_by_key_config_selectorIiiEEZZNS1_16scan_by_key_implILNS1_25lookback_scan_determinismE0ELb0ES3_PKiN6hipcub16HIPCUB_304000_NS21ConstantInputIteratorIilEEPiiNSB_3SumENSB_8EqualityEiEE10hipError_tPvRmT2_T3_T4_T5_mT6_T7_P12ihipStream_tbENKUlT_T0_E_clISt17integral_constantIbLb0EESW_IbLb1EEEEDaSS_ST_EUlSS_E_NS1_11comp_targetILNS1_3genE10ELNS1_11target_archE1200ELNS1_3gpuE4ELNS1_3repE0EEENS1_30default_config_static_selectorELNS0_4arch9wavefront6targetE0EEEvT1_.num_vgpr, 0
	.set _ZN7rocprim17ROCPRIM_400000_NS6detail17trampoline_kernelINS0_14default_configENS1_27scan_by_key_config_selectorIiiEEZZNS1_16scan_by_key_implILNS1_25lookback_scan_determinismE0ELb0ES3_PKiN6hipcub16HIPCUB_304000_NS21ConstantInputIteratorIilEEPiiNSB_3SumENSB_8EqualityEiEE10hipError_tPvRmT2_T3_T4_T5_mT6_T7_P12ihipStream_tbENKUlT_T0_E_clISt17integral_constantIbLb0EESW_IbLb1EEEEDaSS_ST_EUlSS_E_NS1_11comp_targetILNS1_3genE10ELNS1_11target_archE1200ELNS1_3gpuE4ELNS1_3repE0EEENS1_30default_config_static_selectorELNS0_4arch9wavefront6targetE0EEEvT1_.num_agpr, 0
	.set _ZN7rocprim17ROCPRIM_400000_NS6detail17trampoline_kernelINS0_14default_configENS1_27scan_by_key_config_selectorIiiEEZZNS1_16scan_by_key_implILNS1_25lookback_scan_determinismE0ELb0ES3_PKiN6hipcub16HIPCUB_304000_NS21ConstantInputIteratorIilEEPiiNSB_3SumENSB_8EqualityEiEE10hipError_tPvRmT2_T3_T4_T5_mT6_T7_P12ihipStream_tbENKUlT_T0_E_clISt17integral_constantIbLb0EESW_IbLb1EEEEDaSS_ST_EUlSS_E_NS1_11comp_targetILNS1_3genE10ELNS1_11target_archE1200ELNS1_3gpuE4ELNS1_3repE0EEENS1_30default_config_static_selectorELNS0_4arch9wavefront6targetE0EEEvT1_.numbered_sgpr, 0
	.set _ZN7rocprim17ROCPRIM_400000_NS6detail17trampoline_kernelINS0_14default_configENS1_27scan_by_key_config_selectorIiiEEZZNS1_16scan_by_key_implILNS1_25lookback_scan_determinismE0ELb0ES3_PKiN6hipcub16HIPCUB_304000_NS21ConstantInputIteratorIilEEPiiNSB_3SumENSB_8EqualityEiEE10hipError_tPvRmT2_T3_T4_T5_mT6_T7_P12ihipStream_tbENKUlT_T0_E_clISt17integral_constantIbLb0EESW_IbLb1EEEEDaSS_ST_EUlSS_E_NS1_11comp_targetILNS1_3genE10ELNS1_11target_archE1200ELNS1_3gpuE4ELNS1_3repE0EEENS1_30default_config_static_selectorELNS0_4arch9wavefront6targetE0EEEvT1_.num_named_barrier, 0
	.set _ZN7rocprim17ROCPRIM_400000_NS6detail17trampoline_kernelINS0_14default_configENS1_27scan_by_key_config_selectorIiiEEZZNS1_16scan_by_key_implILNS1_25lookback_scan_determinismE0ELb0ES3_PKiN6hipcub16HIPCUB_304000_NS21ConstantInputIteratorIilEEPiiNSB_3SumENSB_8EqualityEiEE10hipError_tPvRmT2_T3_T4_T5_mT6_T7_P12ihipStream_tbENKUlT_T0_E_clISt17integral_constantIbLb0EESW_IbLb1EEEEDaSS_ST_EUlSS_E_NS1_11comp_targetILNS1_3genE10ELNS1_11target_archE1200ELNS1_3gpuE4ELNS1_3repE0EEENS1_30default_config_static_selectorELNS0_4arch9wavefront6targetE0EEEvT1_.private_seg_size, 0
	.set _ZN7rocprim17ROCPRIM_400000_NS6detail17trampoline_kernelINS0_14default_configENS1_27scan_by_key_config_selectorIiiEEZZNS1_16scan_by_key_implILNS1_25lookback_scan_determinismE0ELb0ES3_PKiN6hipcub16HIPCUB_304000_NS21ConstantInputIteratorIilEEPiiNSB_3SumENSB_8EqualityEiEE10hipError_tPvRmT2_T3_T4_T5_mT6_T7_P12ihipStream_tbENKUlT_T0_E_clISt17integral_constantIbLb0EESW_IbLb1EEEEDaSS_ST_EUlSS_E_NS1_11comp_targetILNS1_3genE10ELNS1_11target_archE1200ELNS1_3gpuE4ELNS1_3repE0EEENS1_30default_config_static_selectorELNS0_4arch9wavefront6targetE0EEEvT1_.uses_vcc, 0
	.set _ZN7rocprim17ROCPRIM_400000_NS6detail17trampoline_kernelINS0_14default_configENS1_27scan_by_key_config_selectorIiiEEZZNS1_16scan_by_key_implILNS1_25lookback_scan_determinismE0ELb0ES3_PKiN6hipcub16HIPCUB_304000_NS21ConstantInputIteratorIilEEPiiNSB_3SumENSB_8EqualityEiEE10hipError_tPvRmT2_T3_T4_T5_mT6_T7_P12ihipStream_tbENKUlT_T0_E_clISt17integral_constantIbLb0EESW_IbLb1EEEEDaSS_ST_EUlSS_E_NS1_11comp_targetILNS1_3genE10ELNS1_11target_archE1200ELNS1_3gpuE4ELNS1_3repE0EEENS1_30default_config_static_selectorELNS0_4arch9wavefront6targetE0EEEvT1_.uses_flat_scratch, 0
	.set _ZN7rocprim17ROCPRIM_400000_NS6detail17trampoline_kernelINS0_14default_configENS1_27scan_by_key_config_selectorIiiEEZZNS1_16scan_by_key_implILNS1_25lookback_scan_determinismE0ELb0ES3_PKiN6hipcub16HIPCUB_304000_NS21ConstantInputIteratorIilEEPiiNSB_3SumENSB_8EqualityEiEE10hipError_tPvRmT2_T3_T4_T5_mT6_T7_P12ihipStream_tbENKUlT_T0_E_clISt17integral_constantIbLb0EESW_IbLb1EEEEDaSS_ST_EUlSS_E_NS1_11comp_targetILNS1_3genE10ELNS1_11target_archE1200ELNS1_3gpuE4ELNS1_3repE0EEENS1_30default_config_static_selectorELNS0_4arch9wavefront6targetE0EEEvT1_.has_dyn_sized_stack, 0
	.set _ZN7rocprim17ROCPRIM_400000_NS6detail17trampoline_kernelINS0_14default_configENS1_27scan_by_key_config_selectorIiiEEZZNS1_16scan_by_key_implILNS1_25lookback_scan_determinismE0ELb0ES3_PKiN6hipcub16HIPCUB_304000_NS21ConstantInputIteratorIilEEPiiNSB_3SumENSB_8EqualityEiEE10hipError_tPvRmT2_T3_T4_T5_mT6_T7_P12ihipStream_tbENKUlT_T0_E_clISt17integral_constantIbLb0EESW_IbLb1EEEEDaSS_ST_EUlSS_E_NS1_11comp_targetILNS1_3genE10ELNS1_11target_archE1200ELNS1_3gpuE4ELNS1_3repE0EEENS1_30default_config_static_selectorELNS0_4arch9wavefront6targetE0EEEvT1_.has_recursion, 0
	.set _ZN7rocprim17ROCPRIM_400000_NS6detail17trampoline_kernelINS0_14default_configENS1_27scan_by_key_config_selectorIiiEEZZNS1_16scan_by_key_implILNS1_25lookback_scan_determinismE0ELb0ES3_PKiN6hipcub16HIPCUB_304000_NS21ConstantInputIteratorIilEEPiiNSB_3SumENSB_8EqualityEiEE10hipError_tPvRmT2_T3_T4_T5_mT6_T7_P12ihipStream_tbENKUlT_T0_E_clISt17integral_constantIbLb0EESW_IbLb1EEEEDaSS_ST_EUlSS_E_NS1_11comp_targetILNS1_3genE10ELNS1_11target_archE1200ELNS1_3gpuE4ELNS1_3repE0EEENS1_30default_config_static_selectorELNS0_4arch9wavefront6targetE0EEEvT1_.has_indirect_call, 0
	.section	.AMDGPU.csdata,"",@progbits
; Kernel info:
; codeLenInByte = 0
; TotalNumSgprs: 0
; NumVgprs: 0
; ScratchSize: 0
; MemoryBound: 0
; FloatMode: 240
; IeeeMode: 1
; LDSByteSize: 0 bytes/workgroup (compile time only)
; SGPRBlocks: 0
; VGPRBlocks: 0
; NumSGPRsForWavesPerEU: 1
; NumVGPRsForWavesPerEU: 1
; Occupancy: 16
; WaveLimiterHint : 0
; COMPUTE_PGM_RSRC2:SCRATCH_EN: 0
; COMPUTE_PGM_RSRC2:USER_SGPR: 6
; COMPUTE_PGM_RSRC2:TRAP_HANDLER: 0
; COMPUTE_PGM_RSRC2:TGID_X_EN: 1
; COMPUTE_PGM_RSRC2:TGID_Y_EN: 0
; COMPUTE_PGM_RSRC2:TGID_Z_EN: 0
; COMPUTE_PGM_RSRC2:TIDIG_COMP_CNT: 0
	.section	.text._ZN7rocprim17ROCPRIM_400000_NS6detail17trampoline_kernelINS0_14default_configENS1_27scan_by_key_config_selectorIiiEEZZNS1_16scan_by_key_implILNS1_25lookback_scan_determinismE0ELb0ES3_PKiN6hipcub16HIPCUB_304000_NS21ConstantInputIteratorIilEEPiiNSB_3SumENSB_8EqualityEiEE10hipError_tPvRmT2_T3_T4_T5_mT6_T7_P12ihipStream_tbENKUlT_T0_E_clISt17integral_constantIbLb0EESW_IbLb1EEEEDaSS_ST_EUlSS_E_NS1_11comp_targetILNS1_3genE9ELNS1_11target_archE1100ELNS1_3gpuE3ELNS1_3repE0EEENS1_30default_config_static_selectorELNS0_4arch9wavefront6targetE0EEEvT1_,"axG",@progbits,_ZN7rocprim17ROCPRIM_400000_NS6detail17trampoline_kernelINS0_14default_configENS1_27scan_by_key_config_selectorIiiEEZZNS1_16scan_by_key_implILNS1_25lookback_scan_determinismE0ELb0ES3_PKiN6hipcub16HIPCUB_304000_NS21ConstantInputIteratorIilEEPiiNSB_3SumENSB_8EqualityEiEE10hipError_tPvRmT2_T3_T4_T5_mT6_T7_P12ihipStream_tbENKUlT_T0_E_clISt17integral_constantIbLb0EESW_IbLb1EEEEDaSS_ST_EUlSS_E_NS1_11comp_targetILNS1_3genE9ELNS1_11target_archE1100ELNS1_3gpuE3ELNS1_3repE0EEENS1_30default_config_static_selectorELNS0_4arch9wavefront6targetE0EEEvT1_,comdat
	.protected	_ZN7rocprim17ROCPRIM_400000_NS6detail17trampoline_kernelINS0_14default_configENS1_27scan_by_key_config_selectorIiiEEZZNS1_16scan_by_key_implILNS1_25lookback_scan_determinismE0ELb0ES3_PKiN6hipcub16HIPCUB_304000_NS21ConstantInputIteratorIilEEPiiNSB_3SumENSB_8EqualityEiEE10hipError_tPvRmT2_T3_T4_T5_mT6_T7_P12ihipStream_tbENKUlT_T0_E_clISt17integral_constantIbLb0EESW_IbLb1EEEEDaSS_ST_EUlSS_E_NS1_11comp_targetILNS1_3genE9ELNS1_11target_archE1100ELNS1_3gpuE3ELNS1_3repE0EEENS1_30default_config_static_selectorELNS0_4arch9wavefront6targetE0EEEvT1_ ; -- Begin function _ZN7rocprim17ROCPRIM_400000_NS6detail17trampoline_kernelINS0_14default_configENS1_27scan_by_key_config_selectorIiiEEZZNS1_16scan_by_key_implILNS1_25lookback_scan_determinismE0ELb0ES3_PKiN6hipcub16HIPCUB_304000_NS21ConstantInputIteratorIilEEPiiNSB_3SumENSB_8EqualityEiEE10hipError_tPvRmT2_T3_T4_T5_mT6_T7_P12ihipStream_tbENKUlT_T0_E_clISt17integral_constantIbLb0EESW_IbLb1EEEEDaSS_ST_EUlSS_E_NS1_11comp_targetILNS1_3genE9ELNS1_11target_archE1100ELNS1_3gpuE3ELNS1_3repE0EEENS1_30default_config_static_selectorELNS0_4arch9wavefront6targetE0EEEvT1_
	.globl	_ZN7rocprim17ROCPRIM_400000_NS6detail17trampoline_kernelINS0_14default_configENS1_27scan_by_key_config_selectorIiiEEZZNS1_16scan_by_key_implILNS1_25lookback_scan_determinismE0ELb0ES3_PKiN6hipcub16HIPCUB_304000_NS21ConstantInputIteratorIilEEPiiNSB_3SumENSB_8EqualityEiEE10hipError_tPvRmT2_T3_T4_T5_mT6_T7_P12ihipStream_tbENKUlT_T0_E_clISt17integral_constantIbLb0EESW_IbLb1EEEEDaSS_ST_EUlSS_E_NS1_11comp_targetILNS1_3genE9ELNS1_11target_archE1100ELNS1_3gpuE3ELNS1_3repE0EEENS1_30default_config_static_selectorELNS0_4arch9wavefront6targetE0EEEvT1_
	.p2align	8
	.type	_ZN7rocprim17ROCPRIM_400000_NS6detail17trampoline_kernelINS0_14default_configENS1_27scan_by_key_config_selectorIiiEEZZNS1_16scan_by_key_implILNS1_25lookback_scan_determinismE0ELb0ES3_PKiN6hipcub16HIPCUB_304000_NS21ConstantInputIteratorIilEEPiiNSB_3SumENSB_8EqualityEiEE10hipError_tPvRmT2_T3_T4_T5_mT6_T7_P12ihipStream_tbENKUlT_T0_E_clISt17integral_constantIbLb0EESW_IbLb1EEEEDaSS_ST_EUlSS_E_NS1_11comp_targetILNS1_3genE9ELNS1_11target_archE1100ELNS1_3gpuE3ELNS1_3repE0EEENS1_30default_config_static_selectorELNS0_4arch9wavefront6targetE0EEEvT1_,@function
_ZN7rocprim17ROCPRIM_400000_NS6detail17trampoline_kernelINS0_14default_configENS1_27scan_by_key_config_selectorIiiEEZZNS1_16scan_by_key_implILNS1_25lookback_scan_determinismE0ELb0ES3_PKiN6hipcub16HIPCUB_304000_NS21ConstantInputIteratorIilEEPiiNSB_3SumENSB_8EqualityEiEE10hipError_tPvRmT2_T3_T4_T5_mT6_T7_P12ihipStream_tbENKUlT_T0_E_clISt17integral_constantIbLb0EESW_IbLb1EEEEDaSS_ST_EUlSS_E_NS1_11comp_targetILNS1_3genE9ELNS1_11target_archE1100ELNS1_3gpuE3ELNS1_3repE0EEENS1_30default_config_static_selectorELNS0_4arch9wavefront6targetE0EEEvT1_: ; @_ZN7rocprim17ROCPRIM_400000_NS6detail17trampoline_kernelINS0_14default_configENS1_27scan_by_key_config_selectorIiiEEZZNS1_16scan_by_key_implILNS1_25lookback_scan_determinismE0ELb0ES3_PKiN6hipcub16HIPCUB_304000_NS21ConstantInputIteratorIilEEPiiNSB_3SumENSB_8EqualityEiEE10hipError_tPvRmT2_T3_T4_T5_mT6_T7_P12ihipStream_tbENKUlT_T0_E_clISt17integral_constantIbLb0EESW_IbLb1EEEEDaSS_ST_EUlSS_E_NS1_11comp_targetILNS1_3genE9ELNS1_11target_archE1100ELNS1_3gpuE3ELNS1_3repE0EEENS1_30default_config_static_selectorELNS0_4arch9wavefront6targetE0EEEvT1_
; %bb.0:
	.section	.rodata,"a",@progbits
	.p2align	6, 0x0
	.amdhsa_kernel _ZN7rocprim17ROCPRIM_400000_NS6detail17trampoline_kernelINS0_14default_configENS1_27scan_by_key_config_selectorIiiEEZZNS1_16scan_by_key_implILNS1_25lookback_scan_determinismE0ELb0ES3_PKiN6hipcub16HIPCUB_304000_NS21ConstantInputIteratorIilEEPiiNSB_3SumENSB_8EqualityEiEE10hipError_tPvRmT2_T3_T4_T5_mT6_T7_P12ihipStream_tbENKUlT_T0_E_clISt17integral_constantIbLb0EESW_IbLb1EEEEDaSS_ST_EUlSS_E_NS1_11comp_targetILNS1_3genE9ELNS1_11target_archE1100ELNS1_3gpuE3ELNS1_3repE0EEENS1_30default_config_static_selectorELNS0_4arch9wavefront6targetE0EEEvT1_
		.amdhsa_group_segment_fixed_size 0
		.amdhsa_private_segment_fixed_size 0
		.amdhsa_kernarg_size 120
		.amdhsa_user_sgpr_count 6
		.amdhsa_user_sgpr_private_segment_buffer 1
		.amdhsa_user_sgpr_dispatch_ptr 0
		.amdhsa_user_sgpr_queue_ptr 0
		.amdhsa_user_sgpr_kernarg_segment_ptr 1
		.amdhsa_user_sgpr_dispatch_id 0
		.amdhsa_user_sgpr_flat_scratch_init 0
		.amdhsa_user_sgpr_private_segment_size 0
		.amdhsa_wavefront_size32 1
		.amdhsa_uses_dynamic_stack 0
		.amdhsa_system_sgpr_private_segment_wavefront_offset 0
		.amdhsa_system_sgpr_workgroup_id_x 1
		.amdhsa_system_sgpr_workgroup_id_y 0
		.amdhsa_system_sgpr_workgroup_id_z 0
		.amdhsa_system_sgpr_workgroup_info 0
		.amdhsa_system_vgpr_workitem_id 0
		.amdhsa_next_free_vgpr 1
		.amdhsa_next_free_sgpr 1
		.amdhsa_reserve_vcc 0
		.amdhsa_reserve_flat_scratch 0
		.amdhsa_float_round_mode_32 0
		.amdhsa_float_round_mode_16_64 0
		.amdhsa_float_denorm_mode_32 3
		.amdhsa_float_denorm_mode_16_64 3
		.amdhsa_dx10_clamp 1
		.amdhsa_ieee_mode 1
		.amdhsa_fp16_overflow 0
		.amdhsa_workgroup_processor_mode 1
		.amdhsa_memory_ordered 1
		.amdhsa_forward_progress 1
		.amdhsa_shared_vgpr_count 0
		.amdhsa_exception_fp_ieee_invalid_op 0
		.amdhsa_exception_fp_denorm_src 0
		.amdhsa_exception_fp_ieee_div_zero 0
		.amdhsa_exception_fp_ieee_overflow 0
		.amdhsa_exception_fp_ieee_underflow 0
		.amdhsa_exception_fp_ieee_inexact 0
		.amdhsa_exception_int_div_zero 0
	.end_amdhsa_kernel
	.section	.text._ZN7rocprim17ROCPRIM_400000_NS6detail17trampoline_kernelINS0_14default_configENS1_27scan_by_key_config_selectorIiiEEZZNS1_16scan_by_key_implILNS1_25lookback_scan_determinismE0ELb0ES3_PKiN6hipcub16HIPCUB_304000_NS21ConstantInputIteratorIilEEPiiNSB_3SumENSB_8EqualityEiEE10hipError_tPvRmT2_T3_T4_T5_mT6_T7_P12ihipStream_tbENKUlT_T0_E_clISt17integral_constantIbLb0EESW_IbLb1EEEEDaSS_ST_EUlSS_E_NS1_11comp_targetILNS1_3genE9ELNS1_11target_archE1100ELNS1_3gpuE3ELNS1_3repE0EEENS1_30default_config_static_selectorELNS0_4arch9wavefront6targetE0EEEvT1_,"axG",@progbits,_ZN7rocprim17ROCPRIM_400000_NS6detail17trampoline_kernelINS0_14default_configENS1_27scan_by_key_config_selectorIiiEEZZNS1_16scan_by_key_implILNS1_25lookback_scan_determinismE0ELb0ES3_PKiN6hipcub16HIPCUB_304000_NS21ConstantInputIteratorIilEEPiiNSB_3SumENSB_8EqualityEiEE10hipError_tPvRmT2_T3_T4_T5_mT6_T7_P12ihipStream_tbENKUlT_T0_E_clISt17integral_constantIbLb0EESW_IbLb1EEEEDaSS_ST_EUlSS_E_NS1_11comp_targetILNS1_3genE9ELNS1_11target_archE1100ELNS1_3gpuE3ELNS1_3repE0EEENS1_30default_config_static_selectorELNS0_4arch9wavefront6targetE0EEEvT1_,comdat
.Lfunc_end50:
	.size	_ZN7rocprim17ROCPRIM_400000_NS6detail17trampoline_kernelINS0_14default_configENS1_27scan_by_key_config_selectorIiiEEZZNS1_16scan_by_key_implILNS1_25lookback_scan_determinismE0ELb0ES3_PKiN6hipcub16HIPCUB_304000_NS21ConstantInputIteratorIilEEPiiNSB_3SumENSB_8EqualityEiEE10hipError_tPvRmT2_T3_T4_T5_mT6_T7_P12ihipStream_tbENKUlT_T0_E_clISt17integral_constantIbLb0EESW_IbLb1EEEEDaSS_ST_EUlSS_E_NS1_11comp_targetILNS1_3genE9ELNS1_11target_archE1100ELNS1_3gpuE3ELNS1_3repE0EEENS1_30default_config_static_selectorELNS0_4arch9wavefront6targetE0EEEvT1_, .Lfunc_end50-_ZN7rocprim17ROCPRIM_400000_NS6detail17trampoline_kernelINS0_14default_configENS1_27scan_by_key_config_selectorIiiEEZZNS1_16scan_by_key_implILNS1_25lookback_scan_determinismE0ELb0ES3_PKiN6hipcub16HIPCUB_304000_NS21ConstantInputIteratorIilEEPiiNSB_3SumENSB_8EqualityEiEE10hipError_tPvRmT2_T3_T4_T5_mT6_T7_P12ihipStream_tbENKUlT_T0_E_clISt17integral_constantIbLb0EESW_IbLb1EEEEDaSS_ST_EUlSS_E_NS1_11comp_targetILNS1_3genE9ELNS1_11target_archE1100ELNS1_3gpuE3ELNS1_3repE0EEENS1_30default_config_static_selectorELNS0_4arch9wavefront6targetE0EEEvT1_
                                        ; -- End function
	.set _ZN7rocprim17ROCPRIM_400000_NS6detail17trampoline_kernelINS0_14default_configENS1_27scan_by_key_config_selectorIiiEEZZNS1_16scan_by_key_implILNS1_25lookback_scan_determinismE0ELb0ES3_PKiN6hipcub16HIPCUB_304000_NS21ConstantInputIteratorIilEEPiiNSB_3SumENSB_8EqualityEiEE10hipError_tPvRmT2_T3_T4_T5_mT6_T7_P12ihipStream_tbENKUlT_T0_E_clISt17integral_constantIbLb0EESW_IbLb1EEEEDaSS_ST_EUlSS_E_NS1_11comp_targetILNS1_3genE9ELNS1_11target_archE1100ELNS1_3gpuE3ELNS1_3repE0EEENS1_30default_config_static_selectorELNS0_4arch9wavefront6targetE0EEEvT1_.num_vgpr, 0
	.set _ZN7rocprim17ROCPRIM_400000_NS6detail17trampoline_kernelINS0_14default_configENS1_27scan_by_key_config_selectorIiiEEZZNS1_16scan_by_key_implILNS1_25lookback_scan_determinismE0ELb0ES3_PKiN6hipcub16HIPCUB_304000_NS21ConstantInputIteratorIilEEPiiNSB_3SumENSB_8EqualityEiEE10hipError_tPvRmT2_T3_T4_T5_mT6_T7_P12ihipStream_tbENKUlT_T0_E_clISt17integral_constantIbLb0EESW_IbLb1EEEEDaSS_ST_EUlSS_E_NS1_11comp_targetILNS1_3genE9ELNS1_11target_archE1100ELNS1_3gpuE3ELNS1_3repE0EEENS1_30default_config_static_selectorELNS0_4arch9wavefront6targetE0EEEvT1_.num_agpr, 0
	.set _ZN7rocprim17ROCPRIM_400000_NS6detail17trampoline_kernelINS0_14default_configENS1_27scan_by_key_config_selectorIiiEEZZNS1_16scan_by_key_implILNS1_25lookback_scan_determinismE0ELb0ES3_PKiN6hipcub16HIPCUB_304000_NS21ConstantInputIteratorIilEEPiiNSB_3SumENSB_8EqualityEiEE10hipError_tPvRmT2_T3_T4_T5_mT6_T7_P12ihipStream_tbENKUlT_T0_E_clISt17integral_constantIbLb0EESW_IbLb1EEEEDaSS_ST_EUlSS_E_NS1_11comp_targetILNS1_3genE9ELNS1_11target_archE1100ELNS1_3gpuE3ELNS1_3repE0EEENS1_30default_config_static_selectorELNS0_4arch9wavefront6targetE0EEEvT1_.numbered_sgpr, 0
	.set _ZN7rocprim17ROCPRIM_400000_NS6detail17trampoline_kernelINS0_14default_configENS1_27scan_by_key_config_selectorIiiEEZZNS1_16scan_by_key_implILNS1_25lookback_scan_determinismE0ELb0ES3_PKiN6hipcub16HIPCUB_304000_NS21ConstantInputIteratorIilEEPiiNSB_3SumENSB_8EqualityEiEE10hipError_tPvRmT2_T3_T4_T5_mT6_T7_P12ihipStream_tbENKUlT_T0_E_clISt17integral_constantIbLb0EESW_IbLb1EEEEDaSS_ST_EUlSS_E_NS1_11comp_targetILNS1_3genE9ELNS1_11target_archE1100ELNS1_3gpuE3ELNS1_3repE0EEENS1_30default_config_static_selectorELNS0_4arch9wavefront6targetE0EEEvT1_.num_named_barrier, 0
	.set _ZN7rocprim17ROCPRIM_400000_NS6detail17trampoline_kernelINS0_14default_configENS1_27scan_by_key_config_selectorIiiEEZZNS1_16scan_by_key_implILNS1_25lookback_scan_determinismE0ELb0ES3_PKiN6hipcub16HIPCUB_304000_NS21ConstantInputIteratorIilEEPiiNSB_3SumENSB_8EqualityEiEE10hipError_tPvRmT2_T3_T4_T5_mT6_T7_P12ihipStream_tbENKUlT_T0_E_clISt17integral_constantIbLb0EESW_IbLb1EEEEDaSS_ST_EUlSS_E_NS1_11comp_targetILNS1_3genE9ELNS1_11target_archE1100ELNS1_3gpuE3ELNS1_3repE0EEENS1_30default_config_static_selectorELNS0_4arch9wavefront6targetE0EEEvT1_.private_seg_size, 0
	.set _ZN7rocprim17ROCPRIM_400000_NS6detail17trampoline_kernelINS0_14default_configENS1_27scan_by_key_config_selectorIiiEEZZNS1_16scan_by_key_implILNS1_25lookback_scan_determinismE0ELb0ES3_PKiN6hipcub16HIPCUB_304000_NS21ConstantInputIteratorIilEEPiiNSB_3SumENSB_8EqualityEiEE10hipError_tPvRmT2_T3_T4_T5_mT6_T7_P12ihipStream_tbENKUlT_T0_E_clISt17integral_constantIbLb0EESW_IbLb1EEEEDaSS_ST_EUlSS_E_NS1_11comp_targetILNS1_3genE9ELNS1_11target_archE1100ELNS1_3gpuE3ELNS1_3repE0EEENS1_30default_config_static_selectorELNS0_4arch9wavefront6targetE0EEEvT1_.uses_vcc, 0
	.set _ZN7rocprim17ROCPRIM_400000_NS6detail17trampoline_kernelINS0_14default_configENS1_27scan_by_key_config_selectorIiiEEZZNS1_16scan_by_key_implILNS1_25lookback_scan_determinismE0ELb0ES3_PKiN6hipcub16HIPCUB_304000_NS21ConstantInputIteratorIilEEPiiNSB_3SumENSB_8EqualityEiEE10hipError_tPvRmT2_T3_T4_T5_mT6_T7_P12ihipStream_tbENKUlT_T0_E_clISt17integral_constantIbLb0EESW_IbLb1EEEEDaSS_ST_EUlSS_E_NS1_11comp_targetILNS1_3genE9ELNS1_11target_archE1100ELNS1_3gpuE3ELNS1_3repE0EEENS1_30default_config_static_selectorELNS0_4arch9wavefront6targetE0EEEvT1_.uses_flat_scratch, 0
	.set _ZN7rocprim17ROCPRIM_400000_NS6detail17trampoline_kernelINS0_14default_configENS1_27scan_by_key_config_selectorIiiEEZZNS1_16scan_by_key_implILNS1_25lookback_scan_determinismE0ELb0ES3_PKiN6hipcub16HIPCUB_304000_NS21ConstantInputIteratorIilEEPiiNSB_3SumENSB_8EqualityEiEE10hipError_tPvRmT2_T3_T4_T5_mT6_T7_P12ihipStream_tbENKUlT_T0_E_clISt17integral_constantIbLb0EESW_IbLb1EEEEDaSS_ST_EUlSS_E_NS1_11comp_targetILNS1_3genE9ELNS1_11target_archE1100ELNS1_3gpuE3ELNS1_3repE0EEENS1_30default_config_static_selectorELNS0_4arch9wavefront6targetE0EEEvT1_.has_dyn_sized_stack, 0
	.set _ZN7rocprim17ROCPRIM_400000_NS6detail17trampoline_kernelINS0_14default_configENS1_27scan_by_key_config_selectorIiiEEZZNS1_16scan_by_key_implILNS1_25lookback_scan_determinismE0ELb0ES3_PKiN6hipcub16HIPCUB_304000_NS21ConstantInputIteratorIilEEPiiNSB_3SumENSB_8EqualityEiEE10hipError_tPvRmT2_T3_T4_T5_mT6_T7_P12ihipStream_tbENKUlT_T0_E_clISt17integral_constantIbLb0EESW_IbLb1EEEEDaSS_ST_EUlSS_E_NS1_11comp_targetILNS1_3genE9ELNS1_11target_archE1100ELNS1_3gpuE3ELNS1_3repE0EEENS1_30default_config_static_selectorELNS0_4arch9wavefront6targetE0EEEvT1_.has_recursion, 0
	.set _ZN7rocprim17ROCPRIM_400000_NS6detail17trampoline_kernelINS0_14default_configENS1_27scan_by_key_config_selectorIiiEEZZNS1_16scan_by_key_implILNS1_25lookback_scan_determinismE0ELb0ES3_PKiN6hipcub16HIPCUB_304000_NS21ConstantInputIteratorIilEEPiiNSB_3SumENSB_8EqualityEiEE10hipError_tPvRmT2_T3_T4_T5_mT6_T7_P12ihipStream_tbENKUlT_T0_E_clISt17integral_constantIbLb0EESW_IbLb1EEEEDaSS_ST_EUlSS_E_NS1_11comp_targetILNS1_3genE9ELNS1_11target_archE1100ELNS1_3gpuE3ELNS1_3repE0EEENS1_30default_config_static_selectorELNS0_4arch9wavefront6targetE0EEEvT1_.has_indirect_call, 0
	.section	.AMDGPU.csdata,"",@progbits
; Kernel info:
; codeLenInByte = 0
; TotalNumSgprs: 0
; NumVgprs: 0
; ScratchSize: 0
; MemoryBound: 0
; FloatMode: 240
; IeeeMode: 1
; LDSByteSize: 0 bytes/workgroup (compile time only)
; SGPRBlocks: 0
; VGPRBlocks: 0
; NumSGPRsForWavesPerEU: 1
; NumVGPRsForWavesPerEU: 1
; Occupancy: 16
; WaveLimiterHint : 0
; COMPUTE_PGM_RSRC2:SCRATCH_EN: 0
; COMPUTE_PGM_RSRC2:USER_SGPR: 6
; COMPUTE_PGM_RSRC2:TRAP_HANDLER: 0
; COMPUTE_PGM_RSRC2:TGID_X_EN: 1
; COMPUTE_PGM_RSRC2:TGID_Y_EN: 0
; COMPUTE_PGM_RSRC2:TGID_Z_EN: 0
; COMPUTE_PGM_RSRC2:TIDIG_COMP_CNT: 0
	.section	.text._ZN7rocprim17ROCPRIM_400000_NS6detail17trampoline_kernelINS0_14default_configENS1_27scan_by_key_config_selectorIiiEEZZNS1_16scan_by_key_implILNS1_25lookback_scan_determinismE0ELb0ES3_PKiN6hipcub16HIPCUB_304000_NS21ConstantInputIteratorIilEEPiiNSB_3SumENSB_8EqualityEiEE10hipError_tPvRmT2_T3_T4_T5_mT6_T7_P12ihipStream_tbENKUlT_T0_E_clISt17integral_constantIbLb0EESW_IbLb1EEEEDaSS_ST_EUlSS_E_NS1_11comp_targetILNS1_3genE8ELNS1_11target_archE1030ELNS1_3gpuE2ELNS1_3repE0EEENS1_30default_config_static_selectorELNS0_4arch9wavefront6targetE0EEEvT1_,"axG",@progbits,_ZN7rocprim17ROCPRIM_400000_NS6detail17trampoline_kernelINS0_14default_configENS1_27scan_by_key_config_selectorIiiEEZZNS1_16scan_by_key_implILNS1_25lookback_scan_determinismE0ELb0ES3_PKiN6hipcub16HIPCUB_304000_NS21ConstantInputIteratorIilEEPiiNSB_3SumENSB_8EqualityEiEE10hipError_tPvRmT2_T3_T4_T5_mT6_T7_P12ihipStream_tbENKUlT_T0_E_clISt17integral_constantIbLb0EESW_IbLb1EEEEDaSS_ST_EUlSS_E_NS1_11comp_targetILNS1_3genE8ELNS1_11target_archE1030ELNS1_3gpuE2ELNS1_3repE0EEENS1_30default_config_static_selectorELNS0_4arch9wavefront6targetE0EEEvT1_,comdat
	.protected	_ZN7rocprim17ROCPRIM_400000_NS6detail17trampoline_kernelINS0_14default_configENS1_27scan_by_key_config_selectorIiiEEZZNS1_16scan_by_key_implILNS1_25lookback_scan_determinismE0ELb0ES3_PKiN6hipcub16HIPCUB_304000_NS21ConstantInputIteratorIilEEPiiNSB_3SumENSB_8EqualityEiEE10hipError_tPvRmT2_T3_T4_T5_mT6_T7_P12ihipStream_tbENKUlT_T0_E_clISt17integral_constantIbLb0EESW_IbLb1EEEEDaSS_ST_EUlSS_E_NS1_11comp_targetILNS1_3genE8ELNS1_11target_archE1030ELNS1_3gpuE2ELNS1_3repE0EEENS1_30default_config_static_selectorELNS0_4arch9wavefront6targetE0EEEvT1_ ; -- Begin function _ZN7rocprim17ROCPRIM_400000_NS6detail17trampoline_kernelINS0_14default_configENS1_27scan_by_key_config_selectorIiiEEZZNS1_16scan_by_key_implILNS1_25lookback_scan_determinismE0ELb0ES3_PKiN6hipcub16HIPCUB_304000_NS21ConstantInputIteratorIilEEPiiNSB_3SumENSB_8EqualityEiEE10hipError_tPvRmT2_T3_T4_T5_mT6_T7_P12ihipStream_tbENKUlT_T0_E_clISt17integral_constantIbLb0EESW_IbLb1EEEEDaSS_ST_EUlSS_E_NS1_11comp_targetILNS1_3genE8ELNS1_11target_archE1030ELNS1_3gpuE2ELNS1_3repE0EEENS1_30default_config_static_selectorELNS0_4arch9wavefront6targetE0EEEvT1_
	.globl	_ZN7rocprim17ROCPRIM_400000_NS6detail17trampoline_kernelINS0_14default_configENS1_27scan_by_key_config_selectorIiiEEZZNS1_16scan_by_key_implILNS1_25lookback_scan_determinismE0ELb0ES3_PKiN6hipcub16HIPCUB_304000_NS21ConstantInputIteratorIilEEPiiNSB_3SumENSB_8EqualityEiEE10hipError_tPvRmT2_T3_T4_T5_mT6_T7_P12ihipStream_tbENKUlT_T0_E_clISt17integral_constantIbLb0EESW_IbLb1EEEEDaSS_ST_EUlSS_E_NS1_11comp_targetILNS1_3genE8ELNS1_11target_archE1030ELNS1_3gpuE2ELNS1_3repE0EEENS1_30default_config_static_selectorELNS0_4arch9wavefront6targetE0EEEvT1_
	.p2align	8
	.type	_ZN7rocprim17ROCPRIM_400000_NS6detail17trampoline_kernelINS0_14default_configENS1_27scan_by_key_config_selectorIiiEEZZNS1_16scan_by_key_implILNS1_25lookback_scan_determinismE0ELb0ES3_PKiN6hipcub16HIPCUB_304000_NS21ConstantInputIteratorIilEEPiiNSB_3SumENSB_8EqualityEiEE10hipError_tPvRmT2_T3_T4_T5_mT6_T7_P12ihipStream_tbENKUlT_T0_E_clISt17integral_constantIbLb0EESW_IbLb1EEEEDaSS_ST_EUlSS_E_NS1_11comp_targetILNS1_3genE8ELNS1_11target_archE1030ELNS1_3gpuE2ELNS1_3repE0EEENS1_30default_config_static_selectorELNS0_4arch9wavefront6targetE0EEEvT1_,@function
_ZN7rocprim17ROCPRIM_400000_NS6detail17trampoline_kernelINS0_14default_configENS1_27scan_by_key_config_selectorIiiEEZZNS1_16scan_by_key_implILNS1_25lookback_scan_determinismE0ELb0ES3_PKiN6hipcub16HIPCUB_304000_NS21ConstantInputIteratorIilEEPiiNSB_3SumENSB_8EqualityEiEE10hipError_tPvRmT2_T3_T4_T5_mT6_T7_P12ihipStream_tbENKUlT_T0_E_clISt17integral_constantIbLb0EESW_IbLb1EEEEDaSS_ST_EUlSS_E_NS1_11comp_targetILNS1_3genE8ELNS1_11target_archE1030ELNS1_3gpuE2ELNS1_3repE0EEENS1_30default_config_static_selectorELNS0_4arch9wavefront6targetE0EEEvT1_: ; @_ZN7rocprim17ROCPRIM_400000_NS6detail17trampoline_kernelINS0_14default_configENS1_27scan_by_key_config_selectorIiiEEZZNS1_16scan_by_key_implILNS1_25lookback_scan_determinismE0ELb0ES3_PKiN6hipcub16HIPCUB_304000_NS21ConstantInputIteratorIilEEPiiNSB_3SumENSB_8EqualityEiEE10hipError_tPvRmT2_T3_T4_T5_mT6_T7_P12ihipStream_tbENKUlT_T0_E_clISt17integral_constantIbLb0EESW_IbLb1EEEEDaSS_ST_EUlSS_E_NS1_11comp_targetILNS1_3genE8ELNS1_11target_archE1030ELNS1_3gpuE2ELNS1_3repE0EEENS1_30default_config_static_selectorELNS0_4arch9wavefront6targetE0EEEvT1_
; %bb.0:
	s_clause 0x3
	s_load_dword s30, s[4:5], 0x10
	s_load_dwordx2 s[20:21], s[4:5], 0x20
	s_load_dwordx4 s[12:15], s[4:5], 0x30
	s_load_dwordx2 s[22:23], s[4:5], 0x40
	v_cmp_ne_u32_e64 s1, 0, v0
	v_cmp_eq_u32_e64 s0, 0, v0
	s_and_saveexec_b32 s2, s0
	s_cbranch_execz .LBB51_4
; %bb.1:
	s_mov_b32 s6, exec_lo
	s_mov_b32 s3, exec_lo
	v_mbcnt_lo_u32_b32 v1, s6, 0
                                        ; implicit-def: $vgpr2
	v_cmpx_eq_u32_e32 0, v1
	s_cbranch_execz .LBB51_3
; %bb.2:
	s_load_dwordx2 s[8:9], s[4:5], 0x70
	s_bcnt1_i32_b32 s6, s6
	v_mov_b32_e32 v2, 0
	v_mov_b32_e32 v3, s6
	s_waitcnt lgkmcnt(0)
	global_atomic_add v2, v2, v3, s[8:9] glc
.LBB51_3:
	s_or_b32 exec_lo, exec_lo, s3
	s_waitcnt vmcnt(0)
	v_readfirstlane_b32 s3, v2
	v_mov_b32_e32 v2, 0
	v_add_nc_u32_e32 v1, s3, v1
	ds_write_b32 v2, v1
.LBB51_4:
	s_or_b32 exec_lo, exec_lo, s2
	v_mov_b32_e32 v1, 0
	s_clause 0x2
	s_load_dwordx4 s[16:19], s[4:5], 0x0
	s_load_dword s2, s[4:5], 0x48
	s_load_dwordx8 s[4:11], s[4:5], 0x50
	s_waitcnt lgkmcnt(0)
	s_barrier
	buffer_gl0_inv
	ds_read_b32 v2, v1
	s_mov_b32 s27, 0
	s_waitcnt lgkmcnt(0)
	s_barrier
	buffer_gl0_inv
	s_barrier
	buffer_gl0_inv
	s_lshl_b64 s[18:19], s[18:19], 2
	s_mul_i32 s3, s23, s2
	s_mul_hi_u32 s15, s22, s2
	s_mul_i32 s2, s22, s2
	s_add_i32 s15, s15, s3
	s_add_u32 s3, s16, s18
	v_readfirstlane_b32 s29, v2
	s_addc_u32 s17, s17, s19
	s_cmp_lg_u64 s[8:9], 0
	s_cselect_b32 s31, -1, 0
	s_mul_i32 s26, s29, 0x300
	s_lshl_b64 s[8:9], s[26:27], 2
	s_add_u32 s16, s3, s8
	s_addc_u32 s17, s17, s9
	s_add_u32 s24, s2, s29
	s_addc_u32 s25, s15, 0
	s_add_u32 s2, s4, -1
	s_addc_u32 s3, s5, -1
	s_mul_i32 s28, s2, 0xfffffd00
	v_cmp_ge_u64_e64 s15, s[24:25], s[2:3]
	s_and_b32 vcc_lo, exec_lo, s15
	s_cbranch_vccz .LBB51_14
; %bb.5:
	global_load_dword v1, v1, s[16:17]
	s_add_i32 s5, s28, s14
	v_cmp_gt_u32_e64 s2, s5, v0
	s_waitcnt vmcnt(0)
	v_mov_b32_e32 v2, v1
	s_and_saveexec_b32 s3, s2
	s_cbranch_execz .LBB51_7
; %bb.6:
	v_lshlrev_b32_e32 v2, 2, v0
	global_load_dword v2, v2, s[16:17]
.LBB51_7:
	s_or_b32 exec_lo, exec_lo, s3
	v_or_b32_e32 v3, 0x100, v0
	v_cmp_gt_u32_e64 s3, s5, v3
	v_mov_b32_e32 v3, v1
	s_and_saveexec_b32 s4, s3
	s_cbranch_execz .LBB51_9
; %bb.8:
	v_lshlrev_b32_e32 v3, 2, v0
	global_load_dword v3, v3, s[16:17] offset:1024
.LBB51_9:
	s_or_b32 exec_lo, exec_lo, s4
	v_or_b32_e32 v4, 0x200, v0
	v_cmp_gt_u32_e64 s4, s5, v4
	s_and_saveexec_b32 s26, s4
	s_cbranch_execz .LBB51_11
; %bb.10:
	v_lshlrev_b32_e32 v1, 2, v4
	global_load_dword v1, v1, s[16:17]
.LBB51_11:
	s_or_b32 exec_lo, exec_lo, s26
	v_lshlrev_b32_e32 v4, 2, v0
	v_lshlrev_b32_e32 v6, 3, v0
	s_cmp_eq_u64 s[24:25], 0
	s_mov_b64 s[26:27], s[16:17]
	s_waitcnt vmcnt(0)
	ds_write2st64_b32 v4, v2, v3 offset1:4
	v_add_nc_u32_e32 v3, v4, v6
	ds_write_b32 v4, v1 offset:2048
	s_waitcnt lgkmcnt(0)
	s_barrier
	buffer_gl0_inv
	ds_read2_b32 v[1:2], v3 offset1:1
	ds_read_b32 v5, v3 offset:8
	s_cbranch_scc1 .LBB51_17
; %bb.12:
	s_add_u32 s26, s16, -4
	s_addc_u32 s27, s17, -1
	s_andn2_b32 vcc_lo, exec_lo, s31
	s_cbranch_vccnz .LBB51_15
; %bb.13:
	s_lshl_b64 s[26:27], s[24:25], 2
	s_mov_b32 s33, 0
	s_add_u32 s26, s10, s26
	s_addc_u32 s27, s11, s27
	s_add_u32 s26, s26, -4
	s_addc_u32 s27, s27, -1
	s_branch .LBB51_16
.LBB51_14:
                                        ; implicit-def: $sgpr3
                                        ; implicit-def: $vgpr4
                                        ; implicit-def: $vgpr9_vgpr10
                                        ; implicit-def: $vgpr11_vgpr12
	v_lshlrev_b32_e32 v18, 2, v0
	v_lshlrev_b32_e32 v19, 3, v0
	s_cbranch_execnz .LBB51_24
	s_branch .LBB51_32
.LBB51_15:
	s_mov_b32 s33, -1
.LBB51_16:
	s_andn2_b32 vcc_lo, exec_lo, s33
.LBB51_17:
	v_mov_b32_e32 v7, 0
	v_sub_nc_u32_e32 v8, v3, v6
	global_load_dword v7, v7, s[26:27]
	s_mov_b32 s27, 0
	s_waitcnt lgkmcnt(0)
	ds_write_b32 v8, v5 offset:3072
	s_waitcnt vmcnt(0) lgkmcnt(0)
	s_barrier
	buffer_gl0_inv
	s_and_saveexec_b32 s26, s1
; %bb.18:
	v_sub_nc_u32_e32 v6, 0, v6
	v_add_nc_u32_e32 v6, v3, v6
	ds_read_b32 v7, v6 offset:3068
; %bb.19:
	s_or_b32 exec_lo, exec_lo, s26
	v_cndmask_b32_e64 v8, 0, s30, s2
	v_cndmask_b32_e64 v9, 0, s30, s3
	s_waitcnt lgkmcnt(0)
	s_barrier
	buffer_gl0_inv
	v_mov_b32_e32 v11, 0
	ds_write2st64_b32 v4, v8, v9 offset1:4
	v_mov_b32_e32 v9, 0
	v_mul_u32_u24_e32 v6, 3, v0
	v_cndmask_b32_e64 v13, 0, s30, s4
	v_mov_b32_e32 v10, 0
	v_mov_b32_e32 v12, 0
	s_mov_b32 s4, exec_lo
                                        ; implicit-def: $sgpr3
	ds_write_b32 v4, v13 offset:2048
	s_waitcnt lgkmcnt(0)
	s_barrier
	buffer_gl0_inv
                                        ; implicit-def: $vgpr4
	v_cmpx_gt_u32_e64 s5, v6
	s_cbranch_execz .LBB51_23
; %bb.20:
	ds_read_b32 v9, v3
	v_add_nc_u32_e32 v4, 1, v6
	v_cmp_ne_u32_e32 vcc_lo, v7, v1
	v_mov_b32_e32 v11, 0
	v_mov_b32_e32 v12, 0
	s_mov_b32 s2, 0
                                        ; implicit-def: $sgpr3
	v_cndmask_b32_e64 v10, 0, 1, vcc_lo
	v_cmp_gt_u32_e32 vcc_lo, s5, v4
                                        ; implicit-def: $vgpr4
	s_and_saveexec_b32 s26, vcc_lo
	s_xor_b32 s26, exec_lo, s26
	s_cbranch_execz .LBB51_22
; %bb.21:
	ds_read2_b32 v[3:4], v3 offset0:1 offset1:2
	v_add_nc_u32_e32 v6, 2, v6
	v_cmp_ne_u32_e64 s2, v1, v2
	v_cmp_ne_u32_e64 s3, v2, v5
	v_cmp_gt_u32_e32 vcc_lo, s5, v6
	v_cndmask_b32_e64 v12, 0, 1, s2
	s_and_b32 s2, vcc_lo, exec_lo
	s_waitcnt lgkmcnt(0)
	v_mov_b32_e32 v11, v3
.LBB51_22:
	s_or_b32 exec_lo, exec_lo, s26
	s_and_b32 s27, s2, exec_lo
.LBB51_23:
	s_or_b32 exec_lo, exec_lo, s4
	v_lshlrev_b32_e32 v18, 2, v0
	v_lshlrev_b32_e32 v19, 3, v0
	s_branch .LBB51_32
.LBB51_24:
	v_add_co_u32 v1, s2, s16, v18
	v_add_co_ci_u32_e64 v2, null, s17, 0, s2
	v_add_nc_u32_e32 v3, v18, v19
	v_add_co_u32 v1, vcc_lo, 0x800, v1
	v_add_co_ci_u32_e64 v2, null, 0, v2, vcc_lo
	s_cmp_eq_u64 s[24:25], 0
	s_clause 0x2
	global_load_dword v4, v18, s[16:17]
	global_load_dword v5, v18, s[16:17] offset:1024
	global_load_dword v1, v[1:2], off
	s_waitcnt vmcnt(1)
	ds_write2st64_b32 v18, v4, v5 offset1:4
	s_waitcnt vmcnt(0)
	ds_write_b32 v18, v1 offset:2048
	s_waitcnt lgkmcnt(0)
	s_barrier
	buffer_gl0_inv
	ds_read2_b32 v[1:2], v3 offset1:1
	ds_read_b32 v5, v3 offset:8
	v_mov_b32_e32 v4, 0
	s_cbranch_scc1 .LBB51_29
; %bb.25:
	s_add_u32 s16, s16, -4
	s_addc_u32 s17, s17, -1
	s_andn2_b32 vcc_lo, exec_lo, s31
	s_cbranch_vccnz .LBB51_27
; %bb.26:
	s_lshl_b64 s[2:3], s[24:25], 2
	s_add_u32 s2, s10, s2
	s_addc_u32 s3, s11, s3
	s_add_u32 s16, s2, -4
	s_addc_u32 s17, s3, -1
	s_mov_b32 s2, 0
	s_branch .LBB51_28
.LBB51_27:
	s_mov_b32 s2, -1
.LBB51_28:
	s_andn2_b32 vcc_lo, exec_lo, s2
.LBB51_29:
	global_load_dword v6, v4, s[16:17]
	v_sub_nc_u32_e32 v4, v3, v19
	s_waitcnt lgkmcnt(0)
	ds_write_b32 v4, v5 offset:3072
	s_waitcnt vmcnt(0) lgkmcnt(0)
	s_barrier
	buffer_gl0_inv
	s_and_saveexec_b32 s2, s1
; %bb.30:
	v_sub_nc_u32_e32 v4, 0, v19
	v_add_nc_u32_e32 v4, v3, v4
	ds_read_b32 v6, v4 offset:3068
; %bb.31:
	s_or_b32 exec_lo, exec_lo, s2
	v_mov_b32_e32 v4, s30
	s_waitcnt lgkmcnt(0)
	s_barrier
	buffer_gl0_inv
	v_cmp_ne_u32_e32 vcc_lo, v6, v1
	ds_write2st64_b32 v18, v4, v4 offset1:4
	ds_write_b32 v18, v4 offset:2048
	s_waitcnt lgkmcnt(0)
	s_barrier
	buffer_gl0_inv
	ds_read2_b32 v[7:8], v3 offset1:1
	ds_read_b32 v4, v3 offset:8
	v_cndmask_b32_e64 v10, 0, 1, vcc_lo
	v_cmp_ne_u32_e32 vcc_lo, v1, v2
	v_cmp_ne_u32_e64 s3, v2, v5
	s_mov_b32 s27, -1
	v_cndmask_b32_e64 v12, 0, 1, vcc_lo
	s_waitcnt lgkmcnt(1)
	v_mov_b32_e32 v9, v7
	v_mov_b32_e32 v11, v8
.LBB51_32:
	v_mov_b32_e32 v13, 0
	v_mov_b32_e32 v14, 0
	s_and_saveexec_b32 s2, s27
	s_cbranch_execz .LBB51_34
; %bb.33:
	v_cndmask_b32_e64 v14, 0, 1, s3
	s_waitcnt lgkmcnt(0)
	v_mov_b32_e32 v13, v4
.LBB51_34:
	s_or_b32 exec_lo, exec_lo, s2
	v_or_b32_e32 v23, v12, v14
	v_mbcnt_lo_u32_b32 v20, -1, 0
	v_lshrrev_b32_e32 v21, 5, v0
	v_or_b32_e32 v22, 31, v0
	s_cmp_lg_u32 s29, 0
	s_mov_b32 s4, 0
	s_waitcnt lgkmcnt(0)
	s_barrier
	buffer_gl0_inv
	s_cbranch_scc0 .LBB51_60
; %bb.35:
	v_and_b32_e32 v2, 0xff, v23
	v_mov_b32_e32 v1, 0
	s_mov_b32 s5, 1
	v_and_b32_e32 v8, 15, v20
	v_cmp_gt_u64_e64 s2, s[4:5], v[11:12]
	v_cmp_gt_u64_e64 s3, s[4:5], v[13:14]
	v_cmp_eq_u64_e32 vcc_lo, 0, v[1:2]
	v_cndmask_b32_e64 v3, 0, v9, s2
	v_cndmask_b32_e32 v2, 1, v10, vcc_lo
	v_add_nc_u32_e32 v3, v3, v11
	v_and_b32_e32 v4, 0xff, v2
	v_and_b32_e32 v6, 1, v2
	v_cndmask_b32_e64 v3, 0, v3, s3
	v_mov_b32_dpp v5, v4 row_shr:1 row_mask:0xf bank_mask:0xf
	v_cmp_eq_u32_e32 vcc_lo, 1, v6
	v_add_nc_u32_e32 v3, v3, v13
	v_and_b32_e32 v5, 1, v5
	v_mov_b32_dpp v7, v3 row_shr:1 row_mask:0xf bank_mask:0xf
	v_cndmask_b32_e64 v5, v5, 1, vcc_lo
	v_cmp_eq_u16_e32 vcc_lo, 0, v4
	v_cndmask_b32_e32 v6, 0, v7, vcc_lo
	v_cmp_eq_u32_e32 vcc_lo, 0, v8
	v_cndmask_b32_e32 v4, v5, v4, vcc_lo
	v_cndmask_b32_e32 v2, v5, v2, vcc_lo
	v_cndmask_b32_e64 v6, v6, 0, vcc_lo
	v_mov_b32_dpp v5, v4 row_shr:2 row_mask:0xf bank_mask:0xf
	v_and_b32_e32 v7, 1, v2
	v_add_nc_u32_e32 v3, v6, v3
	v_cmp_eq_u16_sdwa s4, v2, v1 src0_sel:BYTE_0 src1_sel:DWORD
	v_and_b32_e32 v5, 1, v5
	v_cmp_eq_u32_e32 vcc_lo, 1, v7
	v_cndmask_b32_e64 v5, v5, 1, vcc_lo
	v_cmp_lt_u32_e32 vcc_lo, 1, v8
	v_cndmask_b32_e32 v7, v2, v5, vcc_lo
	v_cndmask_b32_e32 v4, v4, v5, vcc_lo
	v_mov_b32_dpp v2, v3 row_shr:2 row_mask:0xf bank_mask:0xf
	s_and_b32 vcc_lo, vcc_lo, s4
	v_and_b32_e32 v6, 1, v7
	v_mov_b32_dpp v5, v4 row_shr:4 row_mask:0xf bank_mask:0xf
	v_cndmask_b32_e32 v2, 0, v2, vcc_lo
	v_cmp_eq_u16_sdwa s4, v7, v1 src0_sel:BYTE_0 src1_sel:DWORD
	v_cmp_eq_u32_e32 vcc_lo, 1, v6
	v_and_b32_e32 v5, 1, v5
	v_add_nc_u32_e32 v2, v2, v3
	v_cndmask_b32_e64 v5, v5, 1, vcc_lo
	v_cmp_lt_u32_e32 vcc_lo, 3, v8
	v_cndmask_b32_e32 v3, v7, v5, vcc_lo
	v_cndmask_b32_e32 v4, v4, v5, vcc_lo
	v_mov_b32_dpp v5, v2 row_shr:4 row_mask:0xf bank_mask:0xf
	s_and_b32 vcc_lo, vcc_lo, s4
	v_and_b32_e32 v7, 1, v3
	v_mov_b32_dpp v6, v4 row_shr:8 row_mask:0xf bank_mask:0xf
	v_cndmask_b32_e32 v5, 0, v5, vcc_lo
	v_cmp_eq_u16_sdwa s4, v3, v1 src0_sel:BYTE_0 src1_sel:DWORD
	v_cmp_eq_u32_e32 vcc_lo, 1, v7
	v_and_b32_e32 v6, 1, v6
	v_add_nc_u32_e32 v2, v5, v2
	v_bfe_i32 v7, v20, 4, 1
	v_cndmask_b32_e64 v5, v6, 1, vcc_lo
	v_cmp_lt_u32_e32 vcc_lo, 7, v8
	v_mov_b32_dpp v6, v2 row_shr:8 row_mask:0xf bank_mask:0xf
	s_and_b32 s4, vcc_lo, s4
	v_cndmask_b32_e32 v4, v4, v5, vcc_lo
	v_cndmask_b32_e64 v6, 0, v6, s4
	v_cndmask_b32_e32 v3, v3, v5, vcc_lo
	ds_swizzle_b32 v5, v4 offset:swizzle(BROADCAST,32,15)
	v_add_nc_u32_e32 v2, v6, v2
	v_and_b32_e32 v8, 1, v3
	v_cmp_eq_u16_sdwa vcc_lo, v3, v1 src0_sel:BYTE_0 src1_sel:DWORD
	v_and_b32_e32 v3, 16, v20
	ds_swizzle_b32 v6, v2 offset:swizzle(BROADCAST,32,15)
	v_cmp_eq_u32_e64 s4, 0, v3
	s_waitcnt lgkmcnt(1)
	v_and_b32_e32 v5, 1, v5
	s_waitcnt lgkmcnt(0)
	v_cndmask_b32_e32 v1, 0, v6, vcc_lo
	v_cmp_eq_u32_e32 vcc_lo, 1, v8
	v_and_b32_e32 v1, v7, v1
	v_cndmask_b32_e64 v5, v5, 1, vcc_lo
	v_add_nc_u32_e32 v3, v1, v2
	v_cndmask_b32_e64 v4, v5, v4, s4
	v_lshlrev_b32_e32 v5, 3, v21
	s_mov_b32 s4, exec_lo
	v_cmpx_eq_u32_e64 v0, v22
	s_cbranch_execz .LBB51_37
; %bb.36:
	ds_write_b32 v5, v3
	ds_write_b8 v5, v4 offset:4
.LBB51_37:
	s_or_b32 exec_lo, exec_lo, s4
	s_mov_b32 s4, exec_lo
	s_waitcnt lgkmcnt(0)
	s_barrier
	buffer_gl0_inv
	v_cmpx_gt_u32_e32 8, v0
	s_cbranch_execz .LBB51_43
; %bb.38:
	ds_read_b64 v[1:2], v19
	v_and_b32_e32 v6, 7, v20
	s_mov_b32 s5, exec_lo
	s_waitcnt lgkmcnt(0)
	v_and_b32_e32 v7, 0xffffff00, v2
	v_mov_b32_dpp v15, v1 row_shr:1 row_mask:0xf bank_mask:0xf
	v_mov_b32_dpp v16, v2 row_shr:1 row_mask:0xf bank_mask:0xf
	v_mov_b32_e32 v8, v2
	v_cmpx_ne_u32_e32 0, v6
	s_cbranch_execz .LBB51_40
; %bb.39:
	v_mov_b32_e32 v8, 0
	v_and_b32_e32 v17, 1, v2
	v_and_b32_e32 v16, 1, v16
	v_cmp_eq_u16_sdwa vcc_lo, v2, v8 src0_sel:BYTE_0 src1_sel:DWORD
	v_cndmask_b32_e32 v2, 0, v15, vcc_lo
	v_cmp_eq_u32_e32 vcc_lo, 1, v17
	v_add_nc_u32_e32 v1, v2, v1
	v_cndmask_b32_e64 v15, v16, 1, vcc_lo
	v_or_b32_sdwa v8, v7, v15 dst_sel:DWORD dst_unused:UNUSED_PAD src0_sel:DWORD src1_sel:WORD_0
	v_mov_b32_e32 v2, v15
.LBB51_40:
	s_or_b32 exec_lo, exec_lo, s5
	v_mov_b32_dpp v15, v1 row_shr:2 row_mask:0xf bank_mask:0xf
	v_mov_b32_dpp v16, v8 row_shr:2 row_mask:0xf bank_mask:0xf
	s_mov_b32 s5, exec_lo
	v_cmpx_lt_u32_e32 1, v6
	s_cbranch_execz .LBB51_42
; %bb.41:
	v_mov_b32_e32 v8, 0
	v_and_b32_e32 v17, 1, v2
	v_and_b32_e32 v16, 1, v16
	v_cmp_eq_u16_sdwa vcc_lo, v2, v8 src0_sel:BYTE_0 src1_sel:DWORD
	v_cndmask_b32_e32 v2, 0, v15, vcc_lo
	v_cmp_eq_u32_e32 vcc_lo, 1, v17
	v_add_nc_u32_e32 v1, v2, v1
	v_cndmask_b32_e64 v15, v16, 1, vcc_lo
	v_or_b32_sdwa v8, v7, v15 dst_sel:DWORD dst_unused:UNUSED_PAD src0_sel:DWORD src1_sel:WORD_0
	v_mov_b32_e32 v2, v15
.LBB51_42:
	s_or_b32 exec_lo, exec_lo, s5
	v_mov_b32_dpp v7, v8 row_shr:4 row_mask:0xf bank_mask:0xf
	v_and_b32_e32 v15, 1, v2
	v_mov_b32_e32 v8, 0
	v_and_b32_e32 v7, 1, v7
	v_cmp_eq_u32_e32 vcc_lo, 1, v15
	v_cmp_eq_u16_sdwa s5, v2, v8 src0_sel:BYTE_0 src1_sel:DWORD
	v_cndmask_b32_e64 v7, v7, 1, vcc_lo
	v_cmp_lt_u32_e32 vcc_lo, 3, v6
	v_mov_b32_dpp v6, v1 row_shr:4 row_mask:0xf bank_mask:0xf
	v_cndmask_b32_e32 v2, v2, v7, vcc_lo
	s_and_b32 vcc_lo, vcc_lo, s5
	v_cndmask_b32_e32 v6, 0, v6, vcc_lo
	v_add_nc_u32_e32 v1, v6, v1
	ds_write_b32 v19, v1
	ds_write_b8 v19, v2 offset:4
.LBB51_43:
	s_or_b32 exec_lo, exec_lo, s4
	v_mov_b32_e32 v24, 0
	v_mov_b32_e32 v25, 0
	s_mov_b32 s5, exec_lo
	v_cmp_gt_u32_e32 vcc_lo, 32, v0
	s_waitcnt lgkmcnt(0)
	s_barrier
	buffer_gl0_inv
	v_cmpx_lt_u32_e32 31, v0
	s_cbranch_execz .LBB51_45
; %bb.44:
	v_add_nc_u32_e32 v1, -8, v5
	v_cmp_eq_u32_e64 s4, 0, v4
	v_and_b32_e32 v2, 1, v4
	ds_read_b32 v24, v1
	v_add_nc_u32_e32 v1, -4, v5
	ds_read_u8 v25, v1
	s_waitcnt lgkmcnt(1)
	v_cndmask_b32_e64 v1, 0, v24, s4
	v_cmp_eq_u32_e64 s4, 1, v2
	v_add_nc_u32_e32 v3, v1, v3
	s_waitcnt lgkmcnt(0)
	v_cndmask_b32_e64 v4, v25, 1, s4
.LBB51_45:
	s_or_b32 exec_lo, exec_lo, s5
	v_sub_co_u32 v1, s4, v20, 1
	v_cmp_gt_i32_e64 s5, 0, v1
	v_cndmask_b32_e64 v1, v1, v20, s5
	v_lshlrev_b32_e32 v1, 2, v1
	ds_bpermute_b32 v26, v1, v3
	ds_bpermute_b32 v27, v1, v4
	s_and_saveexec_b32 s16, vcc_lo
	s_cbranch_execz .LBB51_65
; %bb.46:
	v_mov_b32_e32 v4, 0
	ds_read_b64 v[1:2], v4 offset:56
	s_and_saveexec_b32 s5, s4
	s_cbranch_execz .LBB51_48
; %bb.47:
	s_add_i32 s10, s29, 32
	s_mov_b32 s11, 0
	v_mov_b32_e32 v3, 1
	s_lshl_b64 s[10:11], s[10:11], 4
	s_add_u32 s10, s12, s10
	s_addc_u32 s11, s13, s11
	v_mov_b32_e32 v5, s10
	v_mov_b32_e32 v6, s11
	s_waitcnt lgkmcnt(0)
	;;#ASMSTART
	global_store_dwordx4 v[5:6], v[1:4] off	
s_waitcnt vmcnt(0)
	;;#ASMEND
.LBB51_48:
	s_or_b32 exec_lo, exec_lo, s5
	v_xad_u32 v15, v20, -1, s29
	s_mov_b32 s10, 0
	v_add_nc_u32_e32 v3, 32, v15
	v_lshlrev_b64 v[5:6], 4, v[3:4]
	v_add_co_u32 v16, vcc_lo, s12, v5
	v_add_co_ci_u32_e64 v17, null, s13, v6, vcc_lo
	;;#ASMSTART
	global_load_dwordx4 v[5:8], v[16:17] off glc dlc	
s_waitcnt vmcnt(0)
	;;#ASMEND
	v_and_b32_e32 v6, 0xff, v6
	v_cmp_eq_u16_sdwa s11, v7, v4 src0_sel:BYTE_0 src1_sel:DWORD
	s_and_saveexec_b32 s5, s11
	s_cbranch_execz .LBB51_52
; %bb.49:
	v_mov_b32_e32 v3, 0
.LBB51_50:                              ; =>This Inner Loop Header: Depth=1
	;;#ASMSTART
	global_load_dwordx4 v[5:8], v[16:17] off glc dlc	
s_waitcnt vmcnt(0)
	;;#ASMEND
	v_cmp_ne_u16_sdwa s11, v7, v3 src0_sel:BYTE_0 src1_sel:DWORD
	s_or_b32 s10, s11, s10
	s_andn2_b32 exec_lo, exec_lo, s10
	s_cbranch_execnz .LBB51_50
; %bb.51:
	s_or_b32 exec_lo, exec_lo, s10
	v_and_b32_e32 v6, 0xff, v6
.LBB51_52:
	s_or_b32 exec_lo, exec_lo, s5
	v_cmp_ne_u32_e32 vcc_lo, 31, v20
	v_mov_b32_e32 v28, 2
	v_lshlrev_b32_e64 v29, v20, -1
	v_and_b32_e32 v8, 1, v6
	s_mov_b32 s10, 0
	v_add_co_ci_u32_e64 v3, null, 0, v20, vcc_lo
	v_cmp_eq_u16_sdwa s5, v7, v28 src0_sel:BYTE_0 src1_sel:DWORD
	v_cmp_eq_u32_e32 vcc_lo, 1, v8
	s_mov_b32 s11, 1
	v_lshlrev_b32_e32 v17, 2, v3
	v_add_nc_u32_e32 v37, 8, v20
	v_and_or_b32 v4, s5, v29, 0x80000000
	v_cmp_gt_u64_e64 s5, s[10:11], v[5:6]
	v_lshl_or_b32 v38, v20, 2, 64
	ds_bpermute_b32 v3, v17, v6
	ds_bpermute_b32 v16, v17, v5
	v_ffbl_b32_e32 v4, v4
	v_add_nc_u32_e32 v39, 16, v20
	s_waitcnt lgkmcnt(1)
	v_and_b32_e32 v3, 1, v3
	v_cndmask_b32_e64 v3, v3, 1, vcc_lo
	v_cmp_gt_u32_e32 vcc_lo, 30, v20
	v_and_b32_e32 v31, 0xffff, v3
	v_cndmask_b32_e64 v8, 0, 2, vcc_lo
	v_cmp_lt_u32_e32 vcc_lo, v20, v4
	v_add_lshl_u32 v30, v8, v20, 2
	v_cndmask_b32_e32 v8, v6, v31, vcc_lo
	v_cndmask_b32_e32 v3, v6, v3, vcc_lo
	s_and_b32 vcc_lo, vcc_lo, s5
	s_waitcnt lgkmcnt(0)
	v_cndmask_b32_e32 v6, 0, v16, vcc_lo
	ds_bpermute_b32 v31, v30, v8
	v_and_b32_e32 v16, 1, v3
	v_add_nc_u32_e32 v5, v6, v5
	v_cmp_eq_u32_e32 vcc_lo, 1, v16
	v_mov_b32_e32 v16, 0
	ds_bpermute_b32 v6, v30, v5
	v_cmp_eq_u16_sdwa s5, v3, v16 src0_sel:BYTE_0 src1_sel:DWORD
	s_waitcnt lgkmcnt(1)
	v_and_b32_e32 v32, 1, v31
	v_add_nc_u32_e32 v31, 2, v20
	v_cndmask_b32_e64 v33, v32, 1, vcc_lo
	v_cmp_gt_u32_e32 vcc_lo, 28, v20
	v_and_b32_e32 v34, 0xffff, v33
	v_cndmask_b32_e64 v32, 0, 4, vcc_lo
	v_cmp_gt_u32_e32 vcc_lo, v31, v4
	v_add_lshl_u32 v32, v32, v20, 2
	v_cndmask_b32_e32 v8, v34, v8, vcc_lo
	v_cndmask_b32_e32 v35, v33, v3, vcc_lo
	s_waitcnt lgkmcnt(0)
	v_cndmask_b32_e64 v3, 0, v6, s5
	v_add_nc_u32_e32 v33, 4, v20
	ds_bpermute_b32 v6, v32, v8
	v_and_b32_e32 v34, 1, v35
	v_cndmask_b32_e64 v3, v3, 0, vcc_lo
	v_cmp_eq_u16_sdwa s5, v35, v16 src0_sel:BYTE_0 src1_sel:DWORD
	v_cmp_eq_u32_e32 vcc_lo, 1, v34
	v_add_nc_u32_e32 v3, v3, v5
	ds_bpermute_b32 v5, v32, v3
	s_waitcnt lgkmcnt(1)
	v_and_b32_e32 v6, 1, v6
	v_cndmask_b32_e64 v6, v6, 1, vcc_lo
	v_cmp_gt_u32_e32 vcc_lo, 24, v20
	v_and_b32_e32 v36, 0xffff, v6
	v_cndmask_b32_e64 v34, 0, 8, vcc_lo
	v_cmp_gt_u32_e32 vcc_lo, v33, v4
	s_waitcnt lgkmcnt(0)
	v_cndmask_b32_e64 v5, 0, v5, s5
	v_add_lshl_u32 v34, v34, v20, 2
	v_cndmask_b32_e32 v8, v36, v8, vcc_lo
	v_cndmask_b32_e32 v6, v6, v35, vcc_lo
	v_cndmask_b32_e64 v5, v5, 0, vcc_lo
	ds_bpermute_b32 v35, v34, v8
	v_and_b32_e32 v36, 1, v6
	v_add_nc_u32_e32 v3, v5, v3
	v_cmp_eq_u32_e32 vcc_lo, 1, v36
	ds_bpermute_b32 v5, v34, v3
	s_waitcnt lgkmcnt(1)
	v_and_b32_e32 v35, 1, v35
	v_cndmask_b32_e64 v35, v35, 1, vcc_lo
	v_cmp_eq_u16_sdwa vcc_lo, v6, v16 src0_sel:BYTE_0 src1_sel:DWORD
	v_and_b32_e32 v36, 0xffff, v35
	s_waitcnt lgkmcnt(0)
	v_cndmask_b32_e32 v5, 0, v5, vcc_lo
	v_cmp_gt_u32_e32 vcc_lo, v37, v4
	v_cndmask_b32_e64 v5, v5, 0, vcc_lo
	v_cndmask_b32_e32 v8, v36, v8, vcc_lo
	v_cndmask_b32_e32 v6, v35, v6, vcc_lo
	v_add_nc_u32_e32 v3, v5, v3
	ds_bpermute_b32 v5, v38, v8
	v_and_b32_e32 v35, 1, v6
	v_cmp_eq_u16_sdwa vcc_lo, v6, v16 src0_sel:BYTE_0 src1_sel:DWORD
	ds_bpermute_b32 v8, v38, v3
	s_waitcnt lgkmcnt(1)
	v_and_b32_e32 v5, 1, v5
	s_waitcnt lgkmcnt(0)
	v_cndmask_b32_e32 v8, 0, v8, vcc_lo
	v_cmp_eq_u32_e32 vcc_lo, 1, v35
	v_cndmask_b32_e64 v5, v5, 1, vcc_lo
	v_cmp_gt_u32_e32 vcc_lo, v39, v4
	v_cndmask_b32_e32 v4, v5, v6, vcc_lo
	v_cndmask_b32_e64 v5, v8, 0, vcc_lo
	v_add_nc_u32_e32 v3, v5, v3
	s_branch .LBB51_56
.LBB51_53:                              ;   in Loop: Header=BB51_56 Depth=1
	s_or_b32 exec_lo, exec_lo, s17
	v_and_b32_e32 v6, 0xff, v6
.LBB51_54:                              ;   in Loop: Header=BB51_56 Depth=1
	s_or_b32 exec_lo, exec_lo, s5
	ds_bpermute_b32 v3, v17, v6
	v_cmp_eq_u16_sdwa s5, v7, v28 src0_sel:BYTE_0 src1_sel:DWORD
	v_and_b32_e32 v4, 1, v6
	v_subrev_nc_u32_e32 v15, 32, v15
	v_and_or_b32 v8, s5, v29, 0x80000000
	v_cmp_eq_u32_e32 vcc_lo, 1, v4
	v_cmp_gt_u64_e64 s5, s[10:11], v[5:6]
	v_ffbl_b32_e32 v4, v8
	ds_bpermute_b32 v8, v17, v5
	s_waitcnt lgkmcnt(1)
	v_and_b32_e32 v3, 1, v3
	v_cndmask_b32_e64 v3, v3, 1, vcc_lo
	v_cmp_lt_u32_e32 vcc_lo, v20, v4
	v_and_b32_e32 v40, 0xffff, v3
	v_cndmask_b32_e32 v3, v6, v3, vcc_lo
	v_cndmask_b32_e32 v40, v6, v40, vcc_lo
	s_and_b32 vcc_lo, vcc_lo, s5
	v_cmp_eq_u16_sdwa s5, v3, v16 src0_sel:BYTE_0 src1_sel:DWORD
	s_waitcnt lgkmcnt(0)
	v_cndmask_b32_e32 v6, 0, v8, vcc_lo
	v_and_b32_e32 v8, 1, v3
	ds_bpermute_b32 v41, v30, v40
	v_add_nc_u32_e32 v5, v6, v5
	v_cmp_eq_u32_e32 vcc_lo, 1, v8
	ds_bpermute_b32 v6, v30, v5
	s_waitcnt lgkmcnt(1)
	v_and_b32_e32 v41, 1, v41
	v_cndmask_b32_e64 v8, v41, 1, vcc_lo
	v_cmp_gt_u32_e32 vcc_lo, v31, v4
	v_and_b32_e32 v41, 0xffff, v8
	v_cndmask_b32_e32 v8, v8, v3, vcc_lo
	s_waitcnt lgkmcnt(0)
	v_cndmask_b32_e64 v3, 0, v6, s5
	v_cndmask_b32_e32 v40, v41, v40, vcc_lo
	v_and_b32_e32 v41, 1, v8
	v_cndmask_b32_e64 v3, v3, 0, vcc_lo
	v_cmp_eq_u16_sdwa s5, v8, v16 src0_sel:BYTE_0 src1_sel:DWORD
	ds_bpermute_b32 v6, v32, v40
	v_cmp_eq_u32_e32 vcc_lo, 1, v41
	v_add_nc_u32_e32 v3, v3, v5
	ds_bpermute_b32 v5, v32, v3
	s_waitcnt lgkmcnt(1)
	v_and_b32_e32 v6, 1, v6
	v_cndmask_b32_e64 v6, v6, 1, vcc_lo
	v_cmp_gt_u32_e32 vcc_lo, v33, v4
	s_waitcnt lgkmcnt(0)
	v_cndmask_b32_e64 v5, 0, v5, s5
	s_mov_b32 s5, 0
	v_and_b32_e32 v41, 0xffff, v6
	v_cndmask_b32_e32 v6, v6, v8, vcc_lo
	v_cndmask_b32_e64 v5, v5, 0, vcc_lo
	v_cndmask_b32_e32 v8, v41, v40, vcc_lo
	v_and_b32_e32 v41, 1, v6
	v_add_nc_u32_e32 v3, v5, v3
	ds_bpermute_b32 v40, v34, v8
	v_cmp_eq_u32_e32 vcc_lo, 1, v41
	ds_bpermute_b32 v5, v34, v3
	s_waitcnt lgkmcnt(1)
	v_and_b32_e32 v40, 1, v40
	v_cndmask_b32_e64 v40, v40, 1, vcc_lo
	v_cmp_eq_u16_sdwa vcc_lo, v6, v16 src0_sel:BYTE_0 src1_sel:DWORD
	v_and_b32_e32 v41, 0xffff, v40
	s_waitcnt lgkmcnt(0)
	v_cndmask_b32_e32 v5, 0, v5, vcc_lo
	v_cmp_gt_u32_e32 vcc_lo, v37, v4
	v_cndmask_b32_e64 v5, v5, 0, vcc_lo
	v_cndmask_b32_e32 v8, v41, v8, vcc_lo
	v_cndmask_b32_e32 v6, v40, v6, vcc_lo
	v_add_nc_u32_e32 v3, v5, v3
	ds_bpermute_b32 v5, v38, v8
	v_and_b32_e32 v40, 1, v6
	ds_bpermute_b32 v8, v38, v3
	v_cmp_eq_u32_e32 vcc_lo, 1, v40
	s_waitcnt lgkmcnt(1)
	v_cndmask_b32_e64 v5, v5, 1, vcc_lo
	v_cmp_eq_u16_sdwa vcc_lo, v6, v16 src0_sel:BYTE_0 src1_sel:DWORD
	s_waitcnt lgkmcnt(0)
	v_cndmask_b32_e32 v8, 0, v8, vcc_lo
	v_cmp_gt_u32_e32 vcc_lo, v39, v4
	v_cndmask_b32_e32 v4, v5, v6, vcc_lo
	v_cndmask_b32_e64 v5, v8, 0, vcc_lo
	v_cmp_eq_u16_sdwa vcc_lo, v35, v16 src0_sel:BYTE_0 src1_sel:DWORD
	v_and_b32_e32 v4, 1, v4
	v_add_nc_u32_e32 v3, v5, v3
	v_and_b32_e32 v5, 1, v35
	v_cndmask_b32_e32 v3, 0, v3, vcc_lo
	v_cmp_eq_u32_e32 vcc_lo, 1, v5
	v_add_nc_u32_e32 v3, v3, v36
	v_cndmask_b32_e64 v4, v4, 1, vcc_lo
.LBB51_55:                              ;   in Loop: Header=BB51_56 Depth=1
	s_and_b32 vcc_lo, exec_lo, s5
	s_cbranch_vccnz .LBB51_61
.LBB51_56:                              ; =>This Loop Header: Depth=1
                                        ;     Child Loop BB51_59 Depth 2
	v_cmp_ne_u16_sdwa s5, v7, v28 src0_sel:BYTE_0 src1_sel:DWORD
	v_mov_b32_e32 v35, v4
	v_mov_b32_e32 v36, v3
                                        ; implicit-def: $vgpr4
                                        ; implicit-def: $vgpr3
                                        ; implicit-def: $vgpr7
	s_cmp_lg_u32 s5, exec_lo
	s_mov_b32 s5, -1
	s_cbranch_scc1 .LBB51_55
; %bb.57:                               ;   in Loop: Header=BB51_56 Depth=1
	v_lshlrev_b64 v[3:4], 4, v[15:16]
	v_add_co_u32 v3, vcc_lo, s12, v3
	v_add_co_ci_u32_e64 v4, null, s13, v4, vcc_lo
	;;#ASMSTART
	global_load_dwordx4 v[5:8], v[3:4] off glc dlc	
s_waitcnt vmcnt(0)
	;;#ASMEND
	v_and_b32_e32 v6, 0xff, v6
	v_cmp_eq_u16_sdwa s17, v7, v16 src0_sel:BYTE_0 src1_sel:DWORD
	s_and_saveexec_b32 s5, s17
	s_cbranch_execz .LBB51_54
; %bb.58:                               ;   in Loop: Header=BB51_56 Depth=1
	s_mov_b32 s17, 0
.LBB51_59:                              ;   Parent Loop BB51_56 Depth=1
                                        ; =>  This Inner Loop Header: Depth=2
	;;#ASMSTART
	global_load_dwordx4 v[5:8], v[3:4] off glc dlc	
s_waitcnt vmcnt(0)
	;;#ASMEND
	v_cmp_ne_u16_sdwa s24, v7, v16 src0_sel:BYTE_0 src1_sel:DWORD
	s_or_b32 s17, s24, s17
	s_andn2_b32 exec_lo, exec_lo, s17
	s_cbranch_execnz .LBB51_59
	s_branch .LBB51_53
.LBB51_60:
                                        ; implicit-def: $vgpr7
                                        ; implicit-def: $vgpr5
                                        ; implicit-def: $vgpr6
	s_cbranch_execnz .LBB51_66
	s_branch .LBB51_83
.LBB51_61:
	s_and_saveexec_b32 s5, s4
	s_cbranch_execz .LBB51_63
; %bb.62:
	v_mov_b32_e32 v4, 0
	v_and_b32_e32 v3, 1, v2
	s_mov_b32 s11, 0
	s_add_i32 s10, s29, 32
	v_and_b32_e32 v5, 1, v35
	v_cmp_eq_u32_sdwa vcc_lo, v2, v4 src0_sel:BYTE_0 src1_sel:DWORD
	s_lshl_b64 s[10:11], s[10:11], 4
	s_add_u32 s10, s12, s10
	s_addc_u32 s11, s13, s11
	v_cndmask_b32_e32 v2, 0, v36, vcc_lo
	v_cmp_eq_u32_e32 vcc_lo, 1, v3
	v_mov_b32_e32 v3, 2
	v_add_nc_u32_e32 v1, v2, v1
	v_cndmask_b32_e64 v2, v5, 1, vcc_lo
	v_mov_b32_e32 v5, s10
	v_mov_b32_e32 v6, s11
	;;#ASMSTART
	global_store_dwordx4 v[5:6], v[1:4] off	
s_waitcnt vmcnt(0)
	;;#ASMEND
.LBB51_63:
	s_or_b32 exec_lo, exec_lo, s5
	s_and_b32 exec_lo, exec_lo, s0
	s_cbranch_execz .LBB51_65
; %bb.64:
	v_mov_b32_e32 v1, 0
	ds_write_b32 v1, v36 offset:56
	ds_write_b8 v1, v35 offset:60
.LBB51_65:
	s_or_b32 exec_lo, exec_lo, s16
	v_mov_b32_e32 v1, 0
	s_waitcnt lgkmcnt(0)
	v_cndmask_b32_e64 v2, v27, v25, s4
	v_and_b32_e32 v4, 1, v10
	s_barrier
	buffer_gl0_inv
	ds_read_b32 v3, v1 offset:56
	v_and_b32_e32 v2, 1, v2
	v_cmp_eq_u32_e32 vcc_lo, 1, v4
	v_cndmask_b32_e64 v5, v26, v24, s4
	s_mov_b32 s5, 1
	s_mov_b32 s4, 0
	v_cndmask_b32_e64 v2, v2, 1, vcc_lo
	v_cmp_gt_u64_e32 vcc_lo, s[4:5], v[9:10]
	v_cndmask_b32_e64 v2, v2, v10, s0
	v_cndmask_b32_e32 v4, 0, v5, vcc_lo
	v_cmp_eq_u16_sdwa vcc_lo, v2, v1 src0_sel:BYTE_0 src1_sel:DWORD
	v_cndmask_b32_e64 v4, v4, 0, s0
	s_waitcnt lgkmcnt(0)
	v_cndmask_b32_e32 v1, 0, v3, vcc_lo
	v_add3_u32 v7, v4, v9, v1
	v_cndmask_b32_e64 v1, 0, v7, s2
	v_add_nc_u32_e32 v5, v1, v11
	v_cndmask_b32_e64 v1, 0, v5, s3
	v_add_nc_u32_e32 v6, v1, v13
	s_branch .LBB51_83
.LBB51_66:
	s_cmp_lg_u64 s[22:23], 0
	s_cselect_b32 s2, -1, 0
	s_cmp_lg_u64 s[6:7], 0
	s_cselect_b32 s3, -1, 0
	s_and_b32 s2, s2, s3
	s_and_b32 s3, s0, s2
	s_and_saveexec_b32 s2, s3
	s_cbranch_execz .LBB51_68
; %bb.67:
	v_mov_b32_e32 v1, 0
	s_mov_b32 s4, 0
	s_mov_b32 s5, 1
	s_clause 0x1
	global_load_dword v2, v1, s[6:7]
	global_load_ubyte v3, v1, s[6:7] offset:4
	v_cmp_gt_u64_e32 vcc_lo, s[4:5], v[9:10]
	s_waitcnt vmcnt(1)
	v_cndmask_b32_e32 v4, 0, v2, vcc_lo
	v_and_b32_e32 v2, 1, v10
	s_waitcnt vmcnt(0)
	v_and_b32_e32 v3, 1, v3
	v_add_nc_u32_e32 v9, v4, v9
	v_cmp_eq_u64_e32 vcc_lo, 0, v[1:2]
	v_cndmask_b32_e32 v10, 1, v3, vcc_lo
.LBB51_68:
	s_or_b32 exec_lo, exec_lo, s2
	v_and_b32_e32 v2, 0xff, v23
	v_mov_b32_e32 v1, 0
	s_mov_b32 s4, 0
	s_mov_b32 s5, 1
	v_and_b32_e32 v7, 15, v20
	v_cmp_eq_u64_e32 vcc_lo, 0, v[1:2]
	v_cmp_eq_u32_e64 s3, 0, v7
	v_cndmask_b32_e32 v2, 1, v10, vcc_lo
	v_cmp_gt_u64_e32 vcc_lo, s[4:5], v[11:12]
	v_and_b32_e32 v3, 0xff, v2
	v_and_b32_e32 v6, 1, v2
	v_cndmask_b32_e32 v5, 0, v9, vcc_lo
	v_mov_b32_dpp v4, v3 row_shr:1 row_mask:0xf bank_mask:0xf
	v_cmp_eq_u32_e64 s2, 1, v6
	v_add_nc_u32_e32 v5, v5, v11
	v_and_b32_e32 v4, 1, v4
	v_cndmask_b32_e64 v4, v4, 1, s2
	v_cmp_gt_u64_e64 s2, s[4:5], v[13:14]
	v_cmp_eq_u16_e64 s4, 0, v3
	v_cndmask_b32_e64 v8, v4, v3, s3
	v_cndmask_b32_e64 v2, v4, v2, s3
	;; [unrolled: 1-line block ×3, first 2 shown]
	v_mov_b32_dpp v4, v8 row_shr:2 row_mask:0xf bank_mask:0xf
	v_and_b32_e32 v14, 1, v2
	v_add_nc_u32_e32 v6, v6, v13
	v_and_b32_e32 v4, 1, v4
	v_mov_b32_dpp v12, v6 row_shr:1 row_mask:0xf bank_mask:0xf
	v_cndmask_b32_e64 v3, 0, v12, s4
	v_cmp_eq_u32_e64 s4, 1, v14
	v_cndmask_b32_e64 v3, v3, 0, s3
	v_cndmask_b32_e64 v4, v4, 1, s4
	v_cmp_lt_u32_e64 s4, 1, v7
	v_cmp_eq_u16_sdwa s3, v2, v1 src0_sel:BYTE_0 src1_sel:DWORD
	v_add_nc_u32_e32 v3, v3, v6
	v_cndmask_b32_e64 v12, v2, v4, s4
	v_cndmask_b32_e64 v4, v8, v4, s4
	s_and_b32 s3, s4, s3
	v_mov_b32_dpp v2, v3 row_shr:2 row_mask:0xf bank_mask:0xf
	v_and_b32_e32 v14, 1, v12
	v_mov_b32_dpp v8, v4 row_shr:4 row_mask:0xf bank_mask:0xf
	v_cmp_eq_u16_sdwa s4, v12, v1 src0_sel:BYTE_0 src1_sel:DWORD
	v_cndmask_b32_e64 v2, 0, v2, s3
	v_cmp_eq_u32_e64 s3, 1, v14
	v_and_b32_e32 v8, 1, v8
	v_add_nc_u32_e32 v2, v2, v3
	v_cndmask_b32_e64 v8, v8, 1, s3
	v_cmp_lt_u32_e64 s3, 3, v7
	v_cndmask_b32_e64 v3, v12, v8, s3
	v_cndmask_b32_e64 v4, v4, v8, s3
	v_mov_b32_dpp v8, v2 row_shr:4 row_mask:0xf bank_mask:0xf
	s_and_b32 s3, s3, s4
	v_and_b32_e32 v14, 1, v3
	v_mov_b32_dpp v12, v4 row_shr:8 row_mask:0xf bank_mask:0xf
	v_cndmask_b32_e64 v8, 0, v8, s3
	v_cmp_eq_u16_sdwa s4, v3, v1 src0_sel:BYTE_0 src1_sel:DWORD
	v_cmp_eq_u32_e64 s3, 1, v14
	v_and_b32_e32 v12, 1, v12
	v_add_nc_u32_e32 v2, v8, v2
	v_cndmask_b32_e64 v8, v12, 1, s3
	v_cmp_lt_u32_e64 s3, 7, v7
	v_mov_b32_dpp v7, v2 row_shr:8 row_mask:0xf bank_mask:0xf
	v_bfe_i32 v12, v20, 4, 1
	s_and_b32 s4, s3, s4
	v_cndmask_b32_e64 v4, v4, v8, s3
	v_cndmask_b32_e64 v7, 0, v7, s4
	;; [unrolled: 1-line block ×3, first 2 shown]
	s_mov_b32 s4, exec_lo
	v_add_nc_u32_e32 v2, v7, v2
	ds_swizzle_b32 v7, v4 offset:swizzle(BROADCAST,32,15)
	v_and_b32_e32 v14, 1, v3
	v_cmp_eq_u16_sdwa s3, v3, v1 src0_sel:BYTE_0 src1_sel:DWORD
	v_and_b32_e32 v3, 16, v20
	ds_swizzle_b32 v8, v2 offset:swizzle(BROADCAST,32,15)
	s_waitcnt lgkmcnt(1)
	v_and_b32_e32 v7, 1, v7
	s_waitcnt lgkmcnt(0)
	v_cndmask_b32_e64 v1, 0, v8, s3
	v_cmp_eq_u32_e64 s3, 1, v14
	v_and_b32_e32 v1, v12, v1
	v_cndmask_b32_e64 v7, v7, 1, s3
	v_cmp_eq_u32_e64 s3, 0, v3
	v_add_nc_u32_e32 v3, v1, v2
	v_cndmask_b32_e64 v4, v7, v4, s3
	v_cmpx_eq_u32_e64 v0, v22
	s_cbranch_execz .LBB51_70
; %bb.69:
	v_lshlrev_b32_e32 v1, 3, v21
	ds_write_b32 v1, v3
	ds_write_b8 v1, v4 offset:4
.LBB51_70:
	s_or_b32 exec_lo, exec_lo, s4
	s_mov_b32 s4, exec_lo
	s_waitcnt lgkmcnt(0)
	s_barrier
	buffer_gl0_inv
	v_cmpx_gt_u32_e32 8, v0
	s_cbranch_execz .LBB51_76
; %bb.71:
	ds_read_b64 v[1:2], v19
	v_and_b32_e32 v7, 7, v20
	s_mov_b32 s5, exec_lo
	s_waitcnt lgkmcnt(0)
	v_and_b32_e32 v8, 0xffffff00, v2
	v_mov_b32_dpp v14, v1 row_shr:1 row_mask:0xf bank_mask:0xf
	v_mov_b32_dpp v15, v2 row_shr:1 row_mask:0xf bank_mask:0xf
	v_mov_b32_e32 v12, v2
	v_cmpx_ne_u32_e32 0, v7
	s_cbranch_execz .LBB51_73
; %bb.72:
	v_mov_b32_e32 v12, 0
	v_and_b32_e32 v16, 1, v2
	v_and_b32_e32 v15, 1, v15
	v_cmp_eq_u16_sdwa s3, v2, v12 src0_sel:BYTE_0 src1_sel:DWORD
	v_cndmask_b32_e64 v2, 0, v14, s3
	v_cmp_eq_u32_e64 s3, 1, v16
	v_add_nc_u32_e32 v1, v2, v1
	v_cndmask_b32_e64 v14, v15, 1, s3
	v_or_b32_sdwa v12, v8, v14 dst_sel:DWORD dst_unused:UNUSED_PAD src0_sel:DWORD src1_sel:WORD_0
	v_mov_b32_e32 v2, v14
.LBB51_73:
	s_or_b32 exec_lo, exec_lo, s5
	v_mov_b32_dpp v14, v1 row_shr:2 row_mask:0xf bank_mask:0xf
	v_mov_b32_dpp v15, v12 row_shr:2 row_mask:0xf bank_mask:0xf
	s_mov_b32 s5, exec_lo
	v_cmpx_lt_u32_e32 1, v7
	s_cbranch_execz .LBB51_75
; %bb.74:
	v_mov_b32_e32 v12, 0
	v_and_b32_e32 v16, 1, v2
	v_and_b32_e32 v15, 1, v15
	v_cmp_eq_u16_sdwa s3, v2, v12 src0_sel:BYTE_0 src1_sel:DWORD
	v_cndmask_b32_e64 v2, 0, v14, s3
	v_cmp_eq_u32_e64 s3, 1, v16
	v_add_nc_u32_e32 v1, v2, v1
	v_cndmask_b32_e64 v14, v15, 1, s3
	v_or_b32_sdwa v12, v8, v14 dst_sel:DWORD dst_unused:UNUSED_PAD src0_sel:DWORD src1_sel:WORD_0
	v_mov_b32_e32 v2, v14
.LBB51_75:
	s_or_b32 exec_lo, exec_lo, s5
	v_mov_b32_dpp v8, v12 row_shr:4 row_mask:0xf bank_mask:0xf
	v_and_b32_e32 v14, 1, v2
	v_mov_b32_e32 v12, 0
	v_and_b32_e32 v8, 1, v8
	v_cmp_eq_u32_e64 s3, 1, v14
	v_cmp_eq_u16_sdwa s5, v2, v12 src0_sel:BYTE_0 src1_sel:DWORD
	v_cndmask_b32_e64 v8, v8, 1, s3
	v_cmp_lt_u32_e64 s3, 3, v7
	v_mov_b32_dpp v7, v1 row_shr:4 row_mask:0xf bank_mask:0xf
	v_cndmask_b32_e64 v2, v2, v8, s3
	s_and_b32 s3, s3, s5
	v_cndmask_b32_e64 v7, 0, v7, s3
	v_add_nc_u32_e32 v1, v7, v1
	ds_write_b32 v19, v1
	ds_write_b8 v19, v2 offset:4
.LBB51_76:
	s_or_b32 exec_lo, exec_lo, s4
	v_mov_b32_e32 v1, 0
	s_mov_b32 s4, exec_lo
	s_waitcnt lgkmcnt(0)
	s_barrier
	buffer_gl0_inv
	v_cmpx_lt_u32_e32 31, v0
	s_cbranch_execz .LBB51_78
; %bb.77:
	v_lshl_add_u32 v1, v21, 3, -8
	v_cmp_eq_u32_e64 s3, 0, v4
	ds_read_b32 v1, v1
	s_waitcnt lgkmcnt(0)
	v_cndmask_b32_e64 v2, 0, v1, s3
	v_add_nc_u32_e32 v3, v2, v3
.LBB51_78:
	s_or_b32 exec_lo, exec_lo, s4
	v_add_nc_u32_e32 v2, -1, v20
	s_mov_b32 s4, 0
	v_cmp_gt_i32_e64 s3, 0, v2
	v_cndmask_b32_e64 v2, v2, v20, s3
	v_lshlrev_b32_e32 v2, 2, v2
	ds_bpermute_b32 v2, v2, v3
	s_and_saveexec_b32 s3, s1
	s_cbranch_execz .LBB51_80
; %bb.79:
	v_cmp_eq_u32_e64 s1, 0, v20
	s_mov_b32 s5, 1
	;;#ASMSTART
	;;#ASMEND
	s_waitcnt lgkmcnt(0)
	v_cndmask_b32_e64 v1, v2, v1, s1
	v_cmp_gt_u64_e64 s1, s[4:5], v[9:10]
	v_cndmask_b32_e64 v1, 0, v1, s1
	v_add_nc_u32_e32 v9, v1, v9
	v_cndmask_b32_e32 v1, 0, v9, vcc_lo
	v_add_nc_u32_e32 v5, v1, v11
	v_cndmask_b32_e64 v1, 0, v5, s2
	v_add_nc_u32_e32 v6, v1, v13
.LBB51_80:
	s_or_b32 exec_lo, exec_lo, s3
	s_and_saveexec_b32 s1, s0
	s_cbranch_execz .LBB51_82
; %bb.81:
	v_mov_b32_e32 v4, 0
	s_add_u32 s2, s12, 0x200
	s_addc_u32 s3, s13, 0
	v_mov_b32_e32 v3, 2
	v_mov_b32_e32 v8, s3
	ds_read_b32 v1, v4 offset:56
	s_waitcnt lgkmcnt(1)
	ds_read_u8 v2, v4 offset:60
	v_mov_b32_e32 v7, s2
	s_waitcnt lgkmcnt(0)
	;;#ASMSTART
	global_store_dwordx4 v[7:8], v[1:4] off	
s_waitcnt vmcnt(0)
	;;#ASMEND
.LBB51_82:
	s_or_b32 exec_lo, exec_lo, s1
	v_mov_b32_e32 v7, v9
.LBB51_83:
	s_add_u32 s0, s20, s18
	v_mov_b32_e32 v3, 0
	s_addc_u32 s1, s21, s19
	s_add_u32 s0, s0, s8
	s_addc_u32 s1, s1, s9
	s_and_b32 vcc_lo, exec_lo, s15
	s_cbranch_vccz .LBB51_95
; %bb.84:
	v_mul_u32_u24_e32 v1, 3, v0
	v_mov_b32_e32 v4, 0
	s_waitcnt lgkmcnt(0)
	v_mov_b32_e32 v2, 0
	s_add_i32 s28, s28, s14
	s_mov_b32 s2, exec_lo
	v_cmpx_gt_u32_e64 s28, v1
	s_cbranch_execz .LBB51_90
; %bb.85:
	v_add_nc_u32_e32 v3, 1, v1
	v_mov_b32_e32 v2, 0
	v_mov_b32_e32 v4, 0
	s_mov_b32 s3, exec_lo
	v_cmpx_gt_u32_e64 s28, v3
	s_cbranch_execz .LBB51_89
; %bb.86:
	v_add_nc_u32_e32 v2, 2, v1
	v_cmp_gt_u32_e32 vcc_lo, s28, v2
	v_mov_b32_e32 v2, 0
	s_and_saveexec_b32 s4, vcc_lo
; %bb.87:
	v_mov_b32_e32 v2, v6
; %bb.88:
	s_or_b32 exec_lo, exec_lo, s4
	v_mov_b32_e32 v4, v5
.LBB51_89:
	s_or_b32 exec_lo, exec_lo, s3
	v_mov_b32_e32 v3, v7
.LBB51_90:
	s_or_b32 exec_lo, exec_lo, s2
	v_lshlrev_b32_e32 v8, 2, v1
	s_barrier
	buffer_gl0_inv
	v_sub_nc_u32_e32 v1, v8, v19
	ds_write2_b32 v8, v3, v4 offset1:1
	ds_write_b32 v8, v2 offset:8
	s_waitcnt lgkmcnt(0)
	s_barrier
	buffer_gl0_inv
	ds_read2st64_b32 v[1:2], v1 offset0:4 offset1:8
	v_add_co_u32 v3, s2, s0, v18
	v_add_co_ci_u32_e64 v4, null, s1, 0, s2
	s_mov_b32 s2, exec_lo
	v_cmpx_gt_u32_e64 s28, v0
	s_cbranch_execz .LBB51_92
; %bb.91:
	v_sub_nc_u32_e32 v9, 0, v19
	v_add_nc_u32_e32 v8, v8, v9
	ds_read_b32 v8, v8
	s_waitcnt lgkmcnt(0)
	global_store_dword v[3:4], v8, off
.LBB51_92:
	s_or_b32 exec_lo, exec_lo, s2
	v_or_b32_e32 v8, 0x100, v0
	s_mov_b32 s2, exec_lo
	v_cmpx_gt_u32_e64 s28, v8
	s_cbranch_execz .LBB51_94
; %bb.93:
	s_waitcnt lgkmcnt(0)
	global_store_dword v[3:4], v1, off offset:1024
.LBB51_94:
	s_or_b32 exec_lo, exec_lo, s2
	s_waitcnt lgkmcnt(0)
	v_or_b32_e32 v1, 0x200, v0
	v_cmp_gt_u32_e64 s2, s28, v1
	s_branch .LBB51_97
.LBB51_95:
	s_mov_b32 s2, 0
                                        ; implicit-def: $vgpr2
	s_cbranch_execz .LBB51_97
; %bb.96:
	v_mul_u32_u24_e32 v1, 12, v0
	s_waitcnt lgkmcnt(0)
	s_waitcnt_vscnt null, 0x0
	s_barrier
	buffer_gl0_inv
	s_or_b32 s2, s2, exec_lo
	v_sub_nc_u32_e32 v2, v1, v19
	ds_write2_b32 v1, v7, v5 offset1:1
	ds_write_b32 v1, v6 offset:8
	s_waitcnt lgkmcnt(0)
	s_barrier
	buffer_gl0_inv
	ds_read2st64_b32 v[3:4], v2 offset1:4
	ds_read_b32 v2, v2 offset:2048
	s_waitcnt lgkmcnt(1)
	global_store_dword v18, v3, s[0:1]
	global_store_dword v18, v4, s[0:1] offset:1024
.LBB51_97:
	s_and_saveexec_b32 s3, s2
	s_cbranch_execnz .LBB51_99
; %bb.98:
	s_endpgm
.LBB51_99:
	v_lshlrev_b32_e32 v0, 2, v0
	v_add_co_u32 v0, s0, s0, v0
	v_add_co_ci_u32_e64 v1, null, s1, 0, s0
	v_add_co_u32 v0, vcc_lo, 0x800, v0
	v_add_co_ci_u32_e64 v1, null, 0, v1, vcc_lo
	s_waitcnt lgkmcnt(0)
	global_store_dword v[0:1], v2, off
	s_endpgm
	.section	.rodata,"a",@progbits
	.p2align	6, 0x0
	.amdhsa_kernel _ZN7rocprim17ROCPRIM_400000_NS6detail17trampoline_kernelINS0_14default_configENS1_27scan_by_key_config_selectorIiiEEZZNS1_16scan_by_key_implILNS1_25lookback_scan_determinismE0ELb0ES3_PKiN6hipcub16HIPCUB_304000_NS21ConstantInputIteratorIilEEPiiNSB_3SumENSB_8EqualityEiEE10hipError_tPvRmT2_T3_T4_T5_mT6_T7_P12ihipStream_tbENKUlT_T0_E_clISt17integral_constantIbLb0EESW_IbLb1EEEEDaSS_ST_EUlSS_E_NS1_11comp_targetILNS1_3genE8ELNS1_11target_archE1030ELNS1_3gpuE2ELNS1_3repE0EEENS1_30default_config_static_selectorELNS0_4arch9wavefront6targetE0EEEvT1_
		.amdhsa_group_segment_fixed_size 5120
		.amdhsa_private_segment_fixed_size 0
		.amdhsa_kernarg_size 120
		.amdhsa_user_sgpr_count 6
		.amdhsa_user_sgpr_private_segment_buffer 1
		.amdhsa_user_sgpr_dispatch_ptr 0
		.amdhsa_user_sgpr_queue_ptr 0
		.amdhsa_user_sgpr_kernarg_segment_ptr 1
		.amdhsa_user_sgpr_dispatch_id 0
		.amdhsa_user_sgpr_flat_scratch_init 0
		.amdhsa_user_sgpr_private_segment_size 0
		.amdhsa_wavefront_size32 1
		.amdhsa_uses_dynamic_stack 0
		.amdhsa_system_sgpr_private_segment_wavefront_offset 0
		.amdhsa_system_sgpr_workgroup_id_x 1
		.amdhsa_system_sgpr_workgroup_id_y 0
		.amdhsa_system_sgpr_workgroup_id_z 0
		.amdhsa_system_sgpr_workgroup_info 0
		.amdhsa_system_vgpr_workitem_id 0
		.amdhsa_next_free_vgpr 42
		.amdhsa_next_free_sgpr 34
		.amdhsa_reserve_vcc 1
		.amdhsa_reserve_flat_scratch 0
		.amdhsa_float_round_mode_32 0
		.amdhsa_float_round_mode_16_64 0
		.amdhsa_float_denorm_mode_32 3
		.amdhsa_float_denorm_mode_16_64 3
		.amdhsa_dx10_clamp 1
		.amdhsa_ieee_mode 1
		.amdhsa_fp16_overflow 0
		.amdhsa_workgroup_processor_mode 1
		.amdhsa_memory_ordered 1
		.amdhsa_forward_progress 1
		.amdhsa_shared_vgpr_count 0
		.amdhsa_exception_fp_ieee_invalid_op 0
		.amdhsa_exception_fp_denorm_src 0
		.amdhsa_exception_fp_ieee_div_zero 0
		.amdhsa_exception_fp_ieee_overflow 0
		.amdhsa_exception_fp_ieee_underflow 0
		.amdhsa_exception_fp_ieee_inexact 0
		.amdhsa_exception_int_div_zero 0
	.end_amdhsa_kernel
	.section	.text._ZN7rocprim17ROCPRIM_400000_NS6detail17trampoline_kernelINS0_14default_configENS1_27scan_by_key_config_selectorIiiEEZZNS1_16scan_by_key_implILNS1_25lookback_scan_determinismE0ELb0ES3_PKiN6hipcub16HIPCUB_304000_NS21ConstantInputIteratorIilEEPiiNSB_3SumENSB_8EqualityEiEE10hipError_tPvRmT2_T3_T4_T5_mT6_T7_P12ihipStream_tbENKUlT_T0_E_clISt17integral_constantIbLb0EESW_IbLb1EEEEDaSS_ST_EUlSS_E_NS1_11comp_targetILNS1_3genE8ELNS1_11target_archE1030ELNS1_3gpuE2ELNS1_3repE0EEENS1_30default_config_static_selectorELNS0_4arch9wavefront6targetE0EEEvT1_,"axG",@progbits,_ZN7rocprim17ROCPRIM_400000_NS6detail17trampoline_kernelINS0_14default_configENS1_27scan_by_key_config_selectorIiiEEZZNS1_16scan_by_key_implILNS1_25lookback_scan_determinismE0ELb0ES3_PKiN6hipcub16HIPCUB_304000_NS21ConstantInputIteratorIilEEPiiNSB_3SumENSB_8EqualityEiEE10hipError_tPvRmT2_T3_T4_T5_mT6_T7_P12ihipStream_tbENKUlT_T0_E_clISt17integral_constantIbLb0EESW_IbLb1EEEEDaSS_ST_EUlSS_E_NS1_11comp_targetILNS1_3genE8ELNS1_11target_archE1030ELNS1_3gpuE2ELNS1_3repE0EEENS1_30default_config_static_selectorELNS0_4arch9wavefront6targetE0EEEvT1_,comdat
.Lfunc_end51:
	.size	_ZN7rocprim17ROCPRIM_400000_NS6detail17trampoline_kernelINS0_14default_configENS1_27scan_by_key_config_selectorIiiEEZZNS1_16scan_by_key_implILNS1_25lookback_scan_determinismE0ELb0ES3_PKiN6hipcub16HIPCUB_304000_NS21ConstantInputIteratorIilEEPiiNSB_3SumENSB_8EqualityEiEE10hipError_tPvRmT2_T3_T4_T5_mT6_T7_P12ihipStream_tbENKUlT_T0_E_clISt17integral_constantIbLb0EESW_IbLb1EEEEDaSS_ST_EUlSS_E_NS1_11comp_targetILNS1_3genE8ELNS1_11target_archE1030ELNS1_3gpuE2ELNS1_3repE0EEENS1_30default_config_static_selectorELNS0_4arch9wavefront6targetE0EEEvT1_, .Lfunc_end51-_ZN7rocprim17ROCPRIM_400000_NS6detail17trampoline_kernelINS0_14default_configENS1_27scan_by_key_config_selectorIiiEEZZNS1_16scan_by_key_implILNS1_25lookback_scan_determinismE0ELb0ES3_PKiN6hipcub16HIPCUB_304000_NS21ConstantInputIteratorIilEEPiiNSB_3SumENSB_8EqualityEiEE10hipError_tPvRmT2_T3_T4_T5_mT6_T7_P12ihipStream_tbENKUlT_T0_E_clISt17integral_constantIbLb0EESW_IbLb1EEEEDaSS_ST_EUlSS_E_NS1_11comp_targetILNS1_3genE8ELNS1_11target_archE1030ELNS1_3gpuE2ELNS1_3repE0EEENS1_30default_config_static_selectorELNS0_4arch9wavefront6targetE0EEEvT1_
                                        ; -- End function
	.set _ZN7rocprim17ROCPRIM_400000_NS6detail17trampoline_kernelINS0_14default_configENS1_27scan_by_key_config_selectorIiiEEZZNS1_16scan_by_key_implILNS1_25lookback_scan_determinismE0ELb0ES3_PKiN6hipcub16HIPCUB_304000_NS21ConstantInputIteratorIilEEPiiNSB_3SumENSB_8EqualityEiEE10hipError_tPvRmT2_T3_T4_T5_mT6_T7_P12ihipStream_tbENKUlT_T0_E_clISt17integral_constantIbLb0EESW_IbLb1EEEEDaSS_ST_EUlSS_E_NS1_11comp_targetILNS1_3genE8ELNS1_11target_archE1030ELNS1_3gpuE2ELNS1_3repE0EEENS1_30default_config_static_selectorELNS0_4arch9wavefront6targetE0EEEvT1_.num_vgpr, 42
	.set _ZN7rocprim17ROCPRIM_400000_NS6detail17trampoline_kernelINS0_14default_configENS1_27scan_by_key_config_selectorIiiEEZZNS1_16scan_by_key_implILNS1_25lookback_scan_determinismE0ELb0ES3_PKiN6hipcub16HIPCUB_304000_NS21ConstantInputIteratorIilEEPiiNSB_3SumENSB_8EqualityEiEE10hipError_tPvRmT2_T3_T4_T5_mT6_T7_P12ihipStream_tbENKUlT_T0_E_clISt17integral_constantIbLb0EESW_IbLb1EEEEDaSS_ST_EUlSS_E_NS1_11comp_targetILNS1_3genE8ELNS1_11target_archE1030ELNS1_3gpuE2ELNS1_3repE0EEENS1_30default_config_static_selectorELNS0_4arch9wavefront6targetE0EEEvT1_.num_agpr, 0
	.set _ZN7rocprim17ROCPRIM_400000_NS6detail17trampoline_kernelINS0_14default_configENS1_27scan_by_key_config_selectorIiiEEZZNS1_16scan_by_key_implILNS1_25lookback_scan_determinismE0ELb0ES3_PKiN6hipcub16HIPCUB_304000_NS21ConstantInputIteratorIilEEPiiNSB_3SumENSB_8EqualityEiEE10hipError_tPvRmT2_T3_T4_T5_mT6_T7_P12ihipStream_tbENKUlT_T0_E_clISt17integral_constantIbLb0EESW_IbLb1EEEEDaSS_ST_EUlSS_E_NS1_11comp_targetILNS1_3genE8ELNS1_11target_archE1030ELNS1_3gpuE2ELNS1_3repE0EEENS1_30default_config_static_selectorELNS0_4arch9wavefront6targetE0EEEvT1_.numbered_sgpr, 34
	.set _ZN7rocprim17ROCPRIM_400000_NS6detail17trampoline_kernelINS0_14default_configENS1_27scan_by_key_config_selectorIiiEEZZNS1_16scan_by_key_implILNS1_25lookback_scan_determinismE0ELb0ES3_PKiN6hipcub16HIPCUB_304000_NS21ConstantInputIteratorIilEEPiiNSB_3SumENSB_8EqualityEiEE10hipError_tPvRmT2_T3_T4_T5_mT6_T7_P12ihipStream_tbENKUlT_T0_E_clISt17integral_constantIbLb0EESW_IbLb1EEEEDaSS_ST_EUlSS_E_NS1_11comp_targetILNS1_3genE8ELNS1_11target_archE1030ELNS1_3gpuE2ELNS1_3repE0EEENS1_30default_config_static_selectorELNS0_4arch9wavefront6targetE0EEEvT1_.num_named_barrier, 0
	.set _ZN7rocprim17ROCPRIM_400000_NS6detail17trampoline_kernelINS0_14default_configENS1_27scan_by_key_config_selectorIiiEEZZNS1_16scan_by_key_implILNS1_25lookback_scan_determinismE0ELb0ES3_PKiN6hipcub16HIPCUB_304000_NS21ConstantInputIteratorIilEEPiiNSB_3SumENSB_8EqualityEiEE10hipError_tPvRmT2_T3_T4_T5_mT6_T7_P12ihipStream_tbENKUlT_T0_E_clISt17integral_constantIbLb0EESW_IbLb1EEEEDaSS_ST_EUlSS_E_NS1_11comp_targetILNS1_3genE8ELNS1_11target_archE1030ELNS1_3gpuE2ELNS1_3repE0EEENS1_30default_config_static_selectorELNS0_4arch9wavefront6targetE0EEEvT1_.private_seg_size, 0
	.set _ZN7rocprim17ROCPRIM_400000_NS6detail17trampoline_kernelINS0_14default_configENS1_27scan_by_key_config_selectorIiiEEZZNS1_16scan_by_key_implILNS1_25lookback_scan_determinismE0ELb0ES3_PKiN6hipcub16HIPCUB_304000_NS21ConstantInputIteratorIilEEPiiNSB_3SumENSB_8EqualityEiEE10hipError_tPvRmT2_T3_T4_T5_mT6_T7_P12ihipStream_tbENKUlT_T0_E_clISt17integral_constantIbLb0EESW_IbLb1EEEEDaSS_ST_EUlSS_E_NS1_11comp_targetILNS1_3genE8ELNS1_11target_archE1030ELNS1_3gpuE2ELNS1_3repE0EEENS1_30default_config_static_selectorELNS0_4arch9wavefront6targetE0EEEvT1_.uses_vcc, 1
	.set _ZN7rocprim17ROCPRIM_400000_NS6detail17trampoline_kernelINS0_14default_configENS1_27scan_by_key_config_selectorIiiEEZZNS1_16scan_by_key_implILNS1_25lookback_scan_determinismE0ELb0ES3_PKiN6hipcub16HIPCUB_304000_NS21ConstantInputIteratorIilEEPiiNSB_3SumENSB_8EqualityEiEE10hipError_tPvRmT2_T3_T4_T5_mT6_T7_P12ihipStream_tbENKUlT_T0_E_clISt17integral_constantIbLb0EESW_IbLb1EEEEDaSS_ST_EUlSS_E_NS1_11comp_targetILNS1_3genE8ELNS1_11target_archE1030ELNS1_3gpuE2ELNS1_3repE0EEENS1_30default_config_static_selectorELNS0_4arch9wavefront6targetE0EEEvT1_.uses_flat_scratch, 0
	.set _ZN7rocprim17ROCPRIM_400000_NS6detail17trampoline_kernelINS0_14default_configENS1_27scan_by_key_config_selectorIiiEEZZNS1_16scan_by_key_implILNS1_25lookback_scan_determinismE0ELb0ES3_PKiN6hipcub16HIPCUB_304000_NS21ConstantInputIteratorIilEEPiiNSB_3SumENSB_8EqualityEiEE10hipError_tPvRmT2_T3_T4_T5_mT6_T7_P12ihipStream_tbENKUlT_T0_E_clISt17integral_constantIbLb0EESW_IbLb1EEEEDaSS_ST_EUlSS_E_NS1_11comp_targetILNS1_3genE8ELNS1_11target_archE1030ELNS1_3gpuE2ELNS1_3repE0EEENS1_30default_config_static_selectorELNS0_4arch9wavefront6targetE0EEEvT1_.has_dyn_sized_stack, 0
	.set _ZN7rocprim17ROCPRIM_400000_NS6detail17trampoline_kernelINS0_14default_configENS1_27scan_by_key_config_selectorIiiEEZZNS1_16scan_by_key_implILNS1_25lookback_scan_determinismE0ELb0ES3_PKiN6hipcub16HIPCUB_304000_NS21ConstantInputIteratorIilEEPiiNSB_3SumENSB_8EqualityEiEE10hipError_tPvRmT2_T3_T4_T5_mT6_T7_P12ihipStream_tbENKUlT_T0_E_clISt17integral_constantIbLb0EESW_IbLb1EEEEDaSS_ST_EUlSS_E_NS1_11comp_targetILNS1_3genE8ELNS1_11target_archE1030ELNS1_3gpuE2ELNS1_3repE0EEENS1_30default_config_static_selectorELNS0_4arch9wavefront6targetE0EEEvT1_.has_recursion, 0
	.set _ZN7rocprim17ROCPRIM_400000_NS6detail17trampoline_kernelINS0_14default_configENS1_27scan_by_key_config_selectorIiiEEZZNS1_16scan_by_key_implILNS1_25lookback_scan_determinismE0ELb0ES3_PKiN6hipcub16HIPCUB_304000_NS21ConstantInputIteratorIilEEPiiNSB_3SumENSB_8EqualityEiEE10hipError_tPvRmT2_T3_T4_T5_mT6_T7_P12ihipStream_tbENKUlT_T0_E_clISt17integral_constantIbLb0EESW_IbLb1EEEEDaSS_ST_EUlSS_E_NS1_11comp_targetILNS1_3genE8ELNS1_11target_archE1030ELNS1_3gpuE2ELNS1_3repE0EEENS1_30default_config_static_selectorELNS0_4arch9wavefront6targetE0EEEvT1_.has_indirect_call, 0
	.section	.AMDGPU.csdata,"",@progbits
; Kernel info:
; codeLenInByte = 6032
; TotalNumSgprs: 36
; NumVgprs: 42
; ScratchSize: 0
; MemoryBound: 0
; FloatMode: 240
; IeeeMode: 1
; LDSByteSize: 5120 bytes/workgroup (compile time only)
; SGPRBlocks: 0
; VGPRBlocks: 5
; NumSGPRsForWavesPerEU: 36
; NumVGPRsForWavesPerEU: 42
; Occupancy: 16
; WaveLimiterHint : 1
; COMPUTE_PGM_RSRC2:SCRATCH_EN: 0
; COMPUTE_PGM_RSRC2:USER_SGPR: 6
; COMPUTE_PGM_RSRC2:TRAP_HANDLER: 0
; COMPUTE_PGM_RSRC2:TGID_X_EN: 1
; COMPUTE_PGM_RSRC2:TGID_Y_EN: 0
; COMPUTE_PGM_RSRC2:TGID_Z_EN: 0
; COMPUTE_PGM_RSRC2:TIDIG_COMP_CNT: 0
	.section	.text._ZN7rocprim17ROCPRIM_400000_NS6detail30init_device_scan_by_key_kernelINS1_19lookback_scan_stateINS0_5tupleIJibEEELb0ELb1EEEN6thrust23THRUST_200600_302600_NS16reverse_iteratorIPKiEEjNS1_16block_id_wrapperIjLb0EEEEEvT_jjPNSF_10value_typeET0_PNSt15iterator_traitsISI_E10value_typeEmT1_T2_,"axG",@progbits,_ZN7rocprim17ROCPRIM_400000_NS6detail30init_device_scan_by_key_kernelINS1_19lookback_scan_stateINS0_5tupleIJibEEELb0ELb1EEEN6thrust23THRUST_200600_302600_NS16reverse_iteratorIPKiEEjNS1_16block_id_wrapperIjLb0EEEEEvT_jjPNSF_10value_typeET0_PNSt15iterator_traitsISI_E10value_typeEmT1_T2_,comdat
	.protected	_ZN7rocprim17ROCPRIM_400000_NS6detail30init_device_scan_by_key_kernelINS1_19lookback_scan_stateINS0_5tupleIJibEEELb0ELb1EEEN6thrust23THRUST_200600_302600_NS16reverse_iteratorIPKiEEjNS1_16block_id_wrapperIjLb0EEEEEvT_jjPNSF_10value_typeET0_PNSt15iterator_traitsISI_E10value_typeEmT1_T2_ ; -- Begin function _ZN7rocprim17ROCPRIM_400000_NS6detail30init_device_scan_by_key_kernelINS1_19lookback_scan_stateINS0_5tupleIJibEEELb0ELb1EEEN6thrust23THRUST_200600_302600_NS16reverse_iteratorIPKiEEjNS1_16block_id_wrapperIjLb0EEEEEvT_jjPNSF_10value_typeET0_PNSt15iterator_traitsISI_E10value_typeEmT1_T2_
	.globl	_ZN7rocprim17ROCPRIM_400000_NS6detail30init_device_scan_by_key_kernelINS1_19lookback_scan_stateINS0_5tupleIJibEEELb0ELb1EEEN6thrust23THRUST_200600_302600_NS16reverse_iteratorIPKiEEjNS1_16block_id_wrapperIjLb0EEEEEvT_jjPNSF_10value_typeET0_PNSt15iterator_traitsISI_E10value_typeEmT1_T2_
	.p2align	8
	.type	_ZN7rocprim17ROCPRIM_400000_NS6detail30init_device_scan_by_key_kernelINS1_19lookback_scan_stateINS0_5tupleIJibEEELb0ELb1EEEN6thrust23THRUST_200600_302600_NS16reverse_iteratorIPKiEEjNS1_16block_id_wrapperIjLb0EEEEEvT_jjPNSF_10value_typeET0_PNSt15iterator_traitsISI_E10value_typeEmT1_T2_,@function
_ZN7rocprim17ROCPRIM_400000_NS6detail30init_device_scan_by_key_kernelINS1_19lookback_scan_stateINS0_5tupleIJibEEELb0ELb1EEEN6thrust23THRUST_200600_302600_NS16reverse_iteratorIPKiEEjNS1_16block_id_wrapperIjLb0EEEEEvT_jjPNSF_10value_typeET0_PNSt15iterator_traitsISI_E10value_typeEmT1_T2_: ; @_ZN7rocprim17ROCPRIM_400000_NS6detail30init_device_scan_by_key_kernelINS1_19lookback_scan_stateINS0_5tupleIJibEEELb0ELb1EEEN6thrust23THRUST_200600_302600_NS16reverse_iteratorIPKiEEjNS1_16block_id_wrapperIjLb0EEEEEvT_jjPNSF_10value_typeET0_PNSt15iterator_traitsISI_E10value_typeEmT1_T2_
; %bb.0:
	s_clause 0x2
	s_load_dword s0, s[4:5], 0x44
	s_load_dwordx8 s[8:15], s[4:5], 0x0
	s_load_dword s7, s[4:5], 0x38
	s_waitcnt lgkmcnt(0)
	s_and_b32 s16, s0, 0xffff
	s_cmp_eq_u64 s[12:13], 0
	v_mad_u64_u32 v[4:5], null, s6, s16, v[0:1]
	s_cbranch_scc1 .LBB52_8
; %bb.1:
	s_cmp_lt_u32 s11, s10
	s_mov_b32 s1, 0
	s_cselect_b32 s0, s11, 0
	s_mov_b32 s2, exec_lo
	v_cmpx_eq_u32_e64 s0, v4
	s_cbranch_execz .LBB52_7
; %bb.2:
	s_add_i32 s0, s11, 32
	v_mov_b32_e32 v6, 0
	s_lshl_b64 s[0:1], s[0:1], 4
	s_mov_b32 s3, exec_lo
	s_add_u32 s0, s8, s0
	s_addc_u32 s1, s9, s1
	v_mov_b32_e32 v0, s0
	v_mov_b32_e32 v1, s1
	;;#ASMSTART
	global_load_dwordx4 v[0:3], v[0:1] off glc dlc	
s_waitcnt vmcnt(0)
	;;#ASMEND
	v_and_b32_e32 v5, 0xff, v2
	v_cmpx_eq_u64_e32 0, v[5:6]
	s_cbranch_execz .LBB52_6
; %bb.3:
	v_mov_b32_e32 v8, s1
	v_mov_b32_e32 v7, s0
	s_mov_b32 s0, 0
.LBB52_4:                               ; =>This Inner Loop Header: Depth=1
	;;#ASMSTART
	global_load_dwordx4 v[0:3], v[7:8] off glc dlc	
s_waitcnt vmcnt(0)
	;;#ASMEND
	v_and_b32_e32 v5, 0xff, v2
	v_cmp_ne_u64_e32 vcc_lo, 0, v[5:6]
	s_or_b32 s0, vcc_lo, s0
	s_andn2_b32 exec_lo, exec_lo, s0
	s_cbranch_execnz .LBB52_4
; %bb.5:
	s_or_b32 exec_lo, exec_lo, s0
.LBB52_6:
	s_or_b32 exec_lo, exec_lo, s3
	v_mov_b32_e32 v2, 0
	global_store_dword v2, v0, s[12:13]
	global_store_byte v2, v1, s[12:13] offset:4
.LBB52_7:
	s_or_b32 exec_lo, exec_lo, s2
.LBB52_8:
	s_mov_b32 s0, exec_lo
	v_cmpx_gt_u32_e64 s10, v4
	s_cbranch_execz .LBB52_10
; %bb.9:
	v_add_nc_u32_e32 v0, 32, v4
	v_mov_b32_e32 v1, 0
	v_lshlrev_b64 v[5:6], 4, v[0:1]
	v_mov_b32_e32 v0, v1
	v_mov_b32_e32 v2, v1
	;; [unrolled: 1-line block ×3, first 2 shown]
	v_add_co_u32 v5, vcc_lo, s8, v5
	v_add_co_ci_u32_e64 v6, null, s9, v6, vcc_lo
	global_store_dwordx4 v[5:6], v[0:3], off
.LBB52_10:
	s_or_b32 exec_lo, exec_lo, s0
	v_mov_b32_e32 v5, 0
	s_mov_b32 s0, exec_lo
	v_cmpx_gt_u32_e32 32, v4
	s_cbranch_execz .LBB52_12
; %bb.11:
	v_lshlrev_b64 v[6:7], 4, v[4:5]
	v_mov_b32_e32 v2, 0xff
	v_mov_b32_e32 v0, v5
	;; [unrolled: 1-line block ×4, first 2 shown]
	v_add_co_u32 v6, vcc_lo, s8, v6
	v_add_co_ci_u32_e64 v7, null, s9, v7, vcc_lo
	global_store_dwordx4 v[6:7], v[0:3], off
.LBB52_12:
	s_or_b32 exec_lo, exec_lo, s0
	s_load_dwordx2 s[2:3], s[4:5], 0x28
	s_mov_b32 s0, exec_lo
	s_waitcnt lgkmcnt(0)
	v_cmpx_gt_u64_e64 s[2:3], v[4:5]
	s_cbranch_execz .LBB52_15
; %bb.13:
	s_clause 0x1
	s_load_dword s6, s[4:5], 0x30
	s_load_dwordx2 s[8:9], s[4:5], 0x20
	s_mov_b32 s1, 0
	v_lshlrev_b64 v[2:3], 2, v[4:5]
	s_mul_i32 s4, s7, s16
	s_mov_b32 s5, s1
	s_waitcnt lgkmcnt(0)
	s_add_i32 s0, s6, -1
	s_mul_hi_u32 s7, s6, s4
	v_mad_u64_u32 v[0:1], null, s6, v4, s[0:1]
	s_mul_i32 s6, s6, s4
	s_lshl_b64 s[6:7], s[6:7], 2
	v_not_b32_e32 v1, v1
	v_not_b32_e32 v0, v0
	v_lshlrev_b64 v[0:1], 2, v[0:1]
	v_add_co_u32 v0, vcc_lo, s14, v0
	v_add_co_ci_u32_e64 v1, null, s15, v1, vcc_lo
	v_add_co_u32 v2, vcc_lo, s8, v2
	v_add_co_ci_u32_e64 v3, null, s9, v3, vcc_lo
	s_sub_u32 s8, 0, s6
	s_subb_u32 s9, 0, s7
	s_lshl_b64 s[6:7], s[4:5], 2
	.p2align	6
.LBB52_14:                              ; =>This Inner Loop Header: Depth=1
	global_load_dword v6, v[0:1], off
	v_add_co_u32 v4, vcc_lo, v4, s4
	v_add_co_ci_u32_e64 v5, null, 0, v5, vcc_lo
	v_add_co_u32 v0, vcc_lo, v0, s8
	v_add_co_ci_u32_e64 v1, null, s9, v1, vcc_lo
	v_cmp_le_u64_e32 vcc_lo, s[2:3], v[4:5]
	s_or_b32 s1, vcc_lo, s1
	s_waitcnt vmcnt(0)
	global_store_dword v[2:3], v6, off
	v_add_co_u32 v2, s0, v2, s6
	v_add_co_ci_u32_e64 v3, null, s7, v3, s0
	s_andn2_b32 exec_lo, exec_lo, s1
	s_cbranch_execnz .LBB52_14
.LBB52_15:
	s_endpgm
	.section	.rodata,"a",@progbits
	.p2align	6, 0x0
	.amdhsa_kernel _ZN7rocprim17ROCPRIM_400000_NS6detail30init_device_scan_by_key_kernelINS1_19lookback_scan_stateINS0_5tupleIJibEEELb0ELb1EEEN6thrust23THRUST_200600_302600_NS16reverse_iteratorIPKiEEjNS1_16block_id_wrapperIjLb0EEEEEvT_jjPNSF_10value_typeET0_PNSt15iterator_traitsISI_E10value_typeEmT1_T2_
		.amdhsa_group_segment_fixed_size 0
		.amdhsa_private_segment_fixed_size 0
		.amdhsa_kernarg_size 312
		.amdhsa_user_sgpr_count 6
		.amdhsa_user_sgpr_private_segment_buffer 1
		.amdhsa_user_sgpr_dispatch_ptr 0
		.amdhsa_user_sgpr_queue_ptr 0
		.amdhsa_user_sgpr_kernarg_segment_ptr 1
		.amdhsa_user_sgpr_dispatch_id 0
		.amdhsa_user_sgpr_flat_scratch_init 0
		.amdhsa_user_sgpr_private_segment_size 0
		.amdhsa_wavefront_size32 1
		.amdhsa_uses_dynamic_stack 0
		.amdhsa_system_sgpr_private_segment_wavefront_offset 0
		.amdhsa_system_sgpr_workgroup_id_x 1
		.amdhsa_system_sgpr_workgroup_id_y 0
		.amdhsa_system_sgpr_workgroup_id_z 0
		.amdhsa_system_sgpr_workgroup_info 0
		.amdhsa_system_vgpr_workitem_id 0
		.amdhsa_next_free_vgpr 9
		.amdhsa_next_free_sgpr 17
		.amdhsa_reserve_vcc 1
		.amdhsa_reserve_flat_scratch 0
		.amdhsa_float_round_mode_32 0
		.amdhsa_float_round_mode_16_64 0
		.amdhsa_float_denorm_mode_32 3
		.amdhsa_float_denorm_mode_16_64 3
		.amdhsa_dx10_clamp 1
		.amdhsa_ieee_mode 1
		.amdhsa_fp16_overflow 0
		.amdhsa_workgroup_processor_mode 1
		.amdhsa_memory_ordered 1
		.amdhsa_forward_progress 1
		.amdhsa_shared_vgpr_count 0
		.amdhsa_exception_fp_ieee_invalid_op 0
		.amdhsa_exception_fp_denorm_src 0
		.amdhsa_exception_fp_ieee_div_zero 0
		.amdhsa_exception_fp_ieee_overflow 0
		.amdhsa_exception_fp_ieee_underflow 0
		.amdhsa_exception_fp_ieee_inexact 0
		.amdhsa_exception_int_div_zero 0
	.end_amdhsa_kernel
	.section	.text._ZN7rocprim17ROCPRIM_400000_NS6detail30init_device_scan_by_key_kernelINS1_19lookback_scan_stateINS0_5tupleIJibEEELb0ELb1EEEN6thrust23THRUST_200600_302600_NS16reverse_iteratorIPKiEEjNS1_16block_id_wrapperIjLb0EEEEEvT_jjPNSF_10value_typeET0_PNSt15iterator_traitsISI_E10value_typeEmT1_T2_,"axG",@progbits,_ZN7rocprim17ROCPRIM_400000_NS6detail30init_device_scan_by_key_kernelINS1_19lookback_scan_stateINS0_5tupleIJibEEELb0ELb1EEEN6thrust23THRUST_200600_302600_NS16reverse_iteratorIPKiEEjNS1_16block_id_wrapperIjLb0EEEEEvT_jjPNSF_10value_typeET0_PNSt15iterator_traitsISI_E10value_typeEmT1_T2_,comdat
.Lfunc_end52:
	.size	_ZN7rocprim17ROCPRIM_400000_NS6detail30init_device_scan_by_key_kernelINS1_19lookback_scan_stateINS0_5tupleIJibEEELb0ELb1EEEN6thrust23THRUST_200600_302600_NS16reverse_iteratorIPKiEEjNS1_16block_id_wrapperIjLb0EEEEEvT_jjPNSF_10value_typeET0_PNSt15iterator_traitsISI_E10value_typeEmT1_T2_, .Lfunc_end52-_ZN7rocprim17ROCPRIM_400000_NS6detail30init_device_scan_by_key_kernelINS1_19lookback_scan_stateINS0_5tupleIJibEEELb0ELb1EEEN6thrust23THRUST_200600_302600_NS16reverse_iteratorIPKiEEjNS1_16block_id_wrapperIjLb0EEEEEvT_jjPNSF_10value_typeET0_PNSt15iterator_traitsISI_E10value_typeEmT1_T2_
                                        ; -- End function
	.set _ZN7rocprim17ROCPRIM_400000_NS6detail30init_device_scan_by_key_kernelINS1_19lookback_scan_stateINS0_5tupleIJibEEELb0ELb1EEEN6thrust23THRUST_200600_302600_NS16reverse_iteratorIPKiEEjNS1_16block_id_wrapperIjLb0EEEEEvT_jjPNSF_10value_typeET0_PNSt15iterator_traitsISI_E10value_typeEmT1_T2_.num_vgpr, 9
	.set _ZN7rocprim17ROCPRIM_400000_NS6detail30init_device_scan_by_key_kernelINS1_19lookback_scan_stateINS0_5tupleIJibEEELb0ELb1EEEN6thrust23THRUST_200600_302600_NS16reverse_iteratorIPKiEEjNS1_16block_id_wrapperIjLb0EEEEEvT_jjPNSF_10value_typeET0_PNSt15iterator_traitsISI_E10value_typeEmT1_T2_.num_agpr, 0
	.set _ZN7rocprim17ROCPRIM_400000_NS6detail30init_device_scan_by_key_kernelINS1_19lookback_scan_stateINS0_5tupleIJibEEELb0ELb1EEEN6thrust23THRUST_200600_302600_NS16reverse_iteratorIPKiEEjNS1_16block_id_wrapperIjLb0EEEEEvT_jjPNSF_10value_typeET0_PNSt15iterator_traitsISI_E10value_typeEmT1_T2_.numbered_sgpr, 17
	.set _ZN7rocprim17ROCPRIM_400000_NS6detail30init_device_scan_by_key_kernelINS1_19lookback_scan_stateINS0_5tupleIJibEEELb0ELb1EEEN6thrust23THRUST_200600_302600_NS16reverse_iteratorIPKiEEjNS1_16block_id_wrapperIjLb0EEEEEvT_jjPNSF_10value_typeET0_PNSt15iterator_traitsISI_E10value_typeEmT1_T2_.num_named_barrier, 0
	.set _ZN7rocprim17ROCPRIM_400000_NS6detail30init_device_scan_by_key_kernelINS1_19lookback_scan_stateINS0_5tupleIJibEEELb0ELb1EEEN6thrust23THRUST_200600_302600_NS16reverse_iteratorIPKiEEjNS1_16block_id_wrapperIjLb0EEEEEvT_jjPNSF_10value_typeET0_PNSt15iterator_traitsISI_E10value_typeEmT1_T2_.private_seg_size, 0
	.set _ZN7rocprim17ROCPRIM_400000_NS6detail30init_device_scan_by_key_kernelINS1_19lookback_scan_stateINS0_5tupleIJibEEELb0ELb1EEEN6thrust23THRUST_200600_302600_NS16reverse_iteratorIPKiEEjNS1_16block_id_wrapperIjLb0EEEEEvT_jjPNSF_10value_typeET0_PNSt15iterator_traitsISI_E10value_typeEmT1_T2_.uses_vcc, 1
	.set _ZN7rocprim17ROCPRIM_400000_NS6detail30init_device_scan_by_key_kernelINS1_19lookback_scan_stateINS0_5tupleIJibEEELb0ELb1EEEN6thrust23THRUST_200600_302600_NS16reverse_iteratorIPKiEEjNS1_16block_id_wrapperIjLb0EEEEEvT_jjPNSF_10value_typeET0_PNSt15iterator_traitsISI_E10value_typeEmT1_T2_.uses_flat_scratch, 0
	.set _ZN7rocprim17ROCPRIM_400000_NS6detail30init_device_scan_by_key_kernelINS1_19lookback_scan_stateINS0_5tupleIJibEEELb0ELb1EEEN6thrust23THRUST_200600_302600_NS16reverse_iteratorIPKiEEjNS1_16block_id_wrapperIjLb0EEEEEvT_jjPNSF_10value_typeET0_PNSt15iterator_traitsISI_E10value_typeEmT1_T2_.has_dyn_sized_stack, 0
	.set _ZN7rocprim17ROCPRIM_400000_NS6detail30init_device_scan_by_key_kernelINS1_19lookback_scan_stateINS0_5tupleIJibEEELb0ELb1EEEN6thrust23THRUST_200600_302600_NS16reverse_iteratorIPKiEEjNS1_16block_id_wrapperIjLb0EEEEEvT_jjPNSF_10value_typeET0_PNSt15iterator_traitsISI_E10value_typeEmT1_T2_.has_recursion, 0
	.set _ZN7rocprim17ROCPRIM_400000_NS6detail30init_device_scan_by_key_kernelINS1_19lookback_scan_stateINS0_5tupleIJibEEELb0ELb1EEEN6thrust23THRUST_200600_302600_NS16reverse_iteratorIPKiEEjNS1_16block_id_wrapperIjLb0EEEEEvT_jjPNSF_10value_typeET0_PNSt15iterator_traitsISI_E10value_typeEmT1_T2_.has_indirect_call, 0
	.section	.AMDGPU.csdata,"",@progbits
; Kernel info:
; codeLenInByte = 728
; TotalNumSgprs: 19
; NumVgprs: 9
; ScratchSize: 0
; MemoryBound: 0
; FloatMode: 240
; IeeeMode: 1
; LDSByteSize: 0 bytes/workgroup (compile time only)
; SGPRBlocks: 0
; VGPRBlocks: 1
; NumSGPRsForWavesPerEU: 19
; NumVGPRsForWavesPerEU: 9
; Occupancy: 16
; WaveLimiterHint : 0
; COMPUTE_PGM_RSRC2:SCRATCH_EN: 0
; COMPUTE_PGM_RSRC2:USER_SGPR: 6
; COMPUTE_PGM_RSRC2:TRAP_HANDLER: 0
; COMPUTE_PGM_RSRC2:TGID_X_EN: 1
; COMPUTE_PGM_RSRC2:TGID_Y_EN: 0
; COMPUTE_PGM_RSRC2:TGID_Z_EN: 0
; COMPUTE_PGM_RSRC2:TIDIG_COMP_CNT: 0
	.section	.text._ZN7rocprim17ROCPRIM_400000_NS6detail17trampoline_kernelINS0_14default_configENS1_27scan_by_key_config_selectorIiiEEZZNS1_16scan_by_key_implILNS1_25lookback_scan_determinismE0ELb0ES3_N6thrust23THRUST_200600_302600_NS16reverse_iteratorIPKiEESD_NSA_IPiEEiN6hipcub16HIPCUB_304000_NS3MaxENSH_8EqualityEiEE10hipError_tPvRmT2_T3_T4_T5_mT6_T7_P12ihipStream_tbENKUlT_T0_E_clISt17integral_constantIbLb0EES10_EEDaSV_SW_EUlSV_E_NS1_11comp_targetILNS1_3genE0ELNS1_11target_archE4294967295ELNS1_3gpuE0ELNS1_3repE0EEENS1_30default_config_static_selectorELNS0_4arch9wavefront6targetE0EEEvT1_,"axG",@progbits,_ZN7rocprim17ROCPRIM_400000_NS6detail17trampoline_kernelINS0_14default_configENS1_27scan_by_key_config_selectorIiiEEZZNS1_16scan_by_key_implILNS1_25lookback_scan_determinismE0ELb0ES3_N6thrust23THRUST_200600_302600_NS16reverse_iteratorIPKiEESD_NSA_IPiEEiN6hipcub16HIPCUB_304000_NS3MaxENSH_8EqualityEiEE10hipError_tPvRmT2_T3_T4_T5_mT6_T7_P12ihipStream_tbENKUlT_T0_E_clISt17integral_constantIbLb0EES10_EEDaSV_SW_EUlSV_E_NS1_11comp_targetILNS1_3genE0ELNS1_11target_archE4294967295ELNS1_3gpuE0ELNS1_3repE0EEENS1_30default_config_static_selectorELNS0_4arch9wavefront6targetE0EEEvT1_,comdat
	.protected	_ZN7rocprim17ROCPRIM_400000_NS6detail17trampoline_kernelINS0_14default_configENS1_27scan_by_key_config_selectorIiiEEZZNS1_16scan_by_key_implILNS1_25lookback_scan_determinismE0ELb0ES3_N6thrust23THRUST_200600_302600_NS16reverse_iteratorIPKiEESD_NSA_IPiEEiN6hipcub16HIPCUB_304000_NS3MaxENSH_8EqualityEiEE10hipError_tPvRmT2_T3_T4_T5_mT6_T7_P12ihipStream_tbENKUlT_T0_E_clISt17integral_constantIbLb0EES10_EEDaSV_SW_EUlSV_E_NS1_11comp_targetILNS1_3genE0ELNS1_11target_archE4294967295ELNS1_3gpuE0ELNS1_3repE0EEENS1_30default_config_static_selectorELNS0_4arch9wavefront6targetE0EEEvT1_ ; -- Begin function _ZN7rocprim17ROCPRIM_400000_NS6detail17trampoline_kernelINS0_14default_configENS1_27scan_by_key_config_selectorIiiEEZZNS1_16scan_by_key_implILNS1_25lookback_scan_determinismE0ELb0ES3_N6thrust23THRUST_200600_302600_NS16reverse_iteratorIPKiEESD_NSA_IPiEEiN6hipcub16HIPCUB_304000_NS3MaxENSH_8EqualityEiEE10hipError_tPvRmT2_T3_T4_T5_mT6_T7_P12ihipStream_tbENKUlT_T0_E_clISt17integral_constantIbLb0EES10_EEDaSV_SW_EUlSV_E_NS1_11comp_targetILNS1_3genE0ELNS1_11target_archE4294967295ELNS1_3gpuE0ELNS1_3repE0EEENS1_30default_config_static_selectorELNS0_4arch9wavefront6targetE0EEEvT1_
	.globl	_ZN7rocprim17ROCPRIM_400000_NS6detail17trampoline_kernelINS0_14default_configENS1_27scan_by_key_config_selectorIiiEEZZNS1_16scan_by_key_implILNS1_25lookback_scan_determinismE0ELb0ES3_N6thrust23THRUST_200600_302600_NS16reverse_iteratorIPKiEESD_NSA_IPiEEiN6hipcub16HIPCUB_304000_NS3MaxENSH_8EqualityEiEE10hipError_tPvRmT2_T3_T4_T5_mT6_T7_P12ihipStream_tbENKUlT_T0_E_clISt17integral_constantIbLb0EES10_EEDaSV_SW_EUlSV_E_NS1_11comp_targetILNS1_3genE0ELNS1_11target_archE4294967295ELNS1_3gpuE0ELNS1_3repE0EEENS1_30default_config_static_selectorELNS0_4arch9wavefront6targetE0EEEvT1_
	.p2align	8
	.type	_ZN7rocprim17ROCPRIM_400000_NS6detail17trampoline_kernelINS0_14default_configENS1_27scan_by_key_config_selectorIiiEEZZNS1_16scan_by_key_implILNS1_25lookback_scan_determinismE0ELb0ES3_N6thrust23THRUST_200600_302600_NS16reverse_iteratorIPKiEESD_NSA_IPiEEiN6hipcub16HIPCUB_304000_NS3MaxENSH_8EqualityEiEE10hipError_tPvRmT2_T3_T4_T5_mT6_T7_P12ihipStream_tbENKUlT_T0_E_clISt17integral_constantIbLb0EES10_EEDaSV_SW_EUlSV_E_NS1_11comp_targetILNS1_3genE0ELNS1_11target_archE4294967295ELNS1_3gpuE0ELNS1_3repE0EEENS1_30default_config_static_selectorELNS0_4arch9wavefront6targetE0EEEvT1_,@function
_ZN7rocprim17ROCPRIM_400000_NS6detail17trampoline_kernelINS0_14default_configENS1_27scan_by_key_config_selectorIiiEEZZNS1_16scan_by_key_implILNS1_25lookback_scan_determinismE0ELb0ES3_N6thrust23THRUST_200600_302600_NS16reverse_iteratorIPKiEESD_NSA_IPiEEiN6hipcub16HIPCUB_304000_NS3MaxENSH_8EqualityEiEE10hipError_tPvRmT2_T3_T4_T5_mT6_T7_P12ihipStream_tbENKUlT_T0_E_clISt17integral_constantIbLb0EES10_EEDaSV_SW_EUlSV_E_NS1_11comp_targetILNS1_3genE0ELNS1_11target_archE4294967295ELNS1_3gpuE0ELNS1_3repE0EEENS1_30default_config_static_selectorELNS0_4arch9wavefront6targetE0EEEvT1_: ; @_ZN7rocprim17ROCPRIM_400000_NS6detail17trampoline_kernelINS0_14default_configENS1_27scan_by_key_config_selectorIiiEEZZNS1_16scan_by_key_implILNS1_25lookback_scan_determinismE0ELb0ES3_N6thrust23THRUST_200600_302600_NS16reverse_iteratorIPKiEESD_NSA_IPiEEiN6hipcub16HIPCUB_304000_NS3MaxENSH_8EqualityEiEE10hipError_tPvRmT2_T3_T4_T5_mT6_T7_P12ihipStream_tbENKUlT_T0_E_clISt17integral_constantIbLb0EES10_EEDaSV_SW_EUlSV_E_NS1_11comp_targetILNS1_3genE0ELNS1_11target_archE4294967295ELNS1_3gpuE0ELNS1_3repE0EEENS1_30default_config_static_selectorELNS0_4arch9wavefront6targetE0EEEvT1_
; %bb.0:
	.section	.rodata,"a",@progbits
	.p2align	6, 0x0
	.amdhsa_kernel _ZN7rocprim17ROCPRIM_400000_NS6detail17trampoline_kernelINS0_14default_configENS1_27scan_by_key_config_selectorIiiEEZZNS1_16scan_by_key_implILNS1_25lookback_scan_determinismE0ELb0ES3_N6thrust23THRUST_200600_302600_NS16reverse_iteratorIPKiEESD_NSA_IPiEEiN6hipcub16HIPCUB_304000_NS3MaxENSH_8EqualityEiEE10hipError_tPvRmT2_T3_T4_T5_mT6_T7_P12ihipStream_tbENKUlT_T0_E_clISt17integral_constantIbLb0EES10_EEDaSV_SW_EUlSV_E_NS1_11comp_targetILNS1_3genE0ELNS1_11target_archE4294967295ELNS1_3gpuE0ELNS1_3repE0EEENS1_30default_config_static_selectorELNS0_4arch9wavefront6targetE0EEEvT1_
		.amdhsa_group_segment_fixed_size 0
		.amdhsa_private_segment_fixed_size 0
		.amdhsa_kernarg_size 112
		.amdhsa_user_sgpr_count 6
		.amdhsa_user_sgpr_private_segment_buffer 1
		.amdhsa_user_sgpr_dispatch_ptr 0
		.amdhsa_user_sgpr_queue_ptr 0
		.amdhsa_user_sgpr_kernarg_segment_ptr 1
		.amdhsa_user_sgpr_dispatch_id 0
		.amdhsa_user_sgpr_flat_scratch_init 0
		.amdhsa_user_sgpr_private_segment_size 0
		.amdhsa_wavefront_size32 1
		.amdhsa_uses_dynamic_stack 0
		.amdhsa_system_sgpr_private_segment_wavefront_offset 0
		.amdhsa_system_sgpr_workgroup_id_x 1
		.amdhsa_system_sgpr_workgroup_id_y 0
		.amdhsa_system_sgpr_workgroup_id_z 0
		.amdhsa_system_sgpr_workgroup_info 0
		.amdhsa_system_vgpr_workitem_id 0
		.amdhsa_next_free_vgpr 1
		.amdhsa_next_free_sgpr 1
		.amdhsa_reserve_vcc 0
		.amdhsa_reserve_flat_scratch 0
		.amdhsa_float_round_mode_32 0
		.amdhsa_float_round_mode_16_64 0
		.amdhsa_float_denorm_mode_32 3
		.amdhsa_float_denorm_mode_16_64 3
		.amdhsa_dx10_clamp 1
		.amdhsa_ieee_mode 1
		.amdhsa_fp16_overflow 0
		.amdhsa_workgroup_processor_mode 1
		.amdhsa_memory_ordered 1
		.amdhsa_forward_progress 1
		.amdhsa_shared_vgpr_count 0
		.amdhsa_exception_fp_ieee_invalid_op 0
		.amdhsa_exception_fp_denorm_src 0
		.amdhsa_exception_fp_ieee_div_zero 0
		.amdhsa_exception_fp_ieee_overflow 0
		.amdhsa_exception_fp_ieee_underflow 0
		.amdhsa_exception_fp_ieee_inexact 0
		.amdhsa_exception_int_div_zero 0
	.end_amdhsa_kernel
	.section	.text._ZN7rocprim17ROCPRIM_400000_NS6detail17trampoline_kernelINS0_14default_configENS1_27scan_by_key_config_selectorIiiEEZZNS1_16scan_by_key_implILNS1_25lookback_scan_determinismE0ELb0ES3_N6thrust23THRUST_200600_302600_NS16reverse_iteratorIPKiEESD_NSA_IPiEEiN6hipcub16HIPCUB_304000_NS3MaxENSH_8EqualityEiEE10hipError_tPvRmT2_T3_T4_T5_mT6_T7_P12ihipStream_tbENKUlT_T0_E_clISt17integral_constantIbLb0EES10_EEDaSV_SW_EUlSV_E_NS1_11comp_targetILNS1_3genE0ELNS1_11target_archE4294967295ELNS1_3gpuE0ELNS1_3repE0EEENS1_30default_config_static_selectorELNS0_4arch9wavefront6targetE0EEEvT1_,"axG",@progbits,_ZN7rocprim17ROCPRIM_400000_NS6detail17trampoline_kernelINS0_14default_configENS1_27scan_by_key_config_selectorIiiEEZZNS1_16scan_by_key_implILNS1_25lookback_scan_determinismE0ELb0ES3_N6thrust23THRUST_200600_302600_NS16reverse_iteratorIPKiEESD_NSA_IPiEEiN6hipcub16HIPCUB_304000_NS3MaxENSH_8EqualityEiEE10hipError_tPvRmT2_T3_T4_T5_mT6_T7_P12ihipStream_tbENKUlT_T0_E_clISt17integral_constantIbLb0EES10_EEDaSV_SW_EUlSV_E_NS1_11comp_targetILNS1_3genE0ELNS1_11target_archE4294967295ELNS1_3gpuE0ELNS1_3repE0EEENS1_30default_config_static_selectorELNS0_4arch9wavefront6targetE0EEEvT1_,comdat
.Lfunc_end53:
	.size	_ZN7rocprim17ROCPRIM_400000_NS6detail17trampoline_kernelINS0_14default_configENS1_27scan_by_key_config_selectorIiiEEZZNS1_16scan_by_key_implILNS1_25lookback_scan_determinismE0ELb0ES3_N6thrust23THRUST_200600_302600_NS16reverse_iteratorIPKiEESD_NSA_IPiEEiN6hipcub16HIPCUB_304000_NS3MaxENSH_8EqualityEiEE10hipError_tPvRmT2_T3_T4_T5_mT6_T7_P12ihipStream_tbENKUlT_T0_E_clISt17integral_constantIbLb0EES10_EEDaSV_SW_EUlSV_E_NS1_11comp_targetILNS1_3genE0ELNS1_11target_archE4294967295ELNS1_3gpuE0ELNS1_3repE0EEENS1_30default_config_static_selectorELNS0_4arch9wavefront6targetE0EEEvT1_, .Lfunc_end53-_ZN7rocprim17ROCPRIM_400000_NS6detail17trampoline_kernelINS0_14default_configENS1_27scan_by_key_config_selectorIiiEEZZNS1_16scan_by_key_implILNS1_25lookback_scan_determinismE0ELb0ES3_N6thrust23THRUST_200600_302600_NS16reverse_iteratorIPKiEESD_NSA_IPiEEiN6hipcub16HIPCUB_304000_NS3MaxENSH_8EqualityEiEE10hipError_tPvRmT2_T3_T4_T5_mT6_T7_P12ihipStream_tbENKUlT_T0_E_clISt17integral_constantIbLb0EES10_EEDaSV_SW_EUlSV_E_NS1_11comp_targetILNS1_3genE0ELNS1_11target_archE4294967295ELNS1_3gpuE0ELNS1_3repE0EEENS1_30default_config_static_selectorELNS0_4arch9wavefront6targetE0EEEvT1_
                                        ; -- End function
	.set _ZN7rocprim17ROCPRIM_400000_NS6detail17trampoline_kernelINS0_14default_configENS1_27scan_by_key_config_selectorIiiEEZZNS1_16scan_by_key_implILNS1_25lookback_scan_determinismE0ELb0ES3_N6thrust23THRUST_200600_302600_NS16reverse_iteratorIPKiEESD_NSA_IPiEEiN6hipcub16HIPCUB_304000_NS3MaxENSH_8EqualityEiEE10hipError_tPvRmT2_T3_T4_T5_mT6_T7_P12ihipStream_tbENKUlT_T0_E_clISt17integral_constantIbLb0EES10_EEDaSV_SW_EUlSV_E_NS1_11comp_targetILNS1_3genE0ELNS1_11target_archE4294967295ELNS1_3gpuE0ELNS1_3repE0EEENS1_30default_config_static_selectorELNS0_4arch9wavefront6targetE0EEEvT1_.num_vgpr, 0
	.set _ZN7rocprim17ROCPRIM_400000_NS6detail17trampoline_kernelINS0_14default_configENS1_27scan_by_key_config_selectorIiiEEZZNS1_16scan_by_key_implILNS1_25lookback_scan_determinismE0ELb0ES3_N6thrust23THRUST_200600_302600_NS16reverse_iteratorIPKiEESD_NSA_IPiEEiN6hipcub16HIPCUB_304000_NS3MaxENSH_8EqualityEiEE10hipError_tPvRmT2_T3_T4_T5_mT6_T7_P12ihipStream_tbENKUlT_T0_E_clISt17integral_constantIbLb0EES10_EEDaSV_SW_EUlSV_E_NS1_11comp_targetILNS1_3genE0ELNS1_11target_archE4294967295ELNS1_3gpuE0ELNS1_3repE0EEENS1_30default_config_static_selectorELNS0_4arch9wavefront6targetE0EEEvT1_.num_agpr, 0
	.set _ZN7rocprim17ROCPRIM_400000_NS6detail17trampoline_kernelINS0_14default_configENS1_27scan_by_key_config_selectorIiiEEZZNS1_16scan_by_key_implILNS1_25lookback_scan_determinismE0ELb0ES3_N6thrust23THRUST_200600_302600_NS16reverse_iteratorIPKiEESD_NSA_IPiEEiN6hipcub16HIPCUB_304000_NS3MaxENSH_8EqualityEiEE10hipError_tPvRmT2_T3_T4_T5_mT6_T7_P12ihipStream_tbENKUlT_T0_E_clISt17integral_constantIbLb0EES10_EEDaSV_SW_EUlSV_E_NS1_11comp_targetILNS1_3genE0ELNS1_11target_archE4294967295ELNS1_3gpuE0ELNS1_3repE0EEENS1_30default_config_static_selectorELNS0_4arch9wavefront6targetE0EEEvT1_.numbered_sgpr, 0
	.set _ZN7rocprim17ROCPRIM_400000_NS6detail17trampoline_kernelINS0_14default_configENS1_27scan_by_key_config_selectorIiiEEZZNS1_16scan_by_key_implILNS1_25lookback_scan_determinismE0ELb0ES3_N6thrust23THRUST_200600_302600_NS16reverse_iteratorIPKiEESD_NSA_IPiEEiN6hipcub16HIPCUB_304000_NS3MaxENSH_8EqualityEiEE10hipError_tPvRmT2_T3_T4_T5_mT6_T7_P12ihipStream_tbENKUlT_T0_E_clISt17integral_constantIbLb0EES10_EEDaSV_SW_EUlSV_E_NS1_11comp_targetILNS1_3genE0ELNS1_11target_archE4294967295ELNS1_3gpuE0ELNS1_3repE0EEENS1_30default_config_static_selectorELNS0_4arch9wavefront6targetE0EEEvT1_.num_named_barrier, 0
	.set _ZN7rocprim17ROCPRIM_400000_NS6detail17trampoline_kernelINS0_14default_configENS1_27scan_by_key_config_selectorIiiEEZZNS1_16scan_by_key_implILNS1_25lookback_scan_determinismE0ELb0ES3_N6thrust23THRUST_200600_302600_NS16reverse_iteratorIPKiEESD_NSA_IPiEEiN6hipcub16HIPCUB_304000_NS3MaxENSH_8EqualityEiEE10hipError_tPvRmT2_T3_T4_T5_mT6_T7_P12ihipStream_tbENKUlT_T0_E_clISt17integral_constantIbLb0EES10_EEDaSV_SW_EUlSV_E_NS1_11comp_targetILNS1_3genE0ELNS1_11target_archE4294967295ELNS1_3gpuE0ELNS1_3repE0EEENS1_30default_config_static_selectorELNS0_4arch9wavefront6targetE0EEEvT1_.private_seg_size, 0
	.set _ZN7rocprim17ROCPRIM_400000_NS6detail17trampoline_kernelINS0_14default_configENS1_27scan_by_key_config_selectorIiiEEZZNS1_16scan_by_key_implILNS1_25lookback_scan_determinismE0ELb0ES3_N6thrust23THRUST_200600_302600_NS16reverse_iteratorIPKiEESD_NSA_IPiEEiN6hipcub16HIPCUB_304000_NS3MaxENSH_8EqualityEiEE10hipError_tPvRmT2_T3_T4_T5_mT6_T7_P12ihipStream_tbENKUlT_T0_E_clISt17integral_constantIbLb0EES10_EEDaSV_SW_EUlSV_E_NS1_11comp_targetILNS1_3genE0ELNS1_11target_archE4294967295ELNS1_3gpuE0ELNS1_3repE0EEENS1_30default_config_static_selectorELNS0_4arch9wavefront6targetE0EEEvT1_.uses_vcc, 0
	.set _ZN7rocprim17ROCPRIM_400000_NS6detail17trampoline_kernelINS0_14default_configENS1_27scan_by_key_config_selectorIiiEEZZNS1_16scan_by_key_implILNS1_25lookback_scan_determinismE0ELb0ES3_N6thrust23THRUST_200600_302600_NS16reverse_iteratorIPKiEESD_NSA_IPiEEiN6hipcub16HIPCUB_304000_NS3MaxENSH_8EqualityEiEE10hipError_tPvRmT2_T3_T4_T5_mT6_T7_P12ihipStream_tbENKUlT_T0_E_clISt17integral_constantIbLb0EES10_EEDaSV_SW_EUlSV_E_NS1_11comp_targetILNS1_3genE0ELNS1_11target_archE4294967295ELNS1_3gpuE0ELNS1_3repE0EEENS1_30default_config_static_selectorELNS0_4arch9wavefront6targetE0EEEvT1_.uses_flat_scratch, 0
	.set _ZN7rocprim17ROCPRIM_400000_NS6detail17trampoline_kernelINS0_14default_configENS1_27scan_by_key_config_selectorIiiEEZZNS1_16scan_by_key_implILNS1_25lookback_scan_determinismE0ELb0ES3_N6thrust23THRUST_200600_302600_NS16reverse_iteratorIPKiEESD_NSA_IPiEEiN6hipcub16HIPCUB_304000_NS3MaxENSH_8EqualityEiEE10hipError_tPvRmT2_T3_T4_T5_mT6_T7_P12ihipStream_tbENKUlT_T0_E_clISt17integral_constantIbLb0EES10_EEDaSV_SW_EUlSV_E_NS1_11comp_targetILNS1_3genE0ELNS1_11target_archE4294967295ELNS1_3gpuE0ELNS1_3repE0EEENS1_30default_config_static_selectorELNS0_4arch9wavefront6targetE0EEEvT1_.has_dyn_sized_stack, 0
	.set _ZN7rocprim17ROCPRIM_400000_NS6detail17trampoline_kernelINS0_14default_configENS1_27scan_by_key_config_selectorIiiEEZZNS1_16scan_by_key_implILNS1_25lookback_scan_determinismE0ELb0ES3_N6thrust23THRUST_200600_302600_NS16reverse_iteratorIPKiEESD_NSA_IPiEEiN6hipcub16HIPCUB_304000_NS3MaxENSH_8EqualityEiEE10hipError_tPvRmT2_T3_T4_T5_mT6_T7_P12ihipStream_tbENKUlT_T0_E_clISt17integral_constantIbLb0EES10_EEDaSV_SW_EUlSV_E_NS1_11comp_targetILNS1_3genE0ELNS1_11target_archE4294967295ELNS1_3gpuE0ELNS1_3repE0EEENS1_30default_config_static_selectorELNS0_4arch9wavefront6targetE0EEEvT1_.has_recursion, 0
	.set _ZN7rocprim17ROCPRIM_400000_NS6detail17trampoline_kernelINS0_14default_configENS1_27scan_by_key_config_selectorIiiEEZZNS1_16scan_by_key_implILNS1_25lookback_scan_determinismE0ELb0ES3_N6thrust23THRUST_200600_302600_NS16reverse_iteratorIPKiEESD_NSA_IPiEEiN6hipcub16HIPCUB_304000_NS3MaxENSH_8EqualityEiEE10hipError_tPvRmT2_T3_T4_T5_mT6_T7_P12ihipStream_tbENKUlT_T0_E_clISt17integral_constantIbLb0EES10_EEDaSV_SW_EUlSV_E_NS1_11comp_targetILNS1_3genE0ELNS1_11target_archE4294967295ELNS1_3gpuE0ELNS1_3repE0EEENS1_30default_config_static_selectorELNS0_4arch9wavefront6targetE0EEEvT1_.has_indirect_call, 0
	.section	.AMDGPU.csdata,"",@progbits
; Kernel info:
; codeLenInByte = 0
; TotalNumSgprs: 0
; NumVgprs: 0
; ScratchSize: 0
; MemoryBound: 0
; FloatMode: 240
; IeeeMode: 1
; LDSByteSize: 0 bytes/workgroup (compile time only)
; SGPRBlocks: 0
; VGPRBlocks: 0
; NumSGPRsForWavesPerEU: 1
; NumVGPRsForWavesPerEU: 1
; Occupancy: 16
; WaveLimiterHint : 0
; COMPUTE_PGM_RSRC2:SCRATCH_EN: 0
; COMPUTE_PGM_RSRC2:USER_SGPR: 6
; COMPUTE_PGM_RSRC2:TRAP_HANDLER: 0
; COMPUTE_PGM_RSRC2:TGID_X_EN: 1
; COMPUTE_PGM_RSRC2:TGID_Y_EN: 0
; COMPUTE_PGM_RSRC2:TGID_Z_EN: 0
; COMPUTE_PGM_RSRC2:TIDIG_COMP_CNT: 0
	.section	.text._ZN7rocprim17ROCPRIM_400000_NS6detail17trampoline_kernelINS0_14default_configENS1_27scan_by_key_config_selectorIiiEEZZNS1_16scan_by_key_implILNS1_25lookback_scan_determinismE0ELb0ES3_N6thrust23THRUST_200600_302600_NS16reverse_iteratorIPKiEESD_NSA_IPiEEiN6hipcub16HIPCUB_304000_NS3MaxENSH_8EqualityEiEE10hipError_tPvRmT2_T3_T4_T5_mT6_T7_P12ihipStream_tbENKUlT_T0_E_clISt17integral_constantIbLb0EES10_EEDaSV_SW_EUlSV_E_NS1_11comp_targetILNS1_3genE10ELNS1_11target_archE1201ELNS1_3gpuE5ELNS1_3repE0EEENS1_30default_config_static_selectorELNS0_4arch9wavefront6targetE0EEEvT1_,"axG",@progbits,_ZN7rocprim17ROCPRIM_400000_NS6detail17trampoline_kernelINS0_14default_configENS1_27scan_by_key_config_selectorIiiEEZZNS1_16scan_by_key_implILNS1_25lookback_scan_determinismE0ELb0ES3_N6thrust23THRUST_200600_302600_NS16reverse_iteratorIPKiEESD_NSA_IPiEEiN6hipcub16HIPCUB_304000_NS3MaxENSH_8EqualityEiEE10hipError_tPvRmT2_T3_T4_T5_mT6_T7_P12ihipStream_tbENKUlT_T0_E_clISt17integral_constantIbLb0EES10_EEDaSV_SW_EUlSV_E_NS1_11comp_targetILNS1_3genE10ELNS1_11target_archE1201ELNS1_3gpuE5ELNS1_3repE0EEENS1_30default_config_static_selectorELNS0_4arch9wavefront6targetE0EEEvT1_,comdat
	.protected	_ZN7rocprim17ROCPRIM_400000_NS6detail17trampoline_kernelINS0_14default_configENS1_27scan_by_key_config_selectorIiiEEZZNS1_16scan_by_key_implILNS1_25lookback_scan_determinismE0ELb0ES3_N6thrust23THRUST_200600_302600_NS16reverse_iteratorIPKiEESD_NSA_IPiEEiN6hipcub16HIPCUB_304000_NS3MaxENSH_8EqualityEiEE10hipError_tPvRmT2_T3_T4_T5_mT6_T7_P12ihipStream_tbENKUlT_T0_E_clISt17integral_constantIbLb0EES10_EEDaSV_SW_EUlSV_E_NS1_11comp_targetILNS1_3genE10ELNS1_11target_archE1201ELNS1_3gpuE5ELNS1_3repE0EEENS1_30default_config_static_selectorELNS0_4arch9wavefront6targetE0EEEvT1_ ; -- Begin function _ZN7rocprim17ROCPRIM_400000_NS6detail17trampoline_kernelINS0_14default_configENS1_27scan_by_key_config_selectorIiiEEZZNS1_16scan_by_key_implILNS1_25lookback_scan_determinismE0ELb0ES3_N6thrust23THRUST_200600_302600_NS16reverse_iteratorIPKiEESD_NSA_IPiEEiN6hipcub16HIPCUB_304000_NS3MaxENSH_8EqualityEiEE10hipError_tPvRmT2_T3_T4_T5_mT6_T7_P12ihipStream_tbENKUlT_T0_E_clISt17integral_constantIbLb0EES10_EEDaSV_SW_EUlSV_E_NS1_11comp_targetILNS1_3genE10ELNS1_11target_archE1201ELNS1_3gpuE5ELNS1_3repE0EEENS1_30default_config_static_selectorELNS0_4arch9wavefront6targetE0EEEvT1_
	.globl	_ZN7rocprim17ROCPRIM_400000_NS6detail17trampoline_kernelINS0_14default_configENS1_27scan_by_key_config_selectorIiiEEZZNS1_16scan_by_key_implILNS1_25lookback_scan_determinismE0ELb0ES3_N6thrust23THRUST_200600_302600_NS16reverse_iteratorIPKiEESD_NSA_IPiEEiN6hipcub16HIPCUB_304000_NS3MaxENSH_8EqualityEiEE10hipError_tPvRmT2_T3_T4_T5_mT6_T7_P12ihipStream_tbENKUlT_T0_E_clISt17integral_constantIbLb0EES10_EEDaSV_SW_EUlSV_E_NS1_11comp_targetILNS1_3genE10ELNS1_11target_archE1201ELNS1_3gpuE5ELNS1_3repE0EEENS1_30default_config_static_selectorELNS0_4arch9wavefront6targetE0EEEvT1_
	.p2align	8
	.type	_ZN7rocprim17ROCPRIM_400000_NS6detail17trampoline_kernelINS0_14default_configENS1_27scan_by_key_config_selectorIiiEEZZNS1_16scan_by_key_implILNS1_25lookback_scan_determinismE0ELb0ES3_N6thrust23THRUST_200600_302600_NS16reverse_iteratorIPKiEESD_NSA_IPiEEiN6hipcub16HIPCUB_304000_NS3MaxENSH_8EqualityEiEE10hipError_tPvRmT2_T3_T4_T5_mT6_T7_P12ihipStream_tbENKUlT_T0_E_clISt17integral_constantIbLb0EES10_EEDaSV_SW_EUlSV_E_NS1_11comp_targetILNS1_3genE10ELNS1_11target_archE1201ELNS1_3gpuE5ELNS1_3repE0EEENS1_30default_config_static_selectorELNS0_4arch9wavefront6targetE0EEEvT1_,@function
_ZN7rocprim17ROCPRIM_400000_NS6detail17trampoline_kernelINS0_14default_configENS1_27scan_by_key_config_selectorIiiEEZZNS1_16scan_by_key_implILNS1_25lookback_scan_determinismE0ELb0ES3_N6thrust23THRUST_200600_302600_NS16reverse_iteratorIPKiEESD_NSA_IPiEEiN6hipcub16HIPCUB_304000_NS3MaxENSH_8EqualityEiEE10hipError_tPvRmT2_T3_T4_T5_mT6_T7_P12ihipStream_tbENKUlT_T0_E_clISt17integral_constantIbLb0EES10_EEDaSV_SW_EUlSV_E_NS1_11comp_targetILNS1_3genE10ELNS1_11target_archE1201ELNS1_3gpuE5ELNS1_3repE0EEENS1_30default_config_static_selectorELNS0_4arch9wavefront6targetE0EEEvT1_: ; @_ZN7rocprim17ROCPRIM_400000_NS6detail17trampoline_kernelINS0_14default_configENS1_27scan_by_key_config_selectorIiiEEZZNS1_16scan_by_key_implILNS1_25lookback_scan_determinismE0ELb0ES3_N6thrust23THRUST_200600_302600_NS16reverse_iteratorIPKiEESD_NSA_IPiEEiN6hipcub16HIPCUB_304000_NS3MaxENSH_8EqualityEiEE10hipError_tPvRmT2_T3_T4_T5_mT6_T7_P12ihipStream_tbENKUlT_T0_E_clISt17integral_constantIbLb0EES10_EEDaSV_SW_EUlSV_E_NS1_11comp_targetILNS1_3genE10ELNS1_11target_archE1201ELNS1_3gpuE5ELNS1_3repE0EEENS1_30default_config_static_selectorELNS0_4arch9wavefront6targetE0EEEvT1_
; %bb.0:
	.section	.rodata,"a",@progbits
	.p2align	6, 0x0
	.amdhsa_kernel _ZN7rocprim17ROCPRIM_400000_NS6detail17trampoline_kernelINS0_14default_configENS1_27scan_by_key_config_selectorIiiEEZZNS1_16scan_by_key_implILNS1_25lookback_scan_determinismE0ELb0ES3_N6thrust23THRUST_200600_302600_NS16reverse_iteratorIPKiEESD_NSA_IPiEEiN6hipcub16HIPCUB_304000_NS3MaxENSH_8EqualityEiEE10hipError_tPvRmT2_T3_T4_T5_mT6_T7_P12ihipStream_tbENKUlT_T0_E_clISt17integral_constantIbLb0EES10_EEDaSV_SW_EUlSV_E_NS1_11comp_targetILNS1_3genE10ELNS1_11target_archE1201ELNS1_3gpuE5ELNS1_3repE0EEENS1_30default_config_static_selectorELNS0_4arch9wavefront6targetE0EEEvT1_
		.amdhsa_group_segment_fixed_size 0
		.amdhsa_private_segment_fixed_size 0
		.amdhsa_kernarg_size 112
		.amdhsa_user_sgpr_count 6
		.amdhsa_user_sgpr_private_segment_buffer 1
		.amdhsa_user_sgpr_dispatch_ptr 0
		.amdhsa_user_sgpr_queue_ptr 0
		.amdhsa_user_sgpr_kernarg_segment_ptr 1
		.amdhsa_user_sgpr_dispatch_id 0
		.amdhsa_user_sgpr_flat_scratch_init 0
		.amdhsa_user_sgpr_private_segment_size 0
		.amdhsa_wavefront_size32 1
		.amdhsa_uses_dynamic_stack 0
		.amdhsa_system_sgpr_private_segment_wavefront_offset 0
		.amdhsa_system_sgpr_workgroup_id_x 1
		.amdhsa_system_sgpr_workgroup_id_y 0
		.amdhsa_system_sgpr_workgroup_id_z 0
		.amdhsa_system_sgpr_workgroup_info 0
		.amdhsa_system_vgpr_workitem_id 0
		.amdhsa_next_free_vgpr 1
		.amdhsa_next_free_sgpr 1
		.amdhsa_reserve_vcc 0
		.amdhsa_reserve_flat_scratch 0
		.amdhsa_float_round_mode_32 0
		.amdhsa_float_round_mode_16_64 0
		.amdhsa_float_denorm_mode_32 3
		.amdhsa_float_denorm_mode_16_64 3
		.amdhsa_dx10_clamp 1
		.amdhsa_ieee_mode 1
		.amdhsa_fp16_overflow 0
		.amdhsa_workgroup_processor_mode 1
		.amdhsa_memory_ordered 1
		.amdhsa_forward_progress 1
		.amdhsa_shared_vgpr_count 0
		.amdhsa_exception_fp_ieee_invalid_op 0
		.amdhsa_exception_fp_denorm_src 0
		.amdhsa_exception_fp_ieee_div_zero 0
		.amdhsa_exception_fp_ieee_overflow 0
		.amdhsa_exception_fp_ieee_underflow 0
		.amdhsa_exception_fp_ieee_inexact 0
		.amdhsa_exception_int_div_zero 0
	.end_amdhsa_kernel
	.section	.text._ZN7rocprim17ROCPRIM_400000_NS6detail17trampoline_kernelINS0_14default_configENS1_27scan_by_key_config_selectorIiiEEZZNS1_16scan_by_key_implILNS1_25lookback_scan_determinismE0ELb0ES3_N6thrust23THRUST_200600_302600_NS16reverse_iteratorIPKiEESD_NSA_IPiEEiN6hipcub16HIPCUB_304000_NS3MaxENSH_8EqualityEiEE10hipError_tPvRmT2_T3_T4_T5_mT6_T7_P12ihipStream_tbENKUlT_T0_E_clISt17integral_constantIbLb0EES10_EEDaSV_SW_EUlSV_E_NS1_11comp_targetILNS1_3genE10ELNS1_11target_archE1201ELNS1_3gpuE5ELNS1_3repE0EEENS1_30default_config_static_selectorELNS0_4arch9wavefront6targetE0EEEvT1_,"axG",@progbits,_ZN7rocprim17ROCPRIM_400000_NS6detail17trampoline_kernelINS0_14default_configENS1_27scan_by_key_config_selectorIiiEEZZNS1_16scan_by_key_implILNS1_25lookback_scan_determinismE0ELb0ES3_N6thrust23THRUST_200600_302600_NS16reverse_iteratorIPKiEESD_NSA_IPiEEiN6hipcub16HIPCUB_304000_NS3MaxENSH_8EqualityEiEE10hipError_tPvRmT2_T3_T4_T5_mT6_T7_P12ihipStream_tbENKUlT_T0_E_clISt17integral_constantIbLb0EES10_EEDaSV_SW_EUlSV_E_NS1_11comp_targetILNS1_3genE10ELNS1_11target_archE1201ELNS1_3gpuE5ELNS1_3repE0EEENS1_30default_config_static_selectorELNS0_4arch9wavefront6targetE0EEEvT1_,comdat
.Lfunc_end54:
	.size	_ZN7rocprim17ROCPRIM_400000_NS6detail17trampoline_kernelINS0_14default_configENS1_27scan_by_key_config_selectorIiiEEZZNS1_16scan_by_key_implILNS1_25lookback_scan_determinismE0ELb0ES3_N6thrust23THRUST_200600_302600_NS16reverse_iteratorIPKiEESD_NSA_IPiEEiN6hipcub16HIPCUB_304000_NS3MaxENSH_8EqualityEiEE10hipError_tPvRmT2_T3_T4_T5_mT6_T7_P12ihipStream_tbENKUlT_T0_E_clISt17integral_constantIbLb0EES10_EEDaSV_SW_EUlSV_E_NS1_11comp_targetILNS1_3genE10ELNS1_11target_archE1201ELNS1_3gpuE5ELNS1_3repE0EEENS1_30default_config_static_selectorELNS0_4arch9wavefront6targetE0EEEvT1_, .Lfunc_end54-_ZN7rocprim17ROCPRIM_400000_NS6detail17trampoline_kernelINS0_14default_configENS1_27scan_by_key_config_selectorIiiEEZZNS1_16scan_by_key_implILNS1_25lookback_scan_determinismE0ELb0ES3_N6thrust23THRUST_200600_302600_NS16reverse_iteratorIPKiEESD_NSA_IPiEEiN6hipcub16HIPCUB_304000_NS3MaxENSH_8EqualityEiEE10hipError_tPvRmT2_T3_T4_T5_mT6_T7_P12ihipStream_tbENKUlT_T0_E_clISt17integral_constantIbLb0EES10_EEDaSV_SW_EUlSV_E_NS1_11comp_targetILNS1_3genE10ELNS1_11target_archE1201ELNS1_3gpuE5ELNS1_3repE0EEENS1_30default_config_static_selectorELNS0_4arch9wavefront6targetE0EEEvT1_
                                        ; -- End function
	.set _ZN7rocprim17ROCPRIM_400000_NS6detail17trampoline_kernelINS0_14default_configENS1_27scan_by_key_config_selectorIiiEEZZNS1_16scan_by_key_implILNS1_25lookback_scan_determinismE0ELb0ES3_N6thrust23THRUST_200600_302600_NS16reverse_iteratorIPKiEESD_NSA_IPiEEiN6hipcub16HIPCUB_304000_NS3MaxENSH_8EqualityEiEE10hipError_tPvRmT2_T3_T4_T5_mT6_T7_P12ihipStream_tbENKUlT_T0_E_clISt17integral_constantIbLb0EES10_EEDaSV_SW_EUlSV_E_NS1_11comp_targetILNS1_3genE10ELNS1_11target_archE1201ELNS1_3gpuE5ELNS1_3repE0EEENS1_30default_config_static_selectorELNS0_4arch9wavefront6targetE0EEEvT1_.num_vgpr, 0
	.set _ZN7rocprim17ROCPRIM_400000_NS6detail17trampoline_kernelINS0_14default_configENS1_27scan_by_key_config_selectorIiiEEZZNS1_16scan_by_key_implILNS1_25lookback_scan_determinismE0ELb0ES3_N6thrust23THRUST_200600_302600_NS16reverse_iteratorIPKiEESD_NSA_IPiEEiN6hipcub16HIPCUB_304000_NS3MaxENSH_8EqualityEiEE10hipError_tPvRmT2_T3_T4_T5_mT6_T7_P12ihipStream_tbENKUlT_T0_E_clISt17integral_constantIbLb0EES10_EEDaSV_SW_EUlSV_E_NS1_11comp_targetILNS1_3genE10ELNS1_11target_archE1201ELNS1_3gpuE5ELNS1_3repE0EEENS1_30default_config_static_selectorELNS0_4arch9wavefront6targetE0EEEvT1_.num_agpr, 0
	.set _ZN7rocprim17ROCPRIM_400000_NS6detail17trampoline_kernelINS0_14default_configENS1_27scan_by_key_config_selectorIiiEEZZNS1_16scan_by_key_implILNS1_25lookback_scan_determinismE0ELb0ES3_N6thrust23THRUST_200600_302600_NS16reverse_iteratorIPKiEESD_NSA_IPiEEiN6hipcub16HIPCUB_304000_NS3MaxENSH_8EqualityEiEE10hipError_tPvRmT2_T3_T4_T5_mT6_T7_P12ihipStream_tbENKUlT_T0_E_clISt17integral_constantIbLb0EES10_EEDaSV_SW_EUlSV_E_NS1_11comp_targetILNS1_3genE10ELNS1_11target_archE1201ELNS1_3gpuE5ELNS1_3repE0EEENS1_30default_config_static_selectorELNS0_4arch9wavefront6targetE0EEEvT1_.numbered_sgpr, 0
	.set _ZN7rocprim17ROCPRIM_400000_NS6detail17trampoline_kernelINS0_14default_configENS1_27scan_by_key_config_selectorIiiEEZZNS1_16scan_by_key_implILNS1_25lookback_scan_determinismE0ELb0ES3_N6thrust23THRUST_200600_302600_NS16reverse_iteratorIPKiEESD_NSA_IPiEEiN6hipcub16HIPCUB_304000_NS3MaxENSH_8EqualityEiEE10hipError_tPvRmT2_T3_T4_T5_mT6_T7_P12ihipStream_tbENKUlT_T0_E_clISt17integral_constantIbLb0EES10_EEDaSV_SW_EUlSV_E_NS1_11comp_targetILNS1_3genE10ELNS1_11target_archE1201ELNS1_3gpuE5ELNS1_3repE0EEENS1_30default_config_static_selectorELNS0_4arch9wavefront6targetE0EEEvT1_.num_named_barrier, 0
	.set _ZN7rocprim17ROCPRIM_400000_NS6detail17trampoline_kernelINS0_14default_configENS1_27scan_by_key_config_selectorIiiEEZZNS1_16scan_by_key_implILNS1_25lookback_scan_determinismE0ELb0ES3_N6thrust23THRUST_200600_302600_NS16reverse_iteratorIPKiEESD_NSA_IPiEEiN6hipcub16HIPCUB_304000_NS3MaxENSH_8EqualityEiEE10hipError_tPvRmT2_T3_T4_T5_mT6_T7_P12ihipStream_tbENKUlT_T0_E_clISt17integral_constantIbLb0EES10_EEDaSV_SW_EUlSV_E_NS1_11comp_targetILNS1_3genE10ELNS1_11target_archE1201ELNS1_3gpuE5ELNS1_3repE0EEENS1_30default_config_static_selectorELNS0_4arch9wavefront6targetE0EEEvT1_.private_seg_size, 0
	.set _ZN7rocprim17ROCPRIM_400000_NS6detail17trampoline_kernelINS0_14default_configENS1_27scan_by_key_config_selectorIiiEEZZNS1_16scan_by_key_implILNS1_25lookback_scan_determinismE0ELb0ES3_N6thrust23THRUST_200600_302600_NS16reverse_iteratorIPKiEESD_NSA_IPiEEiN6hipcub16HIPCUB_304000_NS3MaxENSH_8EqualityEiEE10hipError_tPvRmT2_T3_T4_T5_mT6_T7_P12ihipStream_tbENKUlT_T0_E_clISt17integral_constantIbLb0EES10_EEDaSV_SW_EUlSV_E_NS1_11comp_targetILNS1_3genE10ELNS1_11target_archE1201ELNS1_3gpuE5ELNS1_3repE0EEENS1_30default_config_static_selectorELNS0_4arch9wavefront6targetE0EEEvT1_.uses_vcc, 0
	.set _ZN7rocprim17ROCPRIM_400000_NS6detail17trampoline_kernelINS0_14default_configENS1_27scan_by_key_config_selectorIiiEEZZNS1_16scan_by_key_implILNS1_25lookback_scan_determinismE0ELb0ES3_N6thrust23THRUST_200600_302600_NS16reverse_iteratorIPKiEESD_NSA_IPiEEiN6hipcub16HIPCUB_304000_NS3MaxENSH_8EqualityEiEE10hipError_tPvRmT2_T3_T4_T5_mT6_T7_P12ihipStream_tbENKUlT_T0_E_clISt17integral_constantIbLb0EES10_EEDaSV_SW_EUlSV_E_NS1_11comp_targetILNS1_3genE10ELNS1_11target_archE1201ELNS1_3gpuE5ELNS1_3repE0EEENS1_30default_config_static_selectorELNS0_4arch9wavefront6targetE0EEEvT1_.uses_flat_scratch, 0
	.set _ZN7rocprim17ROCPRIM_400000_NS6detail17trampoline_kernelINS0_14default_configENS1_27scan_by_key_config_selectorIiiEEZZNS1_16scan_by_key_implILNS1_25lookback_scan_determinismE0ELb0ES3_N6thrust23THRUST_200600_302600_NS16reverse_iteratorIPKiEESD_NSA_IPiEEiN6hipcub16HIPCUB_304000_NS3MaxENSH_8EqualityEiEE10hipError_tPvRmT2_T3_T4_T5_mT6_T7_P12ihipStream_tbENKUlT_T0_E_clISt17integral_constantIbLb0EES10_EEDaSV_SW_EUlSV_E_NS1_11comp_targetILNS1_3genE10ELNS1_11target_archE1201ELNS1_3gpuE5ELNS1_3repE0EEENS1_30default_config_static_selectorELNS0_4arch9wavefront6targetE0EEEvT1_.has_dyn_sized_stack, 0
	.set _ZN7rocprim17ROCPRIM_400000_NS6detail17trampoline_kernelINS0_14default_configENS1_27scan_by_key_config_selectorIiiEEZZNS1_16scan_by_key_implILNS1_25lookback_scan_determinismE0ELb0ES3_N6thrust23THRUST_200600_302600_NS16reverse_iteratorIPKiEESD_NSA_IPiEEiN6hipcub16HIPCUB_304000_NS3MaxENSH_8EqualityEiEE10hipError_tPvRmT2_T3_T4_T5_mT6_T7_P12ihipStream_tbENKUlT_T0_E_clISt17integral_constantIbLb0EES10_EEDaSV_SW_EUlSV_E_NS1_11comp_targetILNS1_3genE10ELNS1_11target_archE1201ELNS1_3gpuE5ELNS1_3repE0EEENS1_30default_config_static_selectorELNS0_4arch9wavefront6targetE0EEEvT1_.has_recursion, 0
	.set _ZN7rocprim17ROCPRIM_400000_NS6detail17trampoline_kernelINS0_14default_configENS1_27scan_by_key_config_selectorIiiEEZZNS1_16scan_by_key_implILNS1_25lookback_scan_determinismE0ELb0ES3_N6thrust23THRUST_200600_302600_NS16reverse_iteratorIPKiEESD_NSA_IPiEEiN6hipcub16HIPCUB_304000_NS3MaxENSH_8EqualityEiEE10hipError_tPvRmT2_T3_T4_T5_mT6_T7_P12ihipStream_tbENKUlT_T0_E_clISt17integral_constantIbLb0EES10_EEDaSV_SW_EUlSV_E_NS1_11comp_targetILNS1_3genE10ELNS1_11target_archE1201ELNS1_3gpuE5ELNS1_3repE0EEENS1_30default_config_static_selectorELNS0_4arch9wavefront6targetE0EEEvT1_.has_indirect_call, 0
	.section	.AMDGPU.csdata,"",@progbits
; Kernel info:
; codeLenInByte = 0
; TotalNumSgprs: 0
; NumVgprs: 0
; ScratchSize: 0
; MemoryBound: 0
; FloatMode: 240
; IeeeMode: 1
; LDSByteSize: 0 bytes/workgroup (compile time only)
; SGPRBlocks: 0
; VGPRBlocks: 0
; NumSGPRsForWavesPerEU: 1
; NumVGPRsForWavesPerEU: 1
; Occupancy: 16
; WaveLimiterHint : 0
; COMPUTE_PGM_RSRC2:SCRATCH_EN: 0
; COMPUTE_PGM_RSRC2:USER_SGPR: 6
; COMPUTE_PGM_RSRC2:TRAP_HANDLER: 0
; COMPUTE_PGM_RSRC2:TGID_X_EN: 1
; COMPUTE_PGM_RSRC2:TGID_Y_EN: 0
; COMPUTE_PGM_RSRC2:TGID_Z_EN: 0
; COMPUTE_PGM_RSRC2:TIDIG_COMP_CNT: 0
	.section	.text._ZN7rocprim17ROCPRIM_400000_NS6detail17trampoline_kernelINS0_14default_configENS1_27scan_by_key_config_selectorIiiEEZZNS1_16scan_by_key_implILNS1_25lookback_scan_determinismE0ELb0ES3_N6thrust23THRUST_200600_302600_NS16reverse_iteratorIPKiEESD_NSA_IPiEEiN6hipcub16HIPCUB_304000_NS3MaxENSH_8EqualityEiEE10hipError_tPvRmT2_T3_T4_T5_mT6_T7_P12ihipStream_tbENKUlT_T0_E_clISt17integral_constantIbLb0EES10_EEDaSV_SW_EUlSV_E_NS1_11comp_targetILNS1_3genE5ELNS1_11target_archE942ELNS1_3gpuE9ELNS1_3repE0EEENS1_30default_config_static_selectorELNS0_4arch9wavefront6targetE0EEEvT1_,"axG",@progbits,_ZN7rocprim17ROCPRIM_400000_NS6detail17trampoline_kernelINS0_14default_configENS1_27scan_by_key_config_selectorIiiEEZZNS1_16scan_by_key_implILNS1_25lookback_scan_determinismE0ELb0ES3_N6thrust23THRUST_200600_302600_NS16reverse_iteratorIPKiEESD_NSA_IPiEEiN6hipcub16HIPCUB_304000_NS3MaxENSH_8EqualityEiEE10hipError_tPvRmT2_T3_T4_T5_mT6_T7_P12ihipStream_tbENKUlT_T0_E_clISt17integral_constantIbLb0EES10_EEDaSV_SW_EUlSV_E_NS1_11comp_targetILNS1_3genE5ELNS1_11target_archE942ELNS1_3gpuE9ELNS1_3repE0EEENS1_30default_config_static_selectorELNS0_4arch9wavefront6targetE0EEEvT1_,comdat
	.protected	_ZN7rocprim17ROCPRIM_400000_NS6detail17trampoline_kernelINS0_14default_configENS1_27scan_by_key_config_selectorIiiEEZZNS1_16scan_by_key_implILNS1_25lookback_scan_determinismE0ELb0ES3_N6thrust23THRUST_200600_302600_NS16reverse_iteratorIPKiEESD_NSA_IPiEEiN6hipcub16HIPCUB_304000_NS3MaxENSH_8EqualityEiEE10hipError_tPvRmT2_T3_T4_T5_mT6_T7_P12ihipStream_tbENKUlT_T0_E_clISt17integral_constantIbLb0EES10_EEDaSV_SW_EUlSV_E_NS1_11comp_targetILNS1_3genE5ELNS1_11target_archE942ELNS1_3gpuE9ELNS1_3repE0EEENS1_30default_config_static_selectorELNS0_4arch9wavefront6targetE0EEEvT1_ ; -- Begin function _ZN7rocprim17ROCPRIM_400000_NS6detail17trampoline_kernelINS0_14default_configENS1_27scan_by_key_config_selectorIiiEEZZNS1_16scan_by_key_implILNS1_25lookback_scan_determinismE0ELb0ES3_N6thrust23THRUST_200600_302600_NS16reverse_iteratorIPKiEESD_NSA_IPiEEiN6hipcub16HIPCUB_304000_NS3MaxENSH_8EqualityEiEE10hipError_tPvRmT2_T3_T4_T5_mT6_T7_P12ihipStream_tbENKUlT_T0_E_clISt17integral_constantIbLb0EES10_EEDaSV_SW_EUlSV_E_NS1_11comp_targetILNS1_3genE5ELNS1_11target_archE942ELNS1_3gpuE9ELNS1_3repE0EEENS1_30default_config_static_selectorELNS0_4arch9wavefront6targetE0EEEvT1_
	.globl	_ZN7rocprim17ROCPRIM_400000_NS6detail17trampoline_kernelINS0_14default_configENS1_27scan_by_key_config_selectorIiiEEZZNS1_16scan_by_key_implILNS1_25lookback_scan_determinismE0ELb0ES3_N6thrust23THRUST_200600_302600_NS16reverse_iteratorIPKiEESD_NSA_IPiEEiN6hipcub16HIPCUB_304000_NS3MaxENSH_8EqualityEiEE10hipError_tPvRmT2_T3_T4_T5_mT6_T7_P12ihipStream_tbENKUlT_T0_E_clISt17integral_constantIbLb0EES10_EEDaSV_SW_EUlSV_E_NS1_11comp_targetILNS1_3genE5ELNS1_11target_archE942ELNS1_3gpuE9ELNS1_3repE0EEENS1_30default_config_static_selectorELNS0_4arch9wavefront6targetE0EEEvT1_
	.p2align	8
	.type	_ZN7rocprim17ROCPRIM_400000_NS6detail17trampoline_kernelINS0_14default_configENS1_27scan_by_key_config_selectorIiiEEZZNS1_16scan_by_key_implILNS1_25lookback_scan_determinismE0ELb0ES3_N6thrust23THRUST_200600_302600_NS16reverse_iteratorIPKiEESD_NSA_IPiEEiN6hipcub16HIPCUB_304000_NS3MaxENSH_8EqualityEiEE10hipError_tPvRmT2_T3_T4_T5_mT6_T7_P12ihipStream_tbENKUlT_T0_E_clISt17integral_constantIbLb0EES10_EEDaSV_SW_EUlSV_E_NS1_11comp_targetILNS1_3genE5ELNS1_11target_archE942ELNS1_3gpuE9ELNS1_3repE0EEENS1_30default_config_static_selectorELNS0_4arch9wavefront6targetE0EEEvT1_,@function
_ZN7rocprim17ROCPRIM_400000_NS6detail17trampoline_kernelINS0_14default_configENS1_27scan_by_key_config_selectorIiiEEZZNS1_16scan_by_key_implILNS1_25lookback_scan_determinismE0ELb0ES3_N6thrust23THRUST_200600_302600_NS16reverse_iteratorIPKiEESD_NSA_IPiEEiN6hipcub16HIPCUB_304000_NS3MaxENSH_8EqualityEiEE10hipError_tPvRmT2_T3_T4_T5_mT6_T7_P12ihipStream_tbENKUlT_T0_E_clISt17integral_constantIbLb0EES10_EEDaSV_SW_EUlSV_E_NS1_11comp_targetILNS1_3genE5ELNS1_11target_archE942ELNS1_3gpuE9ELNS1_3repE0EEENS1_30default_config_static_selectorELNS0_4arch9wavefront6targetE0EEEvT1_: ; @_ZN7rocprim17ROCPRIM_400000_NS6detail17trampoline_kernelINS0_14default_configENS1_27scan_by_key_config_selectorIiiEEZZNS1_16scan_by_key_implILNS1_25lookback_scan_determinismE0ELb0ES3_N6thrust23THRUST_200600_302600_NS16reverse_iteratorIPKiEESD_NSA_IPiEEiN6hipcub16HIPCUB_304000_NS3MaxENSH_8EqualityEiEE10hipError_tPvRmT2_T3_T4_T5_mT6_T7_P12ihipStream_tbENKUlT_T0_E_clISt17integral_constantIbLb0EES10_EEDaSV_SW_EUlSV_E_NS1_11comp_targetILNS1_3genE5ELNS1_11target_archE942ELNS1_3gpuE9ELNS1_3repE0EEENS1_30default_config_static_selectorELNS0_4arch9wavefront6targetE0EEEvT1_
; %bb.0:
	.section	.rodata,"a",@progbits
	.p2align	6, 0x0
	.amdhsa_kernel _ZN7rocprim17ROCPRIM_400000_NS6detail17trampoline_kernelINS0_14default_configENS1_27scan_by_key_config_selectorIiiEEZZNS1_16scan_by_key_implILNS1_25lookback_scan_determinismE0ELb0ES3_N6thrust23THRUST_200600_302600_NS16reverse_iteratorIPKiEESD_NSA_IPiEEiN6hipcub16HIPCUB_304000_NS3MaxENSH_8EqualityEiEE10hipError_tPvRmT2_T3_T4_T5_mT6_T7_P12ihipStream_tbENKUlT_T0_E_clISt17integral_constantIbLb0EES10_EEDaSV_SW_EUlSV_E_NS1_11comp_targetILNS1_3genE5ELNS1_11target_archE942ELNS1_3gpuE9ELNS1_3repE0EEENS1_30default_config_static_selectorELNS0_4arch9wavefront6targetE0EEEvT1_
		.amdhsa_group_segment_fixed_size 0
		.amdhsa_private_segment_fixed_size 0
		.amdhsa_kernarg_size 112
		.amdhsa_user_sgpr_count 6
		.amdhsa_user_sgpr_private_segment_buffer 1
		.amdhsa_user_sgpr_dispatch_ptr 0
		.amdhsa_user_sgpr_queue_ptr 0
		.amdhsa_user_sgpr_kernarg_segment_ptr 1
		.amdhsa_user_sgpr_dispatch_id 0
		.amdhsa_user_sgpr_flat_scratch_init 0
		.amdhsa_user_sgpr_private_segment_size 0
		.amdhsa_wavefront_size32 1
		.amdhsa_uses_dynamic_stack 0
		.amdhsa_system_sgpr_private_segment_wavefront_offset 0
		.amdhsa_system_sgpr_workgroup_id_x 1
		.amdhsa_system_sgpr_workgroup_id_y 0
		.amdhsa_system_sgpr_workgroup_id_z 0
		.amdhsa_system_sgpr_workgroup_info 0
		.amdhsa_system_vgpr_workitem_id 0
		.amdhsa_next_free_vgpr 1
		.amdhsa_next_free_sgpr 1
		.amdhsa_reserve_vcc 0
		.amdhsa_reserve_flat_scratch 0
		.amdhsa_float_round_mode_32 0
		.amdhsa_float_round_mode_16_64 0
		.amdhsa_float_denorm_mode_32 3
		.amdhsa_float_denorm_mode_16_64 3
		.amdhsa_dx10_clamp 1
		.amdhsa_ieee_mode 1
		.amdhsa_fp16_overflow 0
		.amdhsa_workgroup_processor_mode 1
		.amdhsa_memory_ordered 1
		.amdhsa_forward_progress 1
		.amdhsa_shared_vgpr_count 0
		.amdhsa_exception_fp_ieee_invalid_op 0
		.amdhsa_exception_fp_denorm_src 0
		.amdhsa_exception_fp_ieee_div_zero 0
		.amdhsa_exception_fp_ieee_overflow 0
		.amdhsa_exception_fp_ieee_underflow 0
		.amdhsa_exception_fp_ieee_inexact 0
		.amdhsa_exception_int_div_zero 0
	.end_amdhsa_kernel
	.section	.text._ZN7rocprim17ROCPRIM_400000_NS6detail17trampoline_kernelINS0_14default_configENS1_27scan_by_key_config_selectorIiiEEZZNS1_16scan_by_key_implILNS1_25lookback_scan_determinismE0ELb0ES3_N6thrust23THRUST_200600_302600_NS16reverse_iteratorIPKiEESD_NSA_IPiEEiN6hipcub16HIPCUB_304000_NS3MaxENSH_8EqualityEiEE10hipError_tPvRmT2_T3_T4_T5_mT6_T7_P12ihipStream_tbENKUlT_T0_E_clISt17integral_constantIbLb0EES10_EEDaSV_SW_EUlSV_E_NS1_11comp_targetILNS1_3genE5ELNS1_11target_archE942ELNS1_3gpuE9ELNS1_3repE0EEENS1_30default_config_static_selectorELNS0_4arch9wavefront6targetE0EEEvT1_,"axG",@progbits,_ZN7rocprim17ROCPRIM_400000_NS6detail17trampoline_kernelINS0_14default_configENS1_27scan_by_key_config_selectorIiiEEZZNS1_16scan_by_key_implILNS1_25lookback_scan_determinismE0ELb0ES3_N6thrust23THRUST_200600_302600_NS16reverse_iteratorIPKiEESD_NSA_IPiEEiN6hipcub16HIPCUB_304000_NS3MaxENSH_8EqualityEiEE10hipError_tPvRmT2_T3_T4_T5_mT6_T7_P12ihipStream_tbENKUlT_T0_E_clISt17integral_constantIbLb0EES10_EEDaSV_SW_EUlSV_E_NS1_11comp_targetILNS1_3genE5ELNS1_11target_archE942ELNS1_3gpuE9ELNS1_3repE0EEENS1_30default_config_static_selectorELNS0_4arch9wavefront6targetE0EEEvT1_,comdat
.Lfunc_end55:
	.size	_ZN7rocprim17ROCPRIM_400000_NS6detail17trampoline_kernelINS0_14default_configENS1_27scan_by_key_config_selectorIiiEEZZNS1_16scan_by_key_implILNS1_25lookback_scan_determinismE0ELb0ES3_N6thrust23THRUST_200600_302600_NS16reverse_iteratorIPKiEESD_NSA_IPiEEiN6hipcub16HIPCUB_304000_NS3MaxENSH_8EqualityEiEE10hipError_tPvRmT2_T3_T4_T5_mT6_T7_P12ihipStream_tbENKUlT_T0_E_clISt17integral_constantIbLb0EES10_EEDaSV_SW_EUlSV_E_NS1_11comp_targetILNS1_3genE5ELNS1_11target_archE942ELNS1_3gpuE9ELNS1_3repE0EEENS1_30default_config_static_selectorELNS0_4arch9wavefront6targetE0EEEvT1_, .Lfunc_end55-_ZN7rocprim17ROCPRIM_400000_NS6detail17trampoline_kernelINS0_14default_configENS1_27scan_by_key_config_selectorIiiEEZZNS1_16scan_by_key_implILNS1_25lookback_scan_determinismE0ELb0ES3_N6thrust23THRUST_200600_302600_NS16reverse_iteratorIPKiEESD_NSA_IPiEEiN6hipcub16HIPCUB_304000_NS3MaxENSH_8EqualityEiEE10hipError_tPvRmT2_T3_T4_T5_mT6_T7_P12ihipStream_tbENKUlT_T0_E_clISt17integral_constantIbLb0EES10_EEDaSV_SW_EUlSV_E_NS1_11comp_targetILNS1_3genE5ELNS1_11target_archE942ELNS1_3gpuE9ELNS1_3repE0EEENS1_30default_config_static_selectorELNS0_4arch9wavefront6targetE0EEEvT1_
                                        ; -- End function
	.set _ZN7rocprim17ROCPRIM_400000_NS6detail17trampoline_kernelINS0_14default_configENS1_27scan_by_key_config_selectorIiiEEZZNS1_16scan_by_key_implILNS1_25lookback_scan_determinismE0ELb0ES3_N6thrust23THRUST_200600_302600_NS16reverse_iteratorIPKiEESD_NSA_IPiEEiN6hipcub16HIPCUB_304000_NS3MaxENSH_8EqualityEiEE10hipError_tPvRmT2_T3_T4_T5_mT6_T7_P12ihipStream_tbENKUlT_T0_E_clISt17integral_constantIbLb0EES10_EEDaSV_SW_EUlSV_E_NS1_11comp_targetILNS1_3genE5ELNS1_11target_archE942ELNS1_3gpuE9ELNS1_3repE0EEENS1_30default_config_static_selectorELNS0_4arch9wavefront6targetE0EEEvT1_.num_vgpr, 0
	.set _ZN7rocprim17ROCPRIM_400000_NS6detail17trampoline_kernelINS0_14default_configENS1_27scan_by_key_config_selectorIiiEEZZNS1_16scan_by_key_implILNS1_25lookback_scan_determinismE0ELb0ES3_N6thrust23THRUST_200600_302600_NS16reverse_iteratorIPKiEESD_NSA_IPiEEiN6hipcub16HIPCUB_304000_NS3MaxENSH_8EqualityEiEE10hipError_tPvRmT2_T3_T4_T5_mT6_T7_P12ihipStream_tbENKUlT_T0_E_clISt17integral_constantIbLb0EES10_EEDaSV_SW_EUlSV_E_NS1_11comp_targetILNS1_3genE5ELNS1_11target_archE942ELNS1_3gpuE9ELNS1_3repE0EEENS1_30default_config_static_selectorELNS0_4arch9wavefront6targetE0EEEvT1_.num_agpr, 0
	.set _ZN7rocprim17ROCPRIM_400000_NS6detail17trampoline_kernelINS0_14default_configENS1_27scan_by_key_config_selectorIiiEEZZNS1_16scan_by_key_implILNS1_25lookback_scan_determinismE0ELb0ES3_N6thrust23THRUST_200600_302600_NS16reverse_iteratorIPKiEESD_NSA_IPiEEiN6hipcub16HIPCUB_304000_NS3MaxENSH_8EqualityEiEE10hipError_tPvRmT2_T3_T4_T5_mT6_T7_P12ihipStream_tbENKUlT_T0_E_clISt17integral_constantIbLb0EES10_EEDaSV_SW_EUlSV_E_NS1_11comp_targetILNS1_3genE5ELNS1_11target_archE942ELNS1_3gpuE9ELNS1_3repE0EEENS1_30default_config_static_selectorELNS0_4arch9wavefront6targetE0EEEvT1_.numbered_sgpr, 0
	.set _ZN7rocprim17ROCPRIM_400000_NS6detail17trampoline_kernelINS0_14default_configENS1_27scan_by_key_config_selectorIiiEEZZNS1_16scan_by_key_implILNS1_25lookback_scan_determinismE0ELb0ES3_N6thrust23THRUST_200600_302600_NS16reverse_iteratorIPKiEESD_NSA_IPiEEiN6hipcub16HIPCUB_304000_NS3MaxENSH_8EqualityEiEE10hipError_tPvRmT2_T3_T4_T5_mT6_T7_P12ihipStream_tbENKUlT_T0_E_clISt17integral_constantIbLb0EES10_EEDaSV_SW_EUlSV_E_NS1_11comp_targetILNS1_3genE5ELNS1_11target_archE942ELNS1_3gpuE9ELNS1_3repE0EEENS1_30default_config_static_selectorELNS0_4arch9wavefront6targetE0EEEvT1_.num_named_barrier, 0
	.set _ZN7rocprim17ROCPRIM_400000_NS6detail17trampoline_kernelINS0_14default_configENS1_27scan_by_key_config_selectorIiiEEZZNS1_16scan_by_key_implILNS1_25lookback_scan_determinismE0ELb0ES3_N6thrust23THRUST_200600_302600_NS16reverse_iteratorIPKiEESD_NSA_IPiEEiN6hipcub16HIPCUB_304000_NS3MaxENSH_8EqualityEiEE10hipError_tPvRmT2_T3_T4_T5_mT6_T7_P12ihipStream_tbENKUlT_T0_E_clISt17integral_constantIbLb0EES10_EEDaSV_SW_EUlSV_E_NS1_11comp_targetILNS1_3genE5ELNS1_11target_archE942ELNS1_3gpuE9ELNS1_3repE0EEENS1_30default_config_static_selectorELNS0_4arch9wavefront6targetE0EEEvT1_.private_seg_size, 0
	.set _ZN7rocprim17ROCPRIM_400000_NS6detail17trampoline_kernelINS0_14default_configENS1_27scan_by_key_config_selectorIiiEEZZNS1_16scan_by_key_implILNS1_25lookback_scan_determinismE0ELb0ES3_N6thrust23THRUST_200600_302600_NS16reverse_iteratorIPKiEESD_NSA_IPiEEiN6hipcub16HIPCUB_304000_NS3MaxENSH_8EqualityEiEE10hipError_tPvRmT2_T3_T4_T5_mT6_T7_P12ihipStream_tbENKUlT_T0_E_clISt17integral_constantIbLb0EES10_EEDaSV_SW_EUlSV_E_NS1_11comp_targetILNS1_3genE5ELNS1_11target_archE942ELNS1_3gpuE9ELNS1_3repE0EEENS1_30default_config_static_selectorELNS0_4arch9wavefront6targetE0EEEvT1_.uses_vcc, 0
	.set _ZN7rocprim17ROCPRIM_400000_NS6detail17trampoline_kernelINS0_14default_configENS1_27scan_by_key_config_selectorIiiEEZZNS1_16scan_by_key_implILNS1_25lookback_scan_determinismE0ELb0ES3_N6thrust23THRUST_200600_302600_NS16reverse_iteratorIPKiEESD_NSA_IPiEEiN6hipcub16HIPCUB_304000_NS3MaxENSH_8EqualityEiEE10hipError_tPvRmT2_T3_T4_T5_mT6_T7_P12ihipStream_tbENKUlT_T0_E_clISt17integral_constantIbLb0EES10_EEDaSV_SW_EUlSV_E_NS1_11comp_targetILNS1_3genE5ELNS1_11target_archE942ELNS1_3gpuE9ELNS1_3repE0EEENS1_30default_config_static_selectorELNS0_4arch9wavefront6targetE0EEEvT1_.uses_flat_scratch, 0
	.set _ZN7rocprim17ROCPRIM_400000_NS6detail17trampoline_kernelINS0_14default_configENS1_27scan_by_key_config_selectorIiiEEZZNS1_16scan_by_key_implILNS1_25lookback_scan_determinismE0ELb0ES3_N6thrust23THRUST_200600_302600_NS16reverse_iteratorIPKiEESD_NSA_IPiEEiN6hipcub16HIPCUB_304000_NS3MaxENSH_8EqualityEiEE10hipError_tPvRmT2_T3_T4_T5_mT6_T7_P12ihipStream_tbENKUlT_T0_E_clISt17integral_constantIbLb0EES10_EEDaSV_SW_EUlSV_E_NS1_11comp_targetILNS1_3genE5ELNS1_11target_archE942ELNS1_3gpuE9ELNS1_3repE0EEENS1_30default_config_static_selectorELNS0_4arch9wavefront6targetE0EEEvT1_.has_dyn_sized_stack, 0
	.set _ZN7rocprim17ROCPRIM_400000_NS6detail17trampoline_kernelINS0_14default_configENS1_27scan_by_key_config_selectorIiiEEZZNS1_16scan_by_key_implILNS1_25lookback_scan_determinismE0ELb0ES3_N6thrust23THRUST_200600_302600_NS16reverse_iteratorIPKiEESD_NSA_IPiEEiN6hipcub16HIPCUB_304000_NS3MaxENSH_8EqualityEiEE10hipError_tPvRmT2_T3_T4_T5_mT6_T7_P12ihipStream_tbENKUlT_T0_E_clISt17integral_constantIbLb0EES10_EEDaSV_SW_EUlSV_E_NS1_11comp_targetILNS1_3genE5ELNS1_11target_archE942ELNS1_3gpuE9ELNS1_3repE0EEENS1_30default_config_static_selectorELNS0_4arch9wavefront6targetE0EEEvT1_.has_recursion, 0
	.set _ZN7rocprim17ROCPRIM_400000_NS6detail17trampoline_kernelINS0_14default_configENS1_27scan_by_key_config_selectorIiiEEZZNS1_16scan_by_key_implILNS1_25lookback_scan_determinismE0ELb0ES3_N6thrust23THRUST_200600_302600_NS16reverse_iteratorIPKiEESD_NSA_IPiEEiN6hipcub16HIPCUB_304000_NS3MaxENSH_8EqualityEiEE10hipError_tPvRmT2_T3_T4_T5_mT6_T7_P12ihipStream_tbENKUlT_T0_E_clISt17integral_constantIbLb0EES10_EEDaSV_SW_EUlSV_E_NS1_11comp_targetILNS1_3genE5ELNS1_11target_archE942ELNS1_3gpuE9ELNS1_3repE0EEENS1_30default_config_static_selectorELNS0_4arch9wavefront6targetE0EEEvT1_.has_indirect_call, 0
	.section	.AMDGPU.csdata,"",@progbits
; Kernel info:
; codeLenInByte = 0
; TotalNumSgprs: 0
; NumVgprs: 0
; ScratchSize: 0
; MemoryBound: 0
; FloatMode: 240
; IeeeMode: 1
; LDSByteSize: 0 bytes/workgroup (compile time only)
; SGPRBlocks: 0
; VGPRBlocks: 0
; NumSGPRsForWavesPerEU: 1
; NumVGPRsForWavesPerEU: 1
; Occupancy: 16
; WaveLimiterHint : 0
; COMPUTE_PGM_RSRC2:SCRATCH_EN: 0
; COMPUTE_PGM_RSRC2:USER_SGPR: 6
; COMPUTE_PGM_RSRC2:TRAP_HANDLER: 0
; COMPUTE_PGM_RSRC2:TGID_X_EN: 1
; COMPUTE_PGM_RSRC2:TGID_Y_EN: 0
; COMPUTE_PGM_RSRC2:TGID_Z_EN: 0
; COMPUTE_PGM_RSRC2:TIDIG_COMP_CNT: 0
	.section	.text._ZN7rocprim17ROCPRIM_400000_NS6detail17trampoline_kernelINS0_14default_configENS1_27scan_by_key_config_selectorIiiEEZZNS1_16scan_by_key_implILNS1_25lookback_scan_determinismE0ELb0ES3_N6thrust23THRUST_200600_302600_NS16reverse_iteratorIPKiEESD_NSA_IPiEEiN6hipcub16HIPCUB_304000_NS3MaxENSH_8EqualityEiEE10hipError_tPvRmT2_T3_T4_T5_mT6_T7_P12ihipStream_tbENKUlT_T0_E_clISt17integral_constantIbLb0EES10_EEDaSV_SW_EUlSV_E_NS1_11comp_targetILNS1_3genE4ELNS1_11target_archE910ELNS1_3gpuE8ELNS1_3repE0EEENS1_30default_config_static_selectorELNS0_4arch9wavefront6targetE0EEEvT1_,"axG",@progbits,_ZN7rocprim17ROCPRIM_400000_NS6detail17trampoline_kernelINS0_14default_configENS1_27scan_by_key_config_selectorIiiEEZZNS1_16scan_by_key_implILNS1_25lookback_scan_determinismE0ELb0ES3_N6thrust23THRUST_200600_302600_NS16reverse_iteratorIPKiEESD_NSA_IPiEEiN6hipcub16HIPCUB_304000_NS3MaxENSH_8EqualityEiEE10hipError_tPvRmT2_T3_T4_T5_mT6_T7_P12ihipStream_tbENKUlT_T0_E_clISt17integral_constantIbLb0EES10_EEDaSV_SW_EUlSV_E_NS1_11comp_targetILNS1_3genE4ELNS1_11target_archE910ELNS1_3gpuE8ELNS1_3repE0EEENS1_30default_config_static_selectorELNS0_4arch9wavefront6targetE0EEEvT1_,comdat
	.protected	_ZN7rocprim17ROCPRIM_400000_NS6detail17trampoline_kernelINS0_14default_configENS1_27scan_by_key_config_selectorIiiEEZZNS1_16scan_by_key_implILNS1_25lookback_scan_determinismE0ELb0ES3_N6thrust23THRUST_200600_302600_NS16reverse_iteratorIPKiEESD_NSA_IPiEEiN6hipcub16HIPCUB_304000_NS3MaxENSH_8EqualityEiEE10hipError_tPvRmT2_T3_T4_T5_mT6_T7_P12ihipStream_tbENKUlT_T0_E_clISt17integral_constantIbLb0EES10_EEDaSV_SW_EUlSV_E_NS1_11comp_targetILNS1_3genE4ELNS1_11target_archE910ELNS1_3gpuE8ELNS1_3repE0EEENS1_30default_config_static_selectorELNS0_4arch9wavefront6targetE0EEEvT1_ ; -- Begin function _ZN7rocprim17ROCPRIM_400000_NS6detail17trampoline_kernelINS0_14default_configENS1_27scan_by_key_config_selectorIiiEEZZNS1_16scan_by_key_implILNS1_25lookback_scan_determinismE0ELb0ES3_N6thrust23THRUST_200600_302600_NS16reverse_iteratorIPKiEESD_NSA_IPiEEiN6hipcub16HIPCUB_304000_NS3MaxENSH_8EqualityEiEE10hipError_tPvRmT2_T3_T4_T5_mT6_T7_P12ihipStream_tbENKUlT_T0_E_clISt17integral_constantIbLb0EES10_EEDaSV_SW_EUlSV_E_NS1_11comp_targetILNS1_3genE4ELNS1_11target_archE910ELNS1_3gpuE8ELNS1_3repE0EEENS1_30default_config_static_selectorELNS0_4arch9wavefront6targetE0EEEvT1_
	.globl	_ZN7rocprim17ROCPRIM_400000_NS6detail17trampoline_kernelINS0_14default_configENS1_27scan_by_key_config_selectorIiiEEZZNS1_16scan_by_key_implILNS1_25lookback_scan_determinismE0ELb0ES3_N6thrust23THRUST_200600_302600_NS16reverse_iteratorIPKiEESD_NSA_IPiEEiN6hipcub16HIPCUB_304000_NS3MaxENSH_8EqualityEiEE10hipError_tPvRmT2_T3_T4_T5_mT6_T7_P12ihipStream_tbENKUlT_T0_E_clISt17integral_constantIbLb0EES10_EEDaSV_SW_EUlSV_E_NS1_11comp_targetILNS1_3genE4ELNS1_11target_archE910ELNS1_3gpuE8ELNS1_3repE0EEENS1_30default_config_static_selectorELNS0_4arch9wavefront6targetE0EEEvT1_
	.p2align	8
	.type	_ZN7rocprim17ROCPRIM_400000_NS6detail17trampoline_kernelINS0_14default_configENS1_27scan_by_key_config_selectorIiiEEZZNS1_16scan_by_key_implILNS1_25lookback_scan_determinismE0ELb0ES3_N6thrust23THRUST_200600_302600_NS16reverse_iteratorIPKiEESD_NSA_IPiEEiN6hipcub16HIPCUB_304000_NS3MaxENSH_8EqualityEiEE10hipError_tPvRmT2_T3_T4_T5_mT6_T7_P12ihipStream_tbENKUlT_T0_E_clISt17integral_constantIbLb0EES10_EEDaSV_SW_EUlSV_E_NS1_11comp_targetILNS1_3genE4ELNS1_11target_archE910ELNS1_3gpuE8ELNS1_3repE0EEENS1_30default_config_static_selectorELNS0_4arch9wavefront6targetE0EEEvT1_,@function
_ZN7rocprim17ROCPRIM_400000_NS6detail17trampoline_kernelINS0_14default_configENS1_27scan_by_key_config_selectorIiiEEZZNS1_16scan_by_key_implILNS1_25lookback_scan_determinismE0ELb0ES3_N6thrust23THRUST_200600_302600_NS16reverse_iteratorIPKiEESD_NSA_IPiEEiN6hipcub16HIPCUB_304000_NS3MaxENSH_8EqualityEiEE10hipError_tPvRmT2_T3_T4_T5_mT6_T7_P12ihipStream_tbENKUlT_T0_E_clISt17integral_constantIbLb0EES10_EEDaSV_SW_EUlSV_E_NS1_11comp_targetILNS1_3genE4ELNS1_11target_archE910ELNS1_3gpuE8ELNS1_3repE0EEENS1_30default_config_static_selectorELNS0_4arch9wavefront6targetE0EEEvT1_: ; @_ZN7rocprim17ROCPRIM_400000_NS6detail17trampoline_kernelINS0_14default_configENS1_27scan_by_key_config_selectorIiiEEZZNS1_16scan_by_key_implILNS1_25lookback_scan_determinismE0ELb0ES3_N6thrust23THRUST_200600_302600_NS16reverse_iteratorIPKiEESD_NSA_IPiEEiN6hipcub16HIPCUB_304000_NS3MaxENSH_8EqualityEiEE10hipError_tPvRmT2_T3_T4_T5_mT6_T7_P12ihipStream_tbENKUlT_T0_E_clISt17integral_constantIbLb0EES10_EEDaSV_SW_EUlSV_E_NS1_11comp_targetILNS1_3genE4ELNS1_11target_archE910ELNS1_3gpuE8ELNS1_3repE0EEENS1_30default_config_static_selectorELNS0_4arch9wavefront6targetE0EEEvT1_
; %bb.0:
	.section	.rodata,"a",@progbits
	.p2align	6, 0x0
	.amdhsa_kernel _ZN7rocprim17ROCPRIM_400000_NS6detail17trampoline_kernelINS0_14default_configENS1_27scan_by_key_config_selectorIiiEEZZNS1_16scan_by_key_implILNS1_25lookback_scan_determinismE0ELb0ES3_N6thrust23THRUST_200600_302600_NS16reverse_iteratorIPKiEESD_NSA_IPiEEiN6hipcub16HIPCUB_304000_NS3MaxENSH_8EqualityEiEE10hipError_tPvRmT2_T3_T4_T5_mT6_T7_P12ihipStream_tbENKUlT_T0_E_clISt17integral_constantIbLb0EES10_EEDaSV_SW_EUlSV_E_NS1_11comp_targetILNS1_3genE4ELNS1_11target_archE910ELNS1_3gpuE8ELNS1_3repE0EEENS1_30default_config_static_selectorELNS0_4arch9wavefront6targetE0EEEvT1_
		.amdhsa_group_segment_fixed_size 0
		.amdhsa_private_segment_fixed_size 0
		.amdhsa_kernarg_size 112
		.amdhsa_user_sgpr_count 6
		.amdhsa_user_sgpr_private_segment_buffer 1
		.amdhsa_user_sgpr_dispatch_ptr 0
		.amdhsa_user_sgpr_queue_ptr 0
		.amdhsa_user_sgpr_kernarg_segment_ptr 1
		.amdhsa_user_sgpr_dispatch_id 0
		.amdhsa_user_sgpr_flat_scratch_init 0
		.amdhsa_user_sgpr_private_segment_size 0
		.amdhsa_wavefront_size32 1
		.amdhsa_uses_dynamic_stack 0
		.amdhsa_system_sgpr_private_segment_wavefront_offset 0
		.amdhsa_system_sgpr_workgroup_id_x 1
		.amdhsa_system_sgpr_workgroup_id_y 0
		.amdhsa_system_sgpr_workgroup_id_z 0
		.amdhsa_system_sgpr_workgroup_info 0
		.amdhsa_system_vgpr_workitem_id 0
		.amdhsa_next_free_vgpr 1
		.amdhsa_next_free_sgpr 1
		.amdhsa_reserve_vcc 0
		.amdhsa_reserve_flat_scratch 0
		.amdhsa_float_round_mode_32 0
		.amdhsa_float_round_mode_16_64 0
		.amdhsa_float_denorm_mode_32 3
		.amdhsa_float_denorm_mode_16_64 3
		.amdhsa_dx10_clamp 1
		.amdhsa_ieee_mode 1
		.amdhsa_fp16_overflow 0
		.amdhsa_workgroup_processor_mode 1
		.amdhsa_memory_ordered 1
		.amdhsa_forward_progress 1
		.amdhsa_shared_vgpr_count 0
		.amdhsa_exception_fp_ieee_invalid_op 0
		.amdhsa_exception_fp_denorm_src 0
		.amdhsa_exception_fp_ieee_div_zero 0
		.amdhsa_exception_fp_ieee_overflow 0
		.amdhsa_exception_fp_ieee_underflow 0
		.amdhsa_exception_fp_ieee_inexact 0
		.amdhsa_exception_int_div_zero 0
	.end_amdhsa_kernel
	.section	.text._ZN7rocprim17ROCPRIM_400000_NS6detail17trampoline_kernelINS0_14default_configENS1_27scan_by_key_config_selectorIiiEEZZNS1_16scan_by_key_implILNS1_25lookback_scan_determinismE0ELb0ES3_N6thrust23THRUST_200600_302600_NS16reverse_iteratorIPKiEESD_NSA_IPiEEiN6hipcub16HIPCUB_304000_NS3MaxENSH_8EqualityEiEE10hipError_tPvRmT2_T3_T4_T5_mT6_T7_P12ihipStream_tbENKUlT_T0_E_clISt17integral_constantIbLb0EES10_EEDaSV_SW_EUlSV_E_NS1_11comp_targetILNS1_3genE4ELNS1_11target_archE910ELNS1_3gpuE8ELNS1_3repE0EEENS1_30default_config_static_selectorELNS0_4arch9wavefront6targetE0EEEvT1_,"axG",@progbits,_ZN7rocprim17ROCPRIM_400000_NS6detail17trampoline_kernelINS0_14default_configENS1_27scan_by_key_config_selectorIiiEEZZNS1_16scan_by_key_implILNS1_25lookback_scan_determinismE0ELb0ES3_N6thrust23THRUST_200600_302600_NS16reverse_iteratorIPKiEESD_NSA_IPiEEiN6hipcub16HIPCUB_304000_NS3MaxENSH_8EqualityEiEE10hipError_tPvRmT2_T3_T4_T5_mT6_T7_P12ihipStream_tbENKUlT_T0_E_clISt17integral_constantIbLb0EES10_EEDaSV_SW_EUlSV_E_NS1_11comp_targetILNS1_3genE4ELNS1_11target_archE910ELNS1_3gpuE8ELNS1_3repE0EEENS1_30default_config_static_selectorELNS0_4arch9wavefront6targetE0EEEvT1_,comdat
.Lfunc_end56:
	.size	_ZN7rocprim17ROCPRIM_400000_NS6detail17trampoline_kernelINS0_14default_configENS1_27scan_by_key_config_selectorIiiEEZZNS1_16scan_by_key_implILNS1_25lookback_scan_determinismE0ELb0ES3_N6thrust23THRUST_200600_302600_NS16reverse_iteratorIPKiEESD_NSA_IPiEEiN6hipcub16HIPCUB_304000_NS3MaxENSH_8EqualityEiEE10hipError_tPvRmT2_T3_T4_T5_mT6_T7_P12ihipStream_tbENKUlT_T0_E_clISt17integral_constantIbLb0EES10_EEDaSV_SW_EUlSV_E_NS1_11comp_targetILNS1_3genE4ELNS1_11target_archE910ELNS1_3gpuE8ELNS1_3repE0EEENS1_30default_config_static_selectorELNS0_4arch9wavefront6targetE0EEEvT1_, .Lfunc_end56-_ZN7rocprim17ROCPRIM_400000_NS6detail17trampoline_kernelINS0_14default_configENS1_27scan_by_key_config_selectorIiiEEZZNS1_16scan_by_key_implILNS1_25lookback_scan_determinismE0ELb0ES3_N6thrust23THRUST_200600_302600_NS16reverse_iteratorIPKiEESD_NSA_IPiEEiN6hipcub16HIPCUB_304000_NS3MaxENSH_8EqualityEiEE10hipError_tPvRmT2_T3_T4_T5_mT6_T7_P12ihipStream_tbENKUlT_T0_E_clISt17integral_constantIbLb0EES10_EEDaSV_SW_EUlSV_E_NS1_11comp_targetILNS1_3genE4ELNS1_11target_archE910ELNS1_3gpuE8ELNS1_3repE0EEENS1_30default_config_static_selectorELNS0_4arch9wavefront6targetE0EEEvT1_
                                        ; -- End function
	.set _ZN7rocprim17ROCPRIM_400000_NS6detail17trampoline_kernelINS0_14default_configENS1_27scan_by_key_config_selectorIiiEEZZNS1_16scan_by_key_implILNS1_25lookback_scan_determinismE0ELb0ES3_N6thrust23THRUST_200600_302600_NS16reverse_iteratorIPKiEESD_NSA_IPiEEiN6hipcub16HIPCUB_304000_NS3MaxENSH_8EqualityEiEE10hipError_tPvRmT2_T3_T4_T5_mT6_T7_P12ihipStream_tbENKUlT_T0_E_clISt17integral_constantIbLb0EES10_EEDaSV_SW_EUlSV_E_NS1_11comp_targetILNS1_3genE4ELNS1_11target_archE910ELNS1_3gpuE8ELNS1_3repE0EEENS1_30default_config_static_selectorELNS0_4arch9wavefront6targetE0EEEvT1_.num_vgpr, 0
	.set _ZN7rocprim17ROCPRIM_400000_NS6detail17trampoline_kernelINS0_14default_configENS1_27scan_by_key_config_selectorIiiEEZZNS1_16scan_by_key_implILNS1_25lookback_scan_determinismE0ELb0ES3_N6thrust23THRUST_200600_302600_NS16reverse_iteratorIPKiEESD_NSA_IPiEEiN6hipcub16HIPCUB_304000_NS3MaxENSH_8EqualityEiEE10hipError_tPvRmT2_T3_T4_T5_mT6_T7_P12ihipStream_tbENKUlT_T0_E_clISt17integral_constantIbLb0EES10_EEDaSV_SW_EUlSV_E_NS1_11comp_targetILNS1_3genE4ELNS1_11target_archE910ELNS1_3gpuE8ELNS1_3repE0EEENS1_30default_config_static_selectorELNS0_4arch9wavefront6targetE0EEEvT1_.num_agpr, 0
	.set _ZN7rocprim17ROCPRIM_400000_NS6detail17trampoline_kernelINS0_14default_configENS1_27scan_by_key_config_selectorIiiEEZZNS1_16scan_by_key_implILNS1_25lookback_scan_determinismE0ELb0ES3_N6thrust23THRUST_200600_302600_NS16reverse_iteratorIPKiEESD_NSA_IPiEEiN6hipcub16HIPCUB_304000_NS3MaxENSH_8EqualityEiEE10hipError_tPvRmT2_T3_T4_T5_mT6_T7_P12ihipStream_tbENKUlT_T0_E_clISt17integral_constantIbLb0EES10_EEDaSV_SW_EUlSV_E_NS1_11comp_targetILNS1_3genE4ELNS1_11target_archE910ELNS1_3gpuE8ELNS1_3repE0EEENS1_30default_config_static_selectorELNS0_4arch9wavefront6targetE0EEEvT1_.numbered_sgpr, 0
	.set _ZN7rocprim17ROCPRIM_400000_NS6detail17trampoline_kernelINS0_14default_configENS1_27scan_by_key_config_selectorIiiEEZZNS1_16scan_by_key_implILNS1_25lookback_scan_determinismE0ELb0ES3_N6thrust23THRUST_200600_302600_NS16reverse_iteratorIPKiEESD_NSA_IPiEEiN6hipcub16HIPCUB_304000_NS3MaxENSH_8EqualityEiEE10hipError_tPvRmT2_T3_T4_T5_mT6_T7_P12ihipStream_tbENKUlT_T0_E_clISt17integral_constantIbLb0EES10_EEDaSV_SW_EUlSV_E_NS1_11comp_targetILNS1_3genE4ELNS1_11target_archE910ELNS1_3gpuE8ELNS1_3repE0EEENS1_30default_config_static_selectorELNS0_4arch9wavefront6targetE0EEEvT1_.num_named_barrier, 0
	.set _ZN7rocprim17ROCPRIM_400000_NS6detail17trampoline_kernelINS0_14default_configENS1_27scan_by_key_config_selectorIiiEEZZNS1_16scan_by_key_implILNS1_25lookback_scan_determinismE0ELb0ES3_N6thrust23THRUST_200600_302600_NS16reverse_iteratorIPKiEESD_NSA_IPiEEiN6hipcub16HIPCUB_304000_NS3MaxENSH_8EqualityEiEE10hipError_tPvRmT2_T3_T4_T5_mT6_T7_P12ihipStream_tbENKUlT_T0_E_clISt17integral_constantIbLb0EES10_EEDaSV_SW_EUlSV_E_NS1_11comp_targetILNS1_3genE4ELNS1_11target_archE910ELNS1_3gpuE8ELNS1_3repE0EEENS1_30default_config_static_selectorELNS0_4arch9wavefront6targetE0EEEvT1_.private_seg_size, 0
	.set _ZN7rocprim17ROCPRIM_400000_NS6detail17trampoline_kernelINS0_14default_configENS1_27scan_by_key_config_selectorIiiEEZZNS1_16scan_by_key_implILNS1_25lookback_scan_determinismE0ELb0ES3_N6thrust23THRUST_200600_302600_NS16reverse_iteratorIPKiEESD_NSA_IPiEEiN6hipcub16HIPCUB_304000_NS3MaxENSH_8EqualityEiEE10hipError_tPvRmT2_T3_T4_T5_mT6_T7_P12ihipStream_tbENKUlT_T0_E_clISt17integral_constantIbLb0EES10_EEDaSV_SW_EUlSV_E_NS1_11comp_targetILNS1_3genE4ELNS1_11target_archE910ELNS1_3gpuE8ELNS1_3repE0EEENS1_30default_config_static_selectorELNS0_4arch9wavefront6targetE0EEEvT1_.uses_vcc, 0
	.set _ZN7rocprim17ROCPRIM_400000_NS6detail17trampoline_kernelINS0_14default_configENS1_27scan_by_key_config_selectorIiiEEZZNS1_16scan_by_key_implILNS1_25lookback_scan_determinismE0ELb0ES3_N6thrust23THRUST_200600_302600_NS16reverse_iteratorIPKiEESD_NSA_IPiEEiN6hipcub16HIPCUB_304000_NS3MaxENSH_8EqualityEiEE10hipError_tPvRmT2_T3_T4_T5_mT6_T7_P12ihipStream_tbENKUlT_T0_E_clISt17integral_constantIbLb0EES10_EEDaSV_SW_EUlSV_E_NS1_11comp_targetILNS1_3genE4ELNS1_11target_archE910ELNS1_3gpuE8ELNS1_3repE0EEENS1_30default_config_static_selectorELNS0_4arch9wavefront6targetE0EEEvT1_.uses_flat_scratch, 0
	.set _ZN7rocprim17ROCPRIM_400000_NS6detail17trampoline_kernelINS0_14default_configENS1_27scan_by_key_config_selectorIiiEEZZNS1_16scan_by_key_implILNS1_25lookback_scan_determinismE0ELb0ES3_N6thrust23THRUST_200600_302600_NS16reverse_iteratorIPKiEESD_NSA_IPiEEiN6hipcub16HIPCUB_304000_NS3MaxENSH_8EqualityEiEE10hipError_tPvRmT2_T3_T4_T5_mT6_T7_P12ihipStream_tbENKUlT_T0_E_clISt17integral_constantIbLb0EES10_EEDaSV_SW_EUlSV_E_NS1_11comp_targetILNS1_3genE4ELNS1_11target_archE910ELNS1_3gpuE8ELNS1_3repE0EEENS1_30default_config_static_selectorELNS0_4arch9wavefront6targetE0EEEvT1_.has_dyn_sized_stack, 0
	.set _ZN7rocprim17ROCPRIM_400000_NS6detail17trampoline_kernelINS0_14default_configENS1_27scan_by_key_config_selectorIiiEEZZNS1_16scan_by_key_implILNS1_25lookback_scan_determinismE0ELb0ES3_N6thrust23THRUST_200600_302600_NS16reverse_iteratorIPKiEESD_NSA_IPiEEiN6hipcub16HIPCUB_304000_NS3MaxENSH_8EqualityEiEE10hipError_tPvRmT2_T3_T4_T5_mT6_T7_P12ihipStream_tbENKUlT_T0_E_clISt17integral_constantIbLb0EES10_EEDaSV_SW_EUlSV_E_NS1_11comp_targetILNS1_3genE4ELNS1_11target_archE910ELNS1_3gpuE8ELNS1_3repE0EEENS1_30default_config_static_selectorELNS0_4arch9wavefront6targetE0EEEvT1_.has_recursion, 0
	.set _ZN7rocprim17ROCPRIM_400000_NS6detail17trampoline_kernelINS0_14default_configENS1_27scan_by_key_config_selectorIiiEEZZNS1_16scan_by_key_implILNS1_25lookback_scan_determinismE0ELb0ES3_N6thrust23THRUST_200600_302600_NS16reverse_iteratorIPKiEESD_NSA_IPiEEiN6hipcub16HIPCUB_304000_NS3MaxENSH_8EqualityEiEE10hipError_tPvRmT2_T3_T4_T5_mT6_T7_P12ihipStream_tbENKUlT_T0_E_clISt17integral_constantIbLb0EES10_EEDaSV_SW_EUlSV_E_NS1_11comp_targetILNS1_3genE4ELNS1_11target_archE910ELNS1_3gpuE8ELNS1_3repE0EEENS1_30default_config_static_selectorELNS0_4arch9wavefront6targetE0EEEvT1_.has_indirect_call, 0
	.section	.AMDGPU.csdata,"",@progbits
; Kernel info:
; codeLenInByte = 0
; TotalNumSgprs: 0
; NumVgprs: 0
; ScratchSize: 0
; MemoryBound: 0
; FloatMode: 240
; IeeeMode: 1
; LDSByteSize: 0 bytes/workgroup (compile time only)
; SGPRBlocks: 0
; VGPRBlocks: 0
; NumSGPRsForWavesPerEU: 1
; NumVGPRsForWavesPerEU: 1
; Occupancy: 16
; WaveLimiterHint : 0
; COMPUTE_PGM_RSRC2:SCRATCH_EN: 0
; COMPUTE_PGM_RSRC2:USER_SGPR: 6
; COMPUTE_PGM_RSRC2:TRAP_HANDLER: 0
; COMPUTE_PGM_RSRC2:TGID_X_EN: 1
; COMPUTE_PGM_RSRC2:TGID_Y_EN: 0
; COMPUTE_PGM_RSRC2:TGID_Z_EN: 0
; COMPUTE_PGM_RSRC2:TIDIG_COMP_CNT: 0
	.section	.text._ZN7rocprim17ROCPRIM_400000_NS6detail17trampoline_kernelINS0_14default_configENS1_27scan_by_key_config_selectorIiiEEZZNS1_16scan_by_key_implILNS1_25lookback_scan_determinismE0ELb0ES3_N6thrust23THRUST_200600_302600_NS16reverse_iteratorIPKiEESD_NSA_IPiEEiN6hipcub16HIPCUB_304000_NS3MaxENSH_8EqualityEiEE10hipError_tPvRmT2_T3_T4_T5_mT6_T7_P12ihipStream_tbENKUlT_T0_E_clISt17integral_constantIbLb0EES10_EEDaSV_SW_EUlSV_E_NS1_11comp_targetILNS1_3genE3ELNS1_11target_archE908ELNS1_3gpuE7ELNS1_3repE0EEENS1_30default_config_static_selectorELNS0_4arch9wavefront6targetE0EEEvT1_,"axG",@progbits,_ZN7rocprim17ROCPRIM_400000_NS6detail17trampoline_kernelINS0_14default_configENS1_27scan_by_key_config_selectorIiiEEZZNS1_16scan_by_key_implILNS1_25lookback_scan_determinismE0ELb0ES3_N6thrust23THRUST_200600_302600_NS16reverse_iteratorIPKiEESD_NSA_IPiEEiN6hipcub16HIPCUB_304000_NS3MaxENSH_8EqualityEiEE10hipError_tPvRmT2_T3_T4_T5_mT6_T7_P12ihipStream_tbENKUlT_T0_E_clISt17integral_constantIbLb0EES10_EEDaSV_SW_EUlSV_E_NS1_11comp_targetILNS1_3genE3ELNS1_11target_archE908ELNS1_3gpuE7ELNS1_3repE0EEENS1_30default_config_static_selectorELNS0_4arch9wavefront6targetE0EEEvT1_,comdat
	.protected	_ZN7rocprim17ROCPRIM_400000_NS6detail17trampoline_kernelINS0_14default_configENS1_27scan_by_key_config_selectorIiiEEZZNS1_16scan_by_key_implILNS1_25lookback_scan_determinismE0ELb0ES3_N6thrust23THRUST_200600_302600_NS16reverse_iteratorIPKiEESD_NSA_IPiEEiN6hipcub16HIPCUB_304000_NS3MaxENSH_8EqualityEiEE10hipError_tPvRmT2_T3_T4_T5_mT6_T7_P12ihipStream_tbENKUlT_T0_E_clISt17integral_constantIbLb0EES10_EEDaSV_SW_EUlSV_E_NS1_11comp_targetILNS1_3genE3ELNS1_11target_archE908ELNS1_3gpuE7ELNS1_3repE0EEENS1_30default_config_static_selectorELNS0_4arch9wavefront6targetE0EEEvT1_ ; -- Begin function _ZN7rocprim17ROCPRIM_400000_NS6detail17trampoline_kernelINS0_14default_configENS1_27scan_by_key_config_selectorIiiEEZZNS1_16scan_by_key_implILNS1_25lookback_scan_determinismE0ELb0ES3_N6thrust23THRUST_200600_302600_NS16reverse_iteratorIPKiEESD_NSA_IPiEEiN6hipcub16HIPCUB_304000_NS3MaxENSH_8EqualityEiEE10hipError_tPvRmT2_T3_T4_T5_mT6_T7_P12ihipStream_tbENKUlT_T0_E_clISt17integral_constantIbLb0EES10_EEDaSV_SW_EUlSV_E_NS1_11comp_targetILNS1_3genE3ELNS1_11target_archE908ELNS1_3gpuE7ELNS1_3repE0EEENS1_30default_config_static_selectorELNS0_4arch9wavefront6targetE0EEEvT1_
	.globl	_ZN7rocprim17ROCPRIM_400000_NS6detail17trampoline_kernelINS0_14default_configENS1_27scan_by_key_config_selectorIiiEEZZNS1_16scan_by_key_implILNS1_25lookback_scan_determinismE0ELb0ES3_N6thrust23THRUST_200600_302600_NS16reverse_iteratorIPKiEESD_NSA_IPiEEiN6hipcub16HIPCUB_304000_NS3MaxENSH_8EqualityEiEE10hipError_tPvRmT2_T3_T4_T5_mT6_T7_P12ihipStream_tbENKUlT_T0_E_clISt17integral_constantIbLb0EES10_EEDaSV_SW_EUlSV_E_NS1_11comp_targetILNS1_3genE3ELNS1_11target_archE908ELNS1_3gpuE7ELNS1_3repE0EEENS1_30default_config_static_selectorELNS0_4arch9wavefront6targetE0EEEvT1_
	.p2align	8
	.type	_ZN7rocprim17ROCPRIM_400000_NS6detail17trampoline_kernelINS0_14default_configENS1_27scan_by_key_config_selectorIiiEEZZNS1_16scan_by_key_implILNS1_25lookback_scan_determinismE0ELb0ES3_N6thrust23THRUST_200600_302600_NS16reverse_iteratorIPKiEESD_NSA_IPiEEiN6hipcub16HIPCUB_304000_NS3MaxENSH_8EqualityEiEE10hipError_tPvRmT2_T3_T4_T5_mT6_T7_P12ihipStream_tbENKUlT_T0_E_clISt17integral_constantIbLb0EES10_EEDaSV_SW_EUlSV_E_NS1_11comp_targetILNS1_3genE3ELNS1_11target_archE908ELNS1_3gpuE7ELNS1_3repE0EEENS1_30default_config_static_selectorELNS0_4arch9wavefront6targetE0EEEvT1_,@function
_ZN7rocprim17ROCPRIM_400000_NS6detail17trampoline_kernelINS0_14default_configENS1_27scan_by_key_config_selectorIiiEEZZNS1_16scan_by_key_implILNS1_25lookback_scan_determinismE0ELb0ES3_N6thrust23THRUST_200600_302600_NS16reverse_iteratorIPKiEESD_NSA_IPiEEiN6hipcub16HIPCUB_304000_NS3MaxENSH_8EqualityEiEE10hipError_tPvRmT2_T3_T4_T5_mT6_T7_P12ihipStream_tbENKUlT_T0_E_clISt17integral_constantIbLb0EES10_EEDaSV_SW_EUlSV_E_NS1_11comp_targetILNS1_3genE3ELNS1_11target_archE908ELNS1_3gpuE7ELNS1_3repE0EEENS1_30default_config_static_selectorELNS0_4arch9wavefront6targetE0EEEvT1_: ; @_ZN7rocprim17ROCPRIM_400000_NS6detail17trampoline_kernelINS0_14default_configENS1_27scan_by_key_config_selectorIiiEEZZNS1_16scan_by_key_implILNS1_25lookback_scan_determinismE0ELb0ES3_N6thrust23THRUST_200600_302600_NS16reverse_iteratorIPKiEESD_NSA_IPiEEiN6hipcub16HIPCUB_304000_NS3MaxENSH_8EqualityEiEE10hipError_tPvRmT2_T3_T4_T5_mT6_T7_P12ihipStream_tbENKUlT_T0_E_clISt17integral_constantIbLb0EES10_EEDaSV_SW_EUlSV_E_NS1_11comp_targetILNS1_3genE3ELNS1_11target_archE908ELNS1_3gpuE7ELNS1_3repE0EEENS1_30default_config_static_selectorELNS0_4arch9wavefront6targetE0EEEvT1_
; %bb.0:
	.section	.rodata,"a",@progbits
	.p2align	6, 0x0
	.amdhsa_kernel _ZN7rocprim17ROCPRIM_400000_NS6detail17trampoline_kernelINS0_14default_configENS1_27scan_by_key_config_selectorIiiEEZZNS1_16scan_by_key_implILNS1_25lookback_scan_determinismE0ELb0ES3_N6thrust23THRUST_200600_302600_NS16reverse_iteratorIPKiEESD_NSA_IPiEEiN6hipcub16HIPCUB_304000_NS3MaxENSH_8EqualityEiEE10hipError_tPvRmT2_T3_T4_T5_mT6_T7_P12ihipStream_tbENKUlT_T0_E_clISt17integral_constantIbLb0EES10_EEDaSV_SW_EUlSV_E_NS1_11comp_targetILNS1_3genE3ELNS1_11target_archE908ELNS1_3gpuE7ELNS1_3repE0EEENS1_30default_config_static_selectorELNS0_4arch9wavefront6targetE0EEEvT1_
		.amdhsa_group_segment_fixed_size 0
		.amdhsa_private_segment_fixed_size 0
		.amdhsa_kernarg_size 112
		.amdhsa_user_sgpr_count 6
		.amdhsa_user_sgpr_private_segment_buffer 1
		.amdhsa_user_sgpr_dispatch_ptr 0
		.amdhsa_user_sgpr_queue_ptr 0
		.amdhsa_user_sgpr_kernarg_segment_ptr 1
		.amdhsa_user_sgpr_dispatch_id 0
		.amdhsa_user_sgpr_flat_scratch_init 0
		.amdhsa_user_sgpr_private_segment_size 0
		.amdhsa_wavefront_size32 1
		.amdhsa_uses_dynamic_stack 0
		.amdhsa_system_sgpr_private_segment_wavefront_offset 0
		.amdhsa_system_sgpr_workgroup_id_x 1
		.amdhsa_system_sgpr_workgroup_id_y 0
		.amdhsa_system_sgpr_workgroup_id_z 0
		.amdhsa_system_sgpr_workgroup_info 0
		.amdhsa_system_vgpr_workitem_id 0
		.amdhsa_next_free_vgpr 1
		.amdhsa_next_free_sgpr 1
		.amdhsa_reserve_vcc 0
		.amdhsa_reserve_flat_scratch 0
		.amdhsa_float_round_mode_32 0
		.amdhsa_float_round_mode_16_64 0
		.amdhsa_float_denorm_mode_32 3
		.amdhsa_float_denorm_mode_16_64 3
		.amdhsa_dx10_clamp 1
		.amdhsa_ieee_mode 1
		.amdhsa_fp16_overflow 0
		.amdhsa_workgroup_processor_mode 1
		.amdhsa_memory_ordered 1
		.amdhsa_forward_progress 1
		.amdhsa_shared_vgpr_count 0
		.amdhsa_exception_fp_ieee_invalid_op 0
		.amdhsa_exception_fp_denorm_src 0
		.amdhsa_exception_fp_ieee_div_zero 0
		.amdhsa_exception_fp_ieee_overflow 0
		.amdhsa_exception_fp_ieee_underflow 0
		.amdhsa_exception_fp_ieee_inexact 0
		.amdhsa_exception_int_div_zero 0
	.end_amdhsa_kernel
	.section	.text._ZN7rocprim17ROCPRIM_400000_NS6detail17trampoline_kernelINS0_14default_configENS1_27scan_by_key_config_selectorIiiEEZZNS1_16scan_by_key_implILNS1_25lookback_scan_determinismE0ELb0ES3_N6thrust23THRUST_200600_302600_NS16reverse_iteratorIPKiEESD_NSA_IPiEEiN6hipcub16HIPCUB_304000_NS3MaxENSH_8EqualityEiEE10hipError_tPvRmT2_T3_T4_T5_mT6_T7_P12ihipStream_tbENKUlT_T0_E_clISt17integral_constantIbLb0EES10_EEDaSV_SW_EUlSV_E_NS1_11comp_targetILNS1_3genE3ELNS1_11target_archE908ELNS1_3gpuE7ELNS1_3repE0EEENS1_30default_config_static_selectorELNS0_4arch9wavefront6targetE0EEEvT1_,"axG",@progbits,_ZN7rocprim17ROCPRIM_400000_NS6detail17trampoline_kernelINS0_14default_configENS1_27scan_by_key_config_selectorIiiEEZZNS1_16scan_by_key_implILNS1_25lookback_scan_determinismE0ELb0ES3_N6thrust23THRUST_200600_302600_NS16reverse_iteratorIPKiEESD_NSA_IPiEEiN6hipcub16HIPCUB_304000_NS3MaxENSH_8EqualityEiEE10hipError_tPvRmT2_T3_T4_T5_mT6_T7_P12ihipStream_tbENKUlT_T0_E_clISt17integral_constantIbLb0EES10_EEDaSV_SW_EUlSV_E_NS1_11comp_targetILNS1_3genE3ELNS1_11target_archE908ELNS1_3gpuE7ELNS1_3repE0EEENS1_30default_config_static_selectorELNS0_4arch9wavefront6targetE0EEEvT1_,comdat
.Lfunc_end57:
	.size	_ZN7rocprim17ROCPRIM_400000_NS6detail17trampoline_kernelINS0_14default_configENS1_27scan_by_key_config_selectorIiiEEZZNS1_16scan_by_key_implILNS1_25lookback_scan_determinismE0ELb0ES3_N6thrust23THRUST_200600_302600_NS16reverse_iteratorIPKiEESD_NSA_IPiEEiN6hipcub16HIPCUB_304000_NS3MaxENSH_8EqualityEiEE10hipError_tPvRmT2_T3_T4_T5_mT6_T7_P12ihipStream_tbENKUlT_T0_E_clISt17integral_constantIbLb0EES10_EEDaSV_SW_EUlSV_E_NS1_11comp_targetILNS1_3genE3ELNS1_11target_archE908ELNS1_3gpuE7ELNS1_3repE0EEENS1_30default_config_static_selectorELNS0_4arch9wavefront6targetE0EEEvT1_, .Lfunc_end57-_ZN7rocprim17ROCPRIM_400000_NS6detail17trampoline_kernelINS0_14default_configENS1_27scan_by_key_config_selectorIiiEEZZNS1_16scan_by_key_implILNS1_25lookback_scan_determinismE0ELb0ES3_N6thrust23THRUST_200600_302600_NS16reverse_iteratorIPKiEESD_NSA_IPiEEiN6hipcub16HIPCUB_304000_NS3MaxENSH_8EqualityEiEE10hipError_tPvRmT2_T3_T4_T5_mT6_T7_P12ihipStream_tbENKUlT_T0_E_clISt17integral_constantIbLb0EES10_EEDaSV_SW_EUlSV_E_NS1_11comp_targetILNS1_3genE3ELNS1_11target_archE908ELNS1_3gpuE7ELNS1_3repE0EEENS1_30default_config_static_selectorELNS0_4arch9wavefront6targetE0EEEvT1_
                                        ; -- End function
	.set _ZN7rocprim17ROCPRIM_400000_NS6detail17trampoline_kernelINS0_14default_configENS1_27scan_by_key_config_selectorIiiEEZZNS1_16scan_by_key_implILNS1_25lookback_scan_determinismE0ELb0ES3_N6thrust23THRUST_200600_302600_NS16reverse_iteratorIPKiEESD_NSA_IPiEEiN6hipcub16HIPCUB_304000_NS3MaxENSH_8EqualityEiEE10hipError_tPvRmT2_T3_T4_T5_mT6_T7_P12ihipStream_tbENKUlT_T0_E_clISt17integral_constantIbLb0EES10_EEDaSV_SW_EUlSV_E_NS1_11comp_targetILNS1_3genE3ELNS1_11target_archE908ELNS1_3gpuE7ELNS1_3repE0EEENS1_30default_config_static_selectorELNS0_4arch9wavefront6targetE0EEEvT1_.num_vgpr, 0
	.set _ZN7rocprim17ROCPRIM_400000_NS6detail17trampoline_kernelINS0_14default_configENS1_27scan_by_key_config_selectorIiiEEZZNS1_16scan_by_key_implILNS1_25lookback_scan_determinismE0ELb0ES3_N6thrust23THRUST_200600_302600_NS16reverse_iteratorIPKiEESD_NSA_IPiEEiN6hipcub16HIPCUB_304000_NS3MaxENSH_8EqualityEiEE10hipError_tPvRmT2_T3_T4_T5_mT6_T7_P12ihipStream_tbENKUlT_T0_E_clISt17integral_constantIbLb0EES10_EEDaSV_SW_EUlSV_E_NS1_11comp_targetILNS1_3genE3ELNS1_11target_archE908ELNS1_3gpuE7ELNS1_3repE0EEENS1_30default_config_static_selectorELNS0_4arch9wavefront6targetE0EEEvT1_.num_agpr, 0
	.set _ZN7rocprim17ROCPRIM_400000_NS6detail17trampoline_kernelINS0_14default_configENS1_27scan_by_key_config_selectorIiiEEZZNS1_16scan_by_key_implILNS1_25lookback_scan_determinismE0ELb0ES3_N6thrust23THRUST_200600_302600_NS16reverse_iteratorIPKiEESD_NSA_IPiEEiN6hipcub16HIPCUB_304000_NS3MaxENSH_8EqualityEiEE10hipError_tPvRmT2_T3_T4_T5_mT6_T7_P12ihipStream_tbENKUlT_T0_E_clISt17integral_constantIbLb0EES10_EEDaSV_SW_EUlSV_E_NS1_11comp_targetILNS1_3genE3ELNS1_11target_archE908ELNS1_3gpuE7ELNS1_3repE0EEENS1_30default_config_static_selectorELNS0_4arch9wavefront6targetE0EEEvT1_.numbered_sgpr, 0
	.set _ZN7rocprim17ROCPRIM_400000_NS6detail17trampoline_kernelINS0_14default_configENS1_27scan_by_key_config_selectorIiiEEZZNS1_16scan_by_key_implILNS1_25lookback_scan_determinismE0ELb0ES3_N6thrust23THRUST_200600_302600_NS16reverse_iteratorIPKiEESD_NSA_IPiEEiN6hipcub16HIPCUB_304000_NS3MaxENSH_8EqualityEiEE10hipError_tPvRmT2_T3_T4_T5_mT6_T7_P12ihipStream_tbENKUlT_T0_E_clISt17integral_constantIbLb0EES10_EEDaSV_SW_EUlSV_E_NS1_11comp_targetILNS1_3genE3ELNS1_11target_archE908ELNS1_3gpuE7ELNS1_3repE0EEENS1_30default_config_static_selectorELNS0_4arch9wavefront6targetE0EEEvT1_.num_named_barrier, 0
	.set _ZN7rocprim17ROCPRIM_400000_NS6detail17trampoline_kernelINS0_14default_configENS1_27scan_by_key_config_selectorIiiEEZZNS1_16scan_by_key_implILNS1_25lookback_scan_determinismE0ELb0ES3_N6thrust23THRUST_200600_302600_NS16reverse_iteratorIPKiEESD_NSA_IPiEEiN6hipcub16HIPCUB_304000_NS3MaxENSH_8EqualityEiEE10hipError_tPvRmT2_T3_T4_T5_mT6_T7_P12ihipStream_tbENKUlT_T0_E_clISt17integral_constantIbLb0EES10_EEDaSV_SW_EUlSV_E_NS1_11comp_targetILNS1_3genE3ELNS1_11target_archE908ELNS1_3gpuE7ELNS1_3repE0EEENS1_30default_config_static_selectorELNS0_4arch9wavefront6targetE0EEEvT1_.private_seg_size, 0
	.set _ZN7rocprim17ROCPRIM_400000_NS6detail17trampoline_kernelINS0_14default_configENS1_27scan_by_key_config_selectorIiiEEZZNS1_16scan_by_key_implILNS1_25lookback_scan_determinismE0ELb0ES3_N6thrust23THRUST_200600_302600_NS16reverse_iteratorIPKiEESD_NSA_IPiEEiN6hipcub16HIPCUB_304000_NS3MaxENSH_8EqualityEiEE10hipError_tPvRmT2_T3_T4_T5_mT6_T7_P12ihipStream_tbENKUlT_T0_E_clISt17integral_constantIbLb0EES10_EEDaSV_SW_EUlSV_E_NS1_11comp_targetILNS1_3genE3ELNS1_11target_archE908ELNS1_3gpuE7ELNS1_3repE0EEENS1_30default_config_static_selectorELNS0_4arch9wavefront6targetE0EEEvT1_.uses_vcc, 0
	.set _ZN7rocprim17ROCPRIM_400000_NS6detail17trampoline_kernelINS0_14default_configENS1_27scan_by_key_config_selectorIiiEEZZNS1_16scan_by_key_implILNS1_25lookback_scan_determinismE0ELb0ES3_N6thrust23THRUST_200600_302600_NS16reverse_iteratorIPKiEESD_NSA_IPiEEiN6hipcub16HIPCUB_304000_NS3MaxENSH_8EqualityEiEE10hipError_tPvRmT2_T3_T4_T5_mT6_T7_P12ihipStream_tbENKUlT_T0_E_clISt17integral_constantIbLb0EES10_EEDaSV_SW_EUlSV_E_NS1_11comp_targetILNS1_3genE3ELNS1_11target_archE908ELNS1_3gpuE7ELNS1_3repE0EEENS1_30default_config_static_selectorELNS0_4arch9wavefront6targetE0EEEvT1_.uses_flat_scratch, 0
	.set _ZN7rocprim17ROCPRIM_400000_NS6detail17trampoline_kernelINS0_14default_configENS1_27scan_by_key_config_selectorIiiEEZZNS1_16scan_by_key_implILNS1_25lookback_scan_determinismE0ELb0ES3_N6thrust23THRUST_200600_302600_NS16reverse_iteratorIPKiEESD_NSA_IPiEEiN6hipcub16HIPCUB_304000_NS3MaxENSH_8EqualityEiEE10hipError_tPvRmT2_T3_T4_T5_mT6_T7_P12ihipStream_tbENKUlT_T0_E_clISt17integral_constantIbLb0EES10_EEDaSV_SW_EUlSV_E_NS1_11comp_targetILNS1_3genE3ELNS1_11target_archE908ELNS1_3gpuE7ELNS1_3repE0EEENS1_30default_config_static_selectorELNS0_4arch9wavefront6targetE0EEEvT1_.has_dyn_sized_stack, 0
	.set _ZN7rocprim17ROCPRIM_400000_NS6detail17trampoline_kernelINS0_14default_configENS1_27scan_by_key_config_selectorIiiEEZZNS1_16scan_by_key_implILNS1_25lookback_scan_determinismE0ELb0ES3_N6thrust23THRUST_200600_302600_NS16reverse_iteratorIPKiEESD_NSA_IPiEEiN6hipcub16HIPCUB_304000_NS3MaxENSH_8EqualityEiEE10hipError_tPvRmT2_T3_T4_T5_mT6_T7_P12ihipStream_tbENKUlT_T0_E_clISt17integral_constantIbLb0EES10_EEDaSV_SW_EUlSV_E_NS1_11comp_targetILNS1_3genE3ELNS1_11target_archE908ELNS1_3gpuE7ELNS1_3repE0EEENS1_30default_config_static_selectorELNS0_4arch9wavefront6targetE0EEEvT1_.has_recursion, 0
	.set _ZN7rocprim17ROCPRIM_400000_NS6detail17trampoline_kernelINS0_14default_configENS1_27scan_by_key_config_selectorIiiEEZZNS1_16scan_by_key_implILNS1_25lookback_scan_determinismE0ELb0ES3_N6thrust23THRUST_200600_302600_NS16reverse_iteratorIPKiEESD_NSA_IPiEEiN6hipcub16HIPCUB_304000_NS3MaxENSH_8EqualityEiEE10hipError_tPvRmT2_T3_T4_T5_mT6_T7_P12ihipStream_tbENKUlT_T0_E_clISt17integral_constantIbLb0EES10_EEDaSV_SW_EUlSV_E_NS1_11comp_targetILNS1_3genE3ELNS1_11target_archE908ELNS1_3gpuE7ELNS1_3repE0EEENS1_30default_config_static_selectorELNS0_4arch9wavefront6targetE0EEEvT1_.has_indirect_call, 0
	.section	.AMDGPU.csdata,"",@progbits
; Kernel info:
; codeLenInByte = 0
; TotalNumSgprs: 0
; NumVgprs: 0
; ScratchSize: 0
; MemoryBound: 0
; FloatMode: 240
; IeeeMode: 1
; LDSByteSize: 0 bytes/workgroup (compile time only)
; SGPRBlocks: 0
; VGPRBlocks: 0
; NumSGPRsForWavesPerEU: 1
; NumVGPRsForWavesPerEU: 1
; Occupancy: 16
; WaveLimiterHint : 0
; COMPUTE_PGM_RSRC2:SCRATCH_EN: 0
; COMPUTE_PGM_RSRC2:USER_SGPR: 6
; COMPUTE_PGM_RSRC2:TRAP_HANDLER: 0
; COMPUTE_PGM_RSRC2:TGID_X_EN: 1
; COMPUTE_PGM_RSRC2:TGID_Y_EN: 0
; COMPUTE_PGM_RSRC2:TGID_Z_EN: 0
; COMPUTE_PGM_RSRC2:TIDIG_COMP_CNT: 0
	.section	.text._ZN7rocprim17ROCPRIM_400000_NS6detail17trampoline_kernelINS0_14default_configENS1_27scan_by_key_config_selectorIiiEEZZNS1_16scan_by_key_implILNS1_25lookback_scan_determinismE0ELb0ES3_N6thrust23THRUST_200600_302600_NS16reverse_iteratorIPKiEESD_NSA_IPiEEiN6hipcub16HIPCUB_304000_NS3MaxENSH_8EqualityEiEE10hipError_tPvRmT2_T3_T4_T5_mT6_T7_P12ihipStream_tbENKUlT_T0_E_clISt17integral_constantIbLb0EES10_EEDaSV_SW_EUlSV_E_NS1_11comp_targetILNS1_3genE2ELNS1_11target_archE906ELNS1_3gpuE6ELNS1_3repE0EEENS1_30default_config_static_selectorELNS0_4arch9wavefront6targetE0EEEvT1_,"axG",@progbits,_ZN7rocprim17ROCPRIM_400000_NS6detail17trampoline_kernelINS0_14default_configENS1_27scan_by_key_config_selectorIiiEEZZNS1_16scan_by_key_implILNS1_25lookback_scan_determinismE0ELb0ES3_N6thrust23THRUST_200600_302600_NS16reverse_iteratorIPKiEESD_NSA_IPiEEiN6hipcub16HIPCUB_304000_NS3MaxENSH_8EqualityEiEE10hipError_tPvRmT2_T3_T4_T5_mT6_T7_P12ihipStream_tbENKUlT_T0_E_clISt17integral_constantIbLb0EES10_EEDaSV_SW_EUlSV_E_NS1_11comp_targetILNS1_3genE2ELNS1_11target_archE906ELNS1_3gpuE6ELNS1_3repE0EEENS1_30default_config_static_selectorELNS0_4arch9wavefront6targetE0EEEvT1_,comdat
	.protected	_ZN7rocprim17ROCPRIM_400000_NS6detail17trampoline_kernelINS0_14default_configENS1_27scan_by_key_config_selectorIiiEEZZNS1_16scan_by_key_implILNS1_25lookback_scan_determinismE0ELb0ES3_N6thrust23THRUST_200600_302600_NS16reverse_iteratorIPKiEESD_NSA_IPiEEiN6hipcub16HIPCUB_304000_NS3MaxENSH_8EqualityEiEE10hipError_tPvRmT2_T3_T4_T5_mT6_T7_P12ihipStream_tbENKUlT_T0_E_clISt17integral_constantIbLb0EES10_EEDaSV_SW_EUlSV_E_NS1_11comp_targetILNS1_3genE2ELNS1_11target_archE906ELNS1_3gpuE6ELNS1_3repE0EEENS1_30default_config_static_selectorELNS0_4arch9wavefront6targetE0EEEvT1_ ; -- Begin function _ZN7rocprim17ROCPRIM_400000_NS6detail17trampoline_kernelINS0_14default_configENS1_27scan_by_key_config_selectorIiiEEZZNS1_16scan_by_key_implILNS1_25lookback_scan_determinismE0ELb0ES3_N6thrust23THRUST_200600_302600_NS16reverse_iteratorIPKiEESD_NSA_IPiEEiN6hipcub16HIPCUB_304000_NS3MaxENSH_8EqualityEiEE10hipError_tPvRmT2_T3_T4_T5_mT6_T7_P12ihipStream_tbENKUlT_T0_E_clISt17integral_constantIbLb0EES10_EEDaSV_SW_EUlSV_E_NS1_11comp_targetILNS1_3genE2ELNS1_11target_archE906ELNS1_3gpuE6ELNS1_3repE0EEENS1_30default_config_static_selectorELNS0_4arch9wavefront6targetE0EEEvT1_
	.globl	_ZN7rocprim17ROCPRIM_400000_NS6detail17trampoline_kernelINS0_14default_configENS1_27scan_by_key_config_selectorIiiEEZZNS1_16scan_by_key_implILNS1_25lookback_scan_determinismE0ELb0ES3_N6thrust23THRUST_200600_302600_NS16reverse_iteratorIPKiEESD_NSA_IPiEEiN6hipcub16HIPCUB_304000_NS3MaxENSH_8EqualityEiEE10hipError_tPvRmT2_T3_T4_T5_mT6_T7_P12ihipStream_tbENKUlT_T0_E_clISt17integral_constantIbLb0EES10_EEDaSV_SW_EUlSV_E_NS1_11comp_targetILNS1_3genE2ELNS1_11target_archE906ELNS1_3gpuE6ELNS1_3repE0EEENS1_30default_config_static_selectorELNS0_4arch9wavefront6targetE0EEEvT1_
	.p2align	8
	.type	_ZN7rocprim17ROCPRIM_400000_NS6detail17trampoline_kernelINS0_14default_configENS1_27scan_by_key_config_selectorIiiEEZZNS1_16scan_by_key_implILNS1_25lookback_scan_determinismE0ELb0ES3_N6thrust23THRUST_200600_302600_NS16reverse_iteratorIPKiEESD_NSA_IPiEEiN6hipcub16HIPCUB_304000_NS3MaxENSH_8EqualityEiEE10hipError_tPvRmT2_T3_T4_T5_mT6_T7_P12ihipStream_tbENKUlT_T0_E_clISt17integral_constantIbLb0EES10_EEDaSV_SW_EUlSV_E_NS1_11comp_targetILNS1_3genE2ELNS1_11target_archE906ELNS1_3gpuE6ELNS1_3repE0EEENS1_30default_config_static_selectorELNS0_4arch9wavefront6targetE0EEEvT1_,@function
_ZN7rocprim17ROCPRIM_400000_NS6detail17trampoline_kernelINS0_14default_configENS1_27scan_by_key_config_selectorIiiEEZZNS1_16scan_by_key_implILNS1_25lookback_scan_determinismE0ELb0ES3_N6thrust23THRUST_200600_302600_NS16reverse_iteratorIPKiEESD_NSA_IPiEEiN6hipcub16HIPCUB_304000_NS3MaxENSH_8EqualityEiEE10hipError_tPvRmT2_T3_T4_T5_mT6_T7_P12ihipStream_tbENKUlT_T0_E_clISt17integral_constantIbLb0EES10_EEDaSV_SW_EUlSV_E_NS1_11comp_targetILNS1_3genE2ELNS1_11target_archE906ELNS1_3gpuE6ELNS1_3repE0EEENS1_30default_config_static_selectorELNS0_4arch9wavefront6targetE0EEEvT1_: ; @_ZN7rocprim17ROCPRIM_400000_NS6detail17trampoline_kernelINS0_14default_configENS1_27scan_by_key_config_selectorIiiEEZZNS1_16scan_by_key_implILNS1_25lookback_scan_determinismE0ELb0ES3_N6thrust23THRUST_200600_302600_NS16reverse_iteratorIPKiEESD_NSA_IPiEEiN6hipcub16HIPCUB_304000_NS3MaxENSH_8EqualityEiEE10hipError_tPvRmT2_T3_T4_T5_mT6_T7_P12ihipStream_tbENKUlT_T0_E_clISt17integral_constantIbLb0EES10_EEDaSV_SW_EUlSV_E_NS1_11comp_targetILNS1_3genE2ELNS1_11target_archE906ELNS1_3gpuE6ELNS1_3repE0EEENS1_30default_config_static_selectorELNS0_4arch9wavefront6targetE0EEEvT1_
; %bb.0:
	.section	.rodata,"a",@progbits
	.p2align	6, 0x0
	.amdhsa_kernel _ZN7rocprim17ROCPRIM_400000_NS6detail17trampoline_kernelINS0_14default_configENS1_27scan_by_key_config_selectorIiiEEZZNS1_16scan_by_key_implILNS1_25lookback_scan_determinismE0ELb0ES3_N6thrust23THRUST_200600_302600_NS16reverse_iteratorIPKiEESD_NSA_IPiEEiN6hipcub16HIPCUB_304000_NS3MaxENSH_8EqualityEiEE10hipError_tPvRmT2_T3_T4_T5_mT6_T7_P12ihipStream_tbENKUlT_T0_E_clISt17integral_constantIbLb0EES10_EEDaSV_SW_EUlSV_E_NS1_11comp_targetILNS1_3genE2ELNS1_11target_archE906ELNS1_3gpuE6ELNS1_3repE0EEENS1_30default_config_static_selectorELNS0_4arch9wavefront6targetE0EEEvT1_
		.amdhsa_group_segment_fixed_size 0
		.amdhsa_private_segment_fixed_size 0
		.amdhsa_kernarg_size 112
		.amdhsa_user_sgpr_count 6
		.amdhsa_user_sgpr_private_segment_buffer 1
		.amdhsa_user_sgpr_dispatch_ptr 0
		.amdhsa_user_sgpr_queue_ptr 0
		.amdhsa_user_sgpr_kernarg_segment_ptr 1
		.amdhsa_user_sgpr_dispatch_id 0
		.amdhsa_user_sgpr_flat_scratch_init 0
		.amdhsa_user_sgpr_private_segment_size 0
		.amdhsa_wavefront_size32 1
		.amdhsa_uses_dynamic_stack 0
		.amdhsa_system_sgpr_private_segment_wavefront_offset 0
		.amdhsa_system_sgpr_workgroup_id_x 1
		.amdhsa_system_sgpr_workgroup_id_y 0
		.amdhsa_system_sgpr_workgroup_id_z 0
		.amdhsa_system_sgpr_workgroup_info 0
		.amdhsa_system_vgpr_workitem_id 0
		.amdhsa_next_free_vgpr 1
		.amdhsa_next_free_sgpr 1
		.amdhsa_reserve_vcc 0
		.amdhsa_reserve_flat_scratch 0
		.amdhsa_float_round_mode_32 0
		.amdhsa_float_round_mode_16_64 0
		.amdhsa_float_denorm_mode_32 3
		.amdhsa_float_denorm_mode_16_64 3
		.amdhsa_dx10_clamp 1
		.amdhsa_ieee_mode 1
		.amdhsa_fp16_overflow 0
		.amdhsa_workgroup_processor_mode 1
		.amdhsa_memory_ordered 1
		.amdhsa_forward_progress 1
		.amdhsa_shared_vgpr_count 0
		.amdhsa_exception_fp_ieee_invalid_op 0
		.amdhsa_exception_fp_denorm_src 0
		.amdhsa_exception_fp_ieee_div_zero 0
		.amdhsa_exception_fp_ieee_overflow 0
		.amdhsa_exception_fp_ieee_underflow 0
		.amdhsa_exception_fp_ieee_inexact 0
		.amdhsa_exception_int_div_zero 0
	.end_amdhsa_kernel
	.section	.text._ZN7rocprim17ROCPRIM_400000_NS6detail17trampoline_kernelINS0_14default_configENS1_27scan_by_key_config_selectorIiiEEZZNS1_16scan_by_key_implILNS1_25lookback_scan_determinismE0ELb0ES3_N6thrust23THRUST_200600_302600_NS16reverse_iteratorIPKiEESD_NSA_IPiEEiN6hipcub16HIPCUB_304000_NS3MaxENSH_8EqualityEiEE10hipError_tPvRmT2_T3_T4_T5_mT6_T7_P12ihipStream_tbENKUlT_T0_E_clISt17integral_constantIbLb0EES10_EEDaSV_SW_EUlSV_E_NS1_11comp_targetILNS1_3genE2ELNS1_11target_archE906ELNS1_3gpuE6ELNS1_3repE0EEENS1_30default_config_static_selectorELNS0_4arch9wavefront6targetE0EEEvT1_,"axG",@progbits,_ZN7rocprim17ROCPRIM_400000_NS6detail17trampoline_kernelINS0_14default_configENS1_27scan_by_key_config_selectorIiiEEZZNS1_16scan_by_key_implILNS1_25lookback_scan_determinismE0ELb0ES3_N6thrust23THRUST_200600_302600_NS16reverse_iteratorIPKiEESD_NSA_IPiEEiN6hipcub16HIPCUB_304000_NS3MaxENSH_8EqualityEiEE10hipError_tPvRmT2_T3_T4_T5_mT6_T7_P12ihipStream_tbENKUlT_T0_E_clISt17integral_constantIbLb0EES10_EEDaSV_SW_EUlSV_E_NS1_11comp_targetILNS1_3genE2ELNS1_11target_archE906ELNS1_3gpuE6ELNS1_3repE0EEENS1_30default_config_static_selectorELNS0_4arch9wavefront6targetE0EEEvT1_,comdat
.Lfunc_end58:
	.size	_ZN7rocprim17ROCPRIM_400000_NS6detail17trampoline_kernelINS0_14default_configENS1_27scan_by_key_config_selectorIiiEEZZNS1_16scan_by_key_implILNS1_25lookback_scan_determinismE0ELb0ES3_N6thrust23THRUST_200600_302600_NS16reverse_iteratorIPKiEESD_NSA_IPiEEiN6hipcub16HIPCUB_304000_NS3MaxENSH_8EqualityEiEE10hipError_tPvRmT2_T3_T4_T5_mT6_T7_P12ihipStream_tbENKUlT_T0_E_clISt17integral_constantIbLb0EES10_EEDaSV_SW_EUlSV_E_NS1_11comp_targetILNS1_3genE2ELNS1_11target_archE906ELNS1_3gpuE6ELNS1_3repE0EEENS1_30default_config_static_selectorELNS0_4arch9wavefront6targetE0EEEvT1_, .Lfunc_end58-_ZN7rocprim17ROCPRIM_400000_NS6detail17trampoline_kernelINS0_14default_configENS1_27scan_by_key_config_selectorIiiEEZZNS1_16scan_by_key_implILNS1_25lookback_scan_determinismE0ELb0ES3_N6thrust23THRUST_200600_302600_NS16reverse_iteratorIPKiEESD_NSA_IPiEEiN6hipcub16HIPCUB_304000_NS3MaxENSH_8EqualityEiEE10hipError_tPvRmT2_T3_T4_T5_mT6_T7_P12ihipStream_tbENKUlT_T0_E_clISt17integral_constantIbLb0EES10_EEDaSV_SW_EUlSV_E_NS1_11comp_targetILNS1_3genE2ELNS1_11target_archE906ELNS1_3gpuE6ELNS1_3repE0EEENS1_30default_config_static_selectorELNS0_4arch9wavefront6targetE0EEEvT1_
                                        ; -- End function
	.set _ZN7rocprim17ROCPRIM_400000_NS6detail17trampoline_kernelINS0_14default_configENS1_27scan_by_key_config_selectorIiiEEZZNS1_16scan_by_key_implILNS1_25lookback_scan_determinismE0ELb0ES3_N6thrust23THRUST_200600_302600_NS16reverse_iteratorIPKiEESD_NSA_IPiEEiN6hipcub16HIPCUB_304000_NS3MaxENSH_8EqualityEiEE10hipError_tPvRmT2_T3_T4_T5_mT6_T7_P12ihipStream_tbENKUlT_T0_E_clISt17integral_constantIbLb0EES10_EEDaSV_SW_EUlSV_E_NS1_11comp_targetILNS1_3genE2ELNS1_11target_archE906ELNS1_3gpuE6ELNS1_3repE0EEENS1_30default_config_static_selectorELNS0_4arch9wavefront6targetE0EEEvT1_.num_vgpr, 0
	.set _ZN7rocprim17ROCPRIM_400000_NS6detail17trampoline_kernelINS0_14default_configENS1_27scan_by_key_config_selectorIiiEEZZNS1_16scan_by_key_implILNS1_25lookback_scan_determinismE0ELb0ES3_N6thrust23THRUST_200600_302600_NS16reverse_iteratorIPKiEESD_NSA_IPiEEiN6hipcub16HIPCUB_304000_NS3MaxENSH_8EqualityEiEE10hipError_tPvRmT2_T3_T4_T5_mT6_T7_P12ihipStream_tbENKUlT_T0_E_clISt17integral_constantIbLb0EES10_EEDaSV_SW_EUlSV_E_NS1_11comp_targetILNS1_3genE2ELNS1_11target_archE906ELNS1_3gpuE6ELNS1_3repE0EEENS1_30default_config_static_selectorELNS0_4arch9wavefront6targetE0EEEvT1_.num_agpr, 0
	.set _ZN7rocprim17ROCPRIM_400000_NS6detail17trampoline_kernelINS0_14default_configENS1_27scan_by_key_config_selectorIiiEEZZNS1_16scan_by_key_implILNS1_25lookback_scan_determinismE0ELb0ES3_N6thrust23THRUST_200600_302600_NS16reverse_iteratorIPKiEESD_NSA_IPiEEiN6hipcub16HIPCUB_304000_NS3MaxENSH_8EqualityEiEE10hipError_tPvRmT2_T3_T4_T5_mT6_T7_P12ihipStream_tbENKUlT_T0_E_clISt17integral_constantIbLb0EES10_EEDaSV_SW_EUlSV_E_NS1_11comp_targetILNS1_3genE2ELNS1_11target_archE906ELNS1_3gpuE6ELNS1_3repE0EEENS1_30default_config_static_selectorELNS0_4arch9wavefront6targetE0EEEvT1_.numbered_sgpr, 0
	.set _ZN7rocprim17ROCPRIM_400000_NS6detail17trampoline_kernelINS0_14default_configENS1_27scan_by_key_config_selectorIiiEEZZNS1_16scan_by_key_implILNS1_25lookback_scan_determinismE0ELb0ES3_N6thrust23THRUST_200600_302600_NS16reverse_iteratorIPKiEESD_NSA_IPiEEiN6hipcub16HIPCUB_304000_NS3MaxENSH_8EqualityEiEE10hipError_tPvRmT2_T3_T4_T5_mT6_T7_P12ihipStream_tbENKUlT_T0_E_clISt17integral_constantIbLb0EES10_EEDaSV_SW_EUlSV_E_NS1_11comp_targetILNS1_3genE2ELNS1_11target_archE906ELNS1_3gpuE6ELNS1_3repE0EEENS1_30default_config_static_selectorELNS0_4arch9wavefront6targetE0EEEvT1_.num_named_barrier, 0
	.set _ZN7rocprim17ROCPRIM_400000_NS6detail17trampoline_kernelINS0_14default_configENS1_27scan_by_key_config_selectorIiiEEZZNS1_16scan_by_key_implILNS1_25lookback_scan_determinismE0ELb0ES3_N6thrust23THRUST_200600_302600_NS16reverse_iteratorIPKiEESD_NSA_IPiEEiN6hipcub16HIPCUB_304000_NS3MaxENSH_8EqualityEiEE10hipError_tPvRmT2_T3_T4_T5_mT6_T7_P12ihipStream_tbENKUlT_T0_E_clISt17integral_constantIbLb0EES10_EEDaSV_SW_EUlSV_E_NS1_11comp_targetILNS1_3genE2ELNS1_11target_archE906ELNS1_3gpuE6ELNS1_3repE0EEENS1_30default_config_static_selectorELNS0_4arch9wavefront6targetE0EEEvT1_.private_seg_size, 0
	.set _ZN7rocprim17ROCPRIM_400000_NS6detail17trampoline_kernelINS0_14default_configENS1_27scan_by_key_config_selectorIiiEEZZNS1_16scan_by_key_implILNS1_25lookback_scan_determinismE0ELb0ES3_N6thrust23THRUST_200600_302600_NS16reverse_iteratorIPKiEESD_NSA_IPiEEiN6hipcub16HIPCUB_304000_NS3MaxENSH_8EqualityEiEE10hipError_tPvRmT2_T3_T4_T5_mT6_T7_P12ihipStream_tbENKUlT_T0_E_clISt17integral_constantIbLb0EES10_EEDaSV_SW_EUlSV_E_NS1_11comp_targetILNS1_3genE2ELNS1_11target_archE906ELNS1_3gpuE6ELNS1_3repE0EEENS1_30default_config_static_selectorELNS0_4arch9wavefront6targetE0EEEvT1_.uses_vcc, 0
	.set _ZN7rocprim17ROCPRIM_400000_NS6detail17trampoline_kernelINS0_14default_configENS1_27scan_by_key_config_selectorIiiEEZZNS1_16scan_by_key_implILNS1_25lookback_scan_determinismE0ELb0ES3_N6thrust23THRUST_200600_302600_NS16reverse_iteratorIPKiEESD_NSA_IPiEEiN6hipcub16HIPCUB_304000_NS3MaxENSH_8EqualityEiEE10hipError_tPvRmT2_T3_T4_T5_mT6_T7_P12ihipStream_tbENKUlT_T0_E_clISt17integral_constantIbLb0EES10_EEDaSV_SW_EUlSV_E_NS1_11comp_targetILNS1_3genE2ELNS1_11target_archE906ELNS1_3gpuE6ELNS1_3repE0EEENS1_30default_config_static_selectorELNS0_4arch9wavefront6targetE0EEEvT1_.uses_flat_scratch, 0
	.set _ZN7rocprim17ROCPRIM_400000_NS6detail17trampoline_kernelINS0_14default_configENS1_27scan_by_key_config_selectorIiiEEZZNS1_16scan_by_key_implILNS1_25lookback_scan_determinismE0ELb0ES3_N6thrust23THRUST_200600_302600_NS16reverse_iteratorIPKiEESD_NSA_IPiEEiN6hipcub16HIPCUB_304000_NS3MaxENSH_8EqualityEiEE10hipError_tPvRmT2_T3_T4_T5_mT6_T7_P12ihipStream_tbENKUlT_T0_E_clISt17integral_constantIbLb0EES10_EEDaSV_SW_EUlSV_E_NS1_11comp_targetILNS1_3genE2ELNS1_11target_archE906ELNS1_3gpuE6ELNS1_3repE0EEENS1_30default_config_static_selectorELNS0_4arch9wavefront6targetE0EEEvT1_.has_dyn_sized_stack, 0
	.set _ZN7rocprim17ROCPRIM_400000_NS6detail17trampoline_kernelINS0_14default_configENS1_27scan_by_key_config_selectorIiiEEZZNS1_16scan_by_key_implILNS1_25lookback_scan_determinismE0ELb0ES3_N6thrust23THRUST_200600_302600_NS16reverse_iteratorIPKiEESD_NSA_IPiEEiN6hipcub16HIPCUB_304000_NS3MaxENSH_8EqualityEiEE10hipError_tPvRmT2_T3_T4_T5_mT6_T7_P12ihipStream_tbENKUlT_T0_E_clISt17integral_constantIbLb0EES10_EEDaSV_SW_EUlSV_E_NS1_11comp_targetILNS1_3genE2ELNS1_11target_archE906ELNS1_3gpuE6ELNS1_3repE0EEENS1_30default_config_static_selectorELNS0_4arch9wavefront6targetE0EEEvT1_.has_recursion, 0
	.set _ZN7rocprim17ROCPRIM_400000_NS6detail17trampoline_kernelINS0_14default_configENS1_27scan_by_key_config_selectorIiiEEZZNS1_16scan_by_key_implILNS1_25lookback_scan_determinismE0ELb0ES3_N6thrust23THRUST_200600_302600_NS16reverse_iteratorIPKiEESD_NSA_IPiEEiN6hipcub16HIPCUB_304000_NS3MaxENSH_8EqualityEiEE10hipError_tPvRmT2_T3_T4_T5_mT6_T7_P12ihipStream_tbENKUlT_T0_E_clISt17integral_constantIbLb0EES10_EEDaSV_SW_EUlSV_E_NS1_11comp_targetILNS1_3genE2ELNS1_11target_archE906ELNS1_3gpuE6ELNS1_3repE0EEENS1_30default_config_static_selectorELNS0_4arch9wavefront6targetE0EEEvT1_.has_indirect_call, 0
	.section	.AMDGPU.csdata,"",@progbits
; Kernel info:
; codeLenInByte = 0
; TotalNumSgprs: 0
; NumVgprs: 0
; ScratchSize: 0
; MemoryBound: 0
; FloatMode: 240
; IeeeMode: 1
; LDSByteSize: 0 bytes/workgroup (compile time only)
; SGPRBlocks: 0
; VGPRBlocks: 0
; NumSGPRsForWavesPerEU: 1
; NumVGPRsForWavesPerEU: 1
; Occupancy: 16
; WaveLimiterHint : 0
; COMPUTE_PGM_RSRC2:SCRATCH_EN: 0
; COMPUTE_PGM_RSRC2:USER_SGPR: 6
; COMPUTE_PGM_RSRC2:TRAP_HANDLER: 0
; COMPUTE_PGM_RSRC2:TGID_X_EN: 1
; COMPUTE_PGM_RSRC2:TGID_Y_EN: 0
; COMPUTE_PGM_RSRC2:TGID_Z_EN: 0
; COMPUTE_PGM_RSRC2:TIDIG_COMP_CNT: 0
	.section	.text._ZN7rocprim17ROCPRIM_400000_NS6detail17trampoline_kernelINS0_14default_configENS1_27scan_by_key_config_selectorIiiEEZZNS1_16scan_by_key_implILNS1_25lookback_scan_determinismE0ELb0ES3_N6thrust23THRUST_200600_302600_NS16reverse_iteratorIPKiEESD_NSA_IPiEEiN6hipcub16HIPCUB_304000_NS3MaxENSH_8EqualityEiEE10hipError_tPvRmT2_T3_T4_T5_mT6_T7_P12ihipStream_tbENKUlT_T0_E_clISt17integral_constantIbLb0EES10_EEDaSV_SW_EUlSV_E_NS1_11comp_targetILNS1_3genE10ELNS1_11target_archE1200ELNS1_3gpuE4ELNS1_3repE0EEENS1_30default_config_static_selectorELNS0_4arch9wavefront6targetE0EEEvT1_,"axG",@progbits,_ZN7rocprim17ROCPRIM_400000_NS6detail17trampoline_kernelINS0_14default_configENS1_27scan_by_key_config_selectorIiiEEZZNS1_16scan_by_key_implILNS1_25lookback_scan_determinismE0ELb0ES3_N6thrust23THRUST_200600_302600_NS16reverse_iteratorIPKiEESD_NSA_IPiEEiN6hipcub16HIPCUB_304000_NS3MaxENSH_8EqualityEiEE10hipError_tPvRmT2_T3_T4_T5_mT6_T7_P12ihipStream_tbENKUlT_T0_E_clISt17integral_constantIbLb0EES10_EEDaSV_SW_EUlSV_E_NS1_11comp_targetILNS1_3genE10ELNS1_11target_archE1200ELNS1_3gpuE4ELNS1_3repE0EEENS1_30default_config_static_selectorELNS0_4arch9wavefront6targetE0EEEvT1_,comdat
	.protected	_ZN7rocprim17ROCPRIM_400000_NS6detail17trampoline_kernelINS0_14default_configENS1_27scan_by_key_config_selectorIiiEEZZNS1_16scan_by_key_implILNS1_25lookback_scan_determinismE0ELb0ES3_N6thrust23THRUST_200600_302600_NS16reverse_iteratorIPKiEESD_NSA_IPiEEiN6hipcub16HIPCUB_304000_NS3MaxENSH_8EqualityEiEE10hipError_tPvRmT2_T3_T4_T5_mT6_T7_P12ihipStream_tbENKUlT_T0_E_clISt17integral_constantIbLb0EES10_EEDaSV_SW_EUlSV_E_NS1_11comp_targetILNS1_3genE10ELNS1_11target_archE1200ELNS1_3gpuE4ELNS1_3repE0EEENS1_30default_config_static_selectorELNS0_4arch9wavefront6targetE0EEEvT1_ ; -- Begin function _ZN7rocprim17ROCPRIM_400000_NS6detail17trampoline_kernelINS0_14default_configENS1_27scan_by_key_config_selectorIiiEEZZNS1_16scan_by_key_implILNS1_25lookback_scan_determinismE0ELb0ES3_N6thrust23THRUST_200600_302600_NS16reverse_iteratorIPKiEESD_NSA_IPiEEiN6hipcub16HIPCUB_304000_NS3MaxENSH_8EqualityEiEE10hipError_tPvRmT2_T3_T4_T5_mT6_T7_P12ihipStream_tbENKUlT_T0_E_clISt17integral_constantIbLb0EES10_EEDaSV_SW_EUlSV_E_NS1_11comp_targetILNS1_3genE10ELNS1_11target_archE1200ELNS1_3gpuE4ELNS1_3repE0EEENS1_30default_config_static_selectorELNS0_4arch9wavefront6targetE0EEEvT1_
	.globl	_ZN7rocprim17ROCPRIM_400000_NS6detail17trampoline_kernelINS0_14default_configENS1_27scan_by_key_config_selectorIiiEEZZNS1_16scan_by_key_implILNS1_25lookback_scan_determinismE0ELb0ES3_N6thrust23THRUST_200600_302600_NS16reverse_iteratorIPKiEESD_NSA_IPiEEiN6hipcub16HIPCUB_304000_NS3MaxENSH_8EqualityEiEE10hipError_tPvRmT2_T3_T4_T5_mT6_T7_P12ihipStream_tbENKUlT_T0_E_clISt17integral_constantIbLb0EES10_EEDaSV_SW_EUlSV_E_NS1_11comp_targetILNS1_3genE10ELNS1_11target_archE1200ELNS1_3gpuE4ELNS1_3repE0EEENS1_30default_config_static_selectorELNS0_4arch9wavefront6targetE0EEEvT1_
	.p2align	8
	.type	_ZN7rocprim17ROCPRIM_400000_NS6detail17trampoline_kernelINS0_14default_configENS1_27scan_by_key_config_selectorIiiEEZZNS1_16scan_by_key_implILNS1_25lookback_scan_determinismE0ELb0ES3_N6thrust23THRUST_200600_302600_NS16reverse_iteratorIPKiEESD_NSA_IPiEEiN6hipcub16HIPCUB_304000_NS3MaxENSH_8EqualityEiEE10hipError_tPvRmT2_T3_T4_T5_mT6_T7_P12ihipStream_tbENKUlT_T0_E_clISt17integral_constantIbLb0EES10_EEDaSV_SW_EUlSV_E_NS1_11comp_targetILNS1_3genE10ELNS1_11target_archE1200ELNS1_3gpuE4ELNS1_3repE0EEENS1_30default_config_static_selectorELNS0_4arch9wavefront6targetE0EEEvT1_,@function
_ZN7rocprim17ROCPRIM_400000_NS6detail17trampoline_kernelINS0_14default_configENS1_27scan_by_key_config_selectorIiiEEZZNS1_16scan_by_key_implILNS1_25lookback_scan_determinismE0ELb0ES3_N6thrust23THRUST_200600_302600_NS16reverse_iteratorIPKiEESD_NSA_IPiEEiN6hipcub16HIPCUB_304000_NS3MaxENSH_8EqualityEiEE10hipError_tPvRmT2_T3_T4_T5_mT6_T7_P12ihipStream_tbENKUlT_T0_E_clISt17integral_constantIbLb0EES10_EEDaSV_SW_EUlSV_E_NS1_11comp_targetILNS1_3genE10ELNS1_11target_archE1200ELNS1_3gpuE4ELNS1_3repE0EEENS1_30default_config_static_selectorELNS0_4arch9wavefront6targetE0EEEvT1_: ; @_ZN7rocprim17ROCPRIM_400000_NS6detail17trampoline_kernelINS0_14default_configENS1_27scan_by_key_config_selectorIiiEEZZNS1_16scan_by_key_implILNS1_25lookback_scan_determinismE0ELb0ES3_N6thrust23THRUST_200600_302600_NS16reverse_iteratorIPKiEESD_NSA_IPiEEiN6hipcub16HIPCUB_304000_NS3MaxENSH_8EqualityEiEE10hipError_tPvRmT2_T3_T4_T5_mT6_T7_P12ihipStream_tbENKUlT_T0_E_clISt17integral_constantIbLb0EES10_EEDaSV_SW_EUlSV_E_NS1_11comp_targetILNS1_3genE10ELNS1_11target_archE1200ELNS1_3gpuE4ELNS1_3repE0EEENS1_30default_config_static_selectorELNS0_4arch9wavefront6targetE0EEEvT1_
; %bb.0:
	.section	.rodata,"a",@progbits
	.p2align	6, 0x0
	.amdhsa_kernel _ZN7rocprim17ROCPRIM_400000_NS6detail17trampoline_kernelINS0_14default_configENS1_27scan_by_key_config_selectorIiiEEZZNS1_16scan_by_key_implILNS1_25lookback_scan_determinismE0ELb0ES3_N6thrust23THRUST_200600_302600_NS16reverse_iteratorIPKiEESD_NSA_IPiEEiN6hipcub16HIPCUB_304000_NS3MaxENSH_8EqualityEiEE10hipError_tPvRmT2_T3_T4_T5_mT6_T7_P12ihipStream_tbENKUlT_T0_E_clISt17integral_constantIbLb0EES10_EEDaSV_SW_EUlSV_E_NS1_11comp_targetILNS1_3genE10ELNS1_11target_archE1200ELNS1_3gpuE4ELNS1_3repE0EEENS1_30default_config_static_selectorELNS0_4arch9wavefront6targetE0EEEvT1_
		.amdhsa_group_segment_fixed_size 0
		.amdhsa_private_segment_fixed_size 0
		.amdhsa_kernarg_size 112
		.amdhsa_user_sgpr_count 6
		.amdhsa_user_sgpr_private_segment_buffer 1
		.amdhsa_user_sgpr_dispatch_ptr 0
		.amdhsa_user_sgpr_queue_ptr 0
		.amdhsa_user_sgpr_kernarg_segment_ptr 1
		.amdhsa_user_sgpr_dispatch_id 0
		.amdhsa_user_sgpr_flat_scratch_init 0
		.amdhsa_user_sgpr_private_segment_size 0
		.amdhsa_wavefront_size32 1
		.amdhsa_uses_dynamic_stack 0
		.amdhsa_system_sgpr_private_segment_wavefront_offset 0
		.amdhsa_system_sgpr_workgroup_id_x 1
		.amdhsa_system_sgpr_workgroup_id_y 0
		.amdhsa_system_sgpr_workgroup_id_z 0
		.amdhsa_system_sgpr_workgroup_info 0
		.amdhsa_system_vgpr_workitem_id 0
		.amdhsa_next_free_vgpr 1
		.amdhsa_next_free_sgpr 1
		.amdhsa_reserve_vcc 0
		.amdhsa_reserve_flat_scratch 0
		.amdhsa_float_round_mode_32 0
		.amdhsa_float_round_mode_16_64 0
		.amdhsa_float_denorm_mode_32 3
		.amdhsa_float_denorm_mode_16_64 3
		.amdhsa_dx10_clamp 1
		.amdhsa_ieee_mode 1
		.amdhsa_fp16_overflow 0
		.amdhsa_workgroup_processor_mode 1
		.amdhsa_memory_ordered 1
		.amdhsa_forward_progress 1
		.amdhsa_shared_vgpr_count 0
		.amdhsa_exception_fp_ieee_invalid_op 0
		.amdhsa_exception_fp_denorm_src 0
		.amdhsa_exception_fp_ieee_div_zero 0
		.amdhsa_exception_fp_ieee_overflow 0
		.amdhsa_exception_fp_ieee_underflow 0
		.amdhsa_exception_fp_ieee_inexact 0
		.amdhsa_exception_int_div_zero 0
	.end_amdhsa_kernel
	.section	.text._ZN7rocprim17ROCPRIM_400000_NS6detail17trampoline_kernelINS0_14default_configENS1_27scan_by_key_config_selectorIiiEEZZNS1_16scan_by_key_implILNS1_25lookback_scan_determinismE0ELb0ES3_N6thrust23THRUST_200600_302600_NS16reverse_iteratorIPKiEESD_NSA_IPiEEiN6hipcub16HIPCUB_304000_NS3MaxENSH_8EqualityEiEE10hipError_tPvRmT2_T3_T4_T5_mT6_T7_P12ihipStream_tbENKUlT_T0_E_clISt17integral_constantIbLb0EES10_EEDaSV_SW_EUlSV_E_NS1_11comp_targetILNS1_3genE10ELNS1_11target_archE1200ELNS1_3gpuE4ELNS1_3repE0EEENS1_30default_config_static_selectorELNS0_4arch9wavefront6targetE0EEEvT1_,"axG",@progbits,_ZN7rocprim17ROCPRIM_400000_NS6detail17trampoline_kernelINS0_14default_configENS1_27scan_by_key_config_selectorIiiEEZZNS1_16scan_by_key_implILNS1_25lookback_scan_determinismE0ELb0ES3_N6thrust23THRUST_200600_302600_NS16reverse_iteratorIPKiEESD_NSA_IPiEEiN6hipcub16HIPCUB_304000_NS3MaxENSH_8EqualityEiEE10hipError_tPvRmT2_T3_T4_T5_mT6_T7_P12ihipStream_tbENKUlT_T0_E_clISt17integral_constantIbLb0EES10_EEDaSV_SW_EUlSV_E_NS1_11comp_targetILNS1_3genE10ELNS1_11target_archE1200ELNS1_3gpuE4ELNS1_3repE0EEENS1_30default_config_static_selectorELNS0_4arch9wavefront6targetE0EEEvT1_,comdat
.Lfunc_end59:
	.size	_ZN7rocprim17ROCPRIM_400000_NS6detail17trampoline_kernelINS0_14default_configENS1_27scan_by_key_config_selectorIiiEEZZNS1_16scan_by_key_implILNS1_25lookback_scan_determinismE0ELb0ES3_N6thrust23THRUST_200600_302600_NS16reverse_iteratorIPKiEESD_NSA_IPiEEiN6hipcub16HIPCUB_304000_NS3MaxENSH_8EqualityEiEE10hipError_tPvRmT2_T3_T4_T5_mT6_T7_P12ihipStream_tbENKUlT_T0_E_clISt17integral_constantIbLb0EES10_EEDaSV_SW_EUlSV_E_NS1_11comp_targetILNS1_3genE10ELNS1_11target_archE1200ELNS1_3gpuE4ELNS1_3repE0EEENS1_30default_config_static_selectorELNS0_4arch9wavefront6targetE0EEEvT1_, .Lfunc_end59-_ZN7rocprim17ROCPRIM_400000_NS6detail17trampoline_kernelINS0_14default_configENS1_27scan_by_key_config_selectorIiiEEZZNS1_16scan_by_key_implILNS1_25lookback_scan_determinismE0ELb0ES3_N6thrust23THRUST_200600_302600_NS16reverse_iteratorIPKiEESD_NSA_IPiEEiN6hipcub16HIPCUB_304000_NS3MaxENSH_8EqualityEiEE10hipError_tPvRmT2_T3_T4_T5_mT6_T7_P12ihipStream_tbENKUlT_T0_E_clISt17integral_constantIbLb0EES10_EEDaSV_SW_EUlSV_E_NS1_11comp_targetILNS1_3genE10ELNS1_11target_archE1200ELNS1_3gpuE4ELNS1_3repE0EEENS1_30default_config_static_selectorELNS0_4arch9wavefront6targetE0EEEvT1_
                                        ; -- End function
	.set _ZN7rocprim17ROCPRIM_400000_NS6detail17trampoline_kernelINS0_14default_configENS1_27scan_by_key_config_selectorIiiEEZZNS1_16scan_by_key_implILNS1_25lookback_scan_determinismE0ELb0ES3_N6thrust23THRUST_200600_302600_NS16reverse_iteratorIPKiEESD_NSA_IPiEEiN6hipcub16HIPCUB_304000_NS3MaxENSH_8EqualityEiEE10hipError_tPvRmT2_T3_T4_T5_mT6_T7_P12ihipStream_tbENKUlT_T0_E_clISt17integral_constantIbLb0EES10_EEDaSV_SW_EUlSV_E_NS1_11comp_targetILNS1_3genE10ELNS1_11target_archE1200ELNS1_3gpuE4ELNS1_3repE0EEENS1_30default_config_static_selectorELNS0_4arch9wavefront6targetE0EEEvT1_.num_vgpr, 0
	.set _ZN7rocprim17ROCPRIM_400000_NS6detail17trampoline_kernelINS0_14default_configENS1_27scan_by_key_config_selectorIiiEEZZNS1_16scan_by_key_implILNS1_25lookback_scan_determinismE0ELb0ES3_N6thrust23THRUST_200600_302600_NS16reverse_iteratorIPKiEESD_NSA_IPiEEiN6hipcub16HIPCUB_304000_NS3MaxENSH_8EqualityEiEE10hipError_tPvRmT2_T3_T4_T5_mT6_T7_P12ihipStream_tbENKUlT_T0_E_clISt17integral_constantIbLb0EES10_EEDaSV_SW_EUlSV_E_NS1_11comp_targetILNS1_3genE10ELNS1_11target_archE1200ELNS1_3gpuE4ELNS1_3repE0EEENS1_30default_config_static_selectorELNS0_4arch9wavefront6targetE0EEEvT1_.num_agpr, 0
	.set _ZN7rocprim17ROCPRIM_400000_NS6detail17trampoline_kernelINS0_14default_configENS1_27scan_by_key_config_selectorIiiEEZZNS1_16scan_by_key_implILNS1_25lookback_scan_determinismE0ELb0ES3_N6thrust23THRUST_200600_302600_NS16reverse_iteratorIPKiEESD_NSA_IPiEEiN6hipcub16HIPCUB_304000_NS3MaxENSH_8EqualityEiEE10hipError_tPvRmT2_T3_T4_T5_mT6_T7_P12ihipStream_tbENKUlT_T0_E_clISt17integral_constantIbLb0EES10_EEDaSV_SW_EUlSV_E_NS1_11comp_targetILNS1_3genE10ELNS1_11target_archE1200ELNS1_3gpuE4ELNS1_3repE0EEENS1_30default_config_static_selectorELNS0_4arch9wavefront6targetE0EEEvT1_.numbered_sgpr, 0
	.set _ZN7rocprim17ROCPRIM_400000_NS6detail17trampoline_kernelINS0_14default_configENS1_27scan_by_key_config_selectorIiiEEZZNS1_16scan_by_key_implILNS1_25lookback_scan_determinismE0ELb0ES3_N6thrust23THRUST_200600_302600_NS16reverse_iteratorIPKiEESD_NSA_IPiEEiN6hipcub16HIPCUB_304000_NS3MaxENSH_8EqualityEiEE10hipError_tPvRmT2_T3_T4_T5_mT6_T7_P12ihipStream_tbENKUlT_T0_E_clISt17integral_constantIbLb0EES10_EEDaSV_SW_EUlSV_E_NS1_11comp_targetILNS1_3genE10ELNS1_11target_archE1200ELNS1_3gpuE4ELNS1_3repE0EEENS1_30default_config_static_selectorELNS0_4arch9wavefront6targetE0EEEvT1_.num_named_barrier, 0
	.set _ZN7rocprim17ROCPRIM_400000_NS6detail17trampoline_kernelINS0_14default_configENS1_27scan_by_key_config_selectorIiiEEZZNS1_16scan_by_key_implILNS1_25lookback_scan_determinismE0ELb0ES3_N6thrust23THRUST_200600_302600_NS16reverse_iteratorIPKiEESD_NSA_IPiEEiN6hipcub16HIPCUB_304000_NS3MaxENSH_8EqualityEiEE10hipError_tPvRmT2_T3_T4_T5_mT6_T7_P12ihipStream_tbENKUlT_T0_E_clISt17integral_constantIbLb0EES10_EEDaSV_SW_EUlSV_E_NS1_11comp_targetILNS1_3genE10ELNS1_11target_archE1200ELNS1_3gpuE4ELNS1_3repE0EEENS1_30default_config_static_selectorELNS0_4arch9wavefront6targetE0EEEvT1_.private_seg_size, 0
	.set _ZN7rocprim17ROCPRIM_400000_NS6detail17trampoline_kernelINS0_14default_configENS1_27scan_by_key_config_selectorIiiEEZZNS1_16scan_by_key_implILNS1_25lookback_scan_determinismE0ELb0ES3_N6thrust23THRUST_200600_302600_NS16reverse_iteratorIPKiEESD_NSA_IPiEEiN6hipcub16HIPCUB_304000_NS3MaxENSH_8EqualityEiEE10hipError_tPvRmT2_T3_T4_T5_mT6_T7_P12ihipStream_tbENKUlT_T0_E_clISt17integral_constantIbLb0EES10_EEDaSV_SW_EUlSV_E_NS1_11comp_targetILNS1_3genE10ELNS1_11target_archE1200ELNS1_3gpuE4ELNS1_3repE0EEENS1_30default_config_static_selectorELNS0_4arch9wavefront6targetE0EEEvT1_.uses_vcc, 0
	.set _ZN7rocprim17ROCPRIM_400000_NS6detail17trampoline_kernelINS0_14default_configENS1_27scan_by_key_config_selectorIiiEEZZNS1_16scan_by_key_implILNS1_25lookback_scan_determinismE0ELb0ES3_N6thrust23THRUST_200600_302600_NS16reverse_iteratorIPKiEESD_NSA_IPiEEiN6hipcub16HIPCUB_304000_NS3MaxENSH_8EqualityEiEE10hipError_tPvRmT2_T3_T4_T5_mT6_T7_P12ihipStream_tbENKUlT_T0_E_clISt17integral_constantIbLb0EES10_EEDaSV_SW_EUlSV_E_NS1_11comp_targetILNS1_3genE10ELNS1_11target_archE1200ELNS1_3gpuE4ELNS1_3repE0EEENS1_30default_config_static_selectorELNS0_4arch9wavefront6targetE0EEEvT1_.uses_flat_scratch, 0
	.set _ZN7rocprim17ROCPRIM_400000_NS6detail17trampoline_kernelINS0_14default_configENS1_27scan_by_key_config_selectorIiiEEZZNS1_16scan_by_key_implILNS1_25lookback_scan_determinismE0ELb0ES3_N6thrust23THRUST_200600_302600_NS16reverse_iteratorIPKiEESD_NSA_IPiEEiN6hipcub16HIPCUB_304000_NS3MaxENSH_8EqualityEiEE10hipError_tPvRmT2_T3_T4_T5_mT6_T7_P12ihipStream_tbENKUlT_T0_E_clISt17integral_constantIbLb0EES10_EEDaSV_SW_EUlSV_E_NS1_11comp_targetILNS1_3genE10ELNS1_11target_archE1200ELNS1_3gpuE4ELNS1_3repE0EEENS1_30default_config_static_selectorELNS0_4arch9wavefront6targetE0EEEvT1_.has_dyn_sized_stack, 0
	.set _ZN7rocprim17ROCPRIM_400000_NS6detail17trampoline_kernelINS0_14default_configENS1_27scan_by_key_config_selectorIiiEEZZNS1_16scan_by_key_implILNS1_25lookback_scan_determinismE0ELb0ES3_N6thrust23THRUST_200600_302600_NS16reverse_iteratorIPKiEESD_NSA_IPiEEiN6hipcub16HIPCUB_304000_NS3MaxENSH_8EqualityEiEE10hipError_tPvRmT2_T3_T4_T5_mT6_T7_P12ihipStream_tbENKUlT_T0_E_clISt17integral_constantIbLb0EES10_EEDaSV_SW_EUlSV_E_NS1_11comp_targetILNS1_3genE10ELNS1_11target_archE1200ELNS1_3gpuE4ELNS1_3repE0EEENS1_30default_config_static_selectorELNS0_4arch9wavefront6targetE0EEEvT1_.has_recursion, 0
	.set _ZN7rocprim17ROCPRIM_400000_NS6detail17trampoline_kernelINS0_14default_configENS1_27scan_by_key_config_selectorIiiEEZZNS1_16scan_by_key_implILNS1_25lookback_scan_determinismE0ELb0ES3_N6thrust23THRUST_200600_302600_NS16reverse_iteratorIPKiEESD_NSA_IPiEEiN6hipcub16HIPCUB_304000_NS3MaxENSH_8EqualityEiEE10hipError_tPvRmT2_T3_T4_T5_mT6_T7_P12ihipStream_tbENKUlT_T0_E_clISt17integral_constantIbLb0EES10_EEDaSV_SW_EUlSV_E_NS1_11comp_targetILNS1_3genE10ELNS1_11target_archE1200ELNS1_3gpuE4ELNS1_3repE0EEENS1_30default_config_static_selectorELNS0_4arch9wavefront6targetE0EEEvT1_.has_indirect_call, 0
	.section	.AMDGPU.csdata,"",@progbits
; Kernel info:
; codeLenInByte = 0
; TotalNumSgprs: 0
; NumVgprs: 0
; ScratchSize: 0
; MemoryBound: 0
; FloatMode: 240
; IeeeMode: 1
; LDSByteSize: 0 bytes/workgroup (compile time only)
; SGPRBlocks: 0
; VGPRBlocks: 0
; NumSGPRsForWavesPerEU: 1
; NumVGPRsForWavesPerEU: 1
; Occupancy: 16
; WaveLimiterHint : 0
; COMPUTE_PGM_RSRC2:SCRATCH_EN: 0
; COMPUTE_PGM_RSRC2:USER_SGPR: 6
; COMPUTE_PGM_RSRC2:TRAP_HANDLER: 0
; COMPUTE_PGM_RSRC2:TGID_X_EN: 1
; COMPUTE_PGM_RSRC2:TGID_Y_EN: 0
; COMPUTE_PGM_RSRC2:TGID_Z_EN: 0
; COMPUTE_PGM_RSRC2:TIDIG_COMP_CNT: 0
	.section	.text._ZN7rocprim17ROCPRIM_400000_NS6detail17trampoline_kernelINS0_14default_configENS1_27scan_by_key_config_selectorIiiEEZZNS1_16scan_by_key_implILNS1_25lookback_scan_determinismE0ELb0ES3_N6thrust23THRUST_200600_302600_NS16reverse_iteratorIPKiEESD_NSA_IPiEEiN6hipcub16HIPCUB_304000_NS3MaxENSH_8EqualityEiEE10hipError_tPvRmT2_T3_T4_T5_mT6_T7_P12ihipStream_tbENKUlT_T0_E_clISt17integral_constantIbLb0EES10_EEDaSV_SW_EUlSV_E_NS1_11comp_targetILNS1_3genE9ELNS1_11target_archE1100ELNS1_3gpuE3ELNS1_3repE0EEENS1_30default_config_static_selectorELNS0_4arch9wavefront6targetE0EEEvT1_,"axG",@progbits,_ZN7rocprim17ROCPRIM_400000_NS6detail17trampoline_kernelINS0_14default_configENS1_27scan_by_key_config_selectorIiiEEZZNS1_16scan_by_key_implILNS1_25lookback_scan_determinismE0ELb0ES3_N6thrust23THRUST_200600_302600_NS16reverse_iteratorIPKiEESD_NSA_IPiEEiN6hipcub16HIPCUB_304000_NS3MaxENSH_8EqualityEiEE10hipError_tPvRmT2_T3_T4_T5_mT6_T7_P12ihipStream_tbENKUlT_T0_E_clISt17integral_constantIbLb0EES10_EEDaSV_SW_EUlSV_E_NS1_11comp_targetILNS1_3genE9ELNS1_11target_archE1100ELNS1_3gpuE3ELNS1_3repE0EEENS1_30default_config_static_selectorELNS0_4arch9wavefront6targetE0EEEvT1_,comdat
	.protected	_ZN7rocprim17ROCPRIM_400000_NS6detail17trampoline_kernelINS0_14default_configENS1_27scan_by_key_config_selectorIiiEEZZNS1_16scan_by_key_implILNS1_25lookback_scan_determinismE0ELb0ES3_N6thrust23THRUST_200600_302600_NS16reverse_iteratorIPKiEESD_NSA_IPiEEiN6hipcub16HIPCUB_304000_NS3MaxENSH_8EqualityEiEE10hipError_tPvRmT2_T3_T4_T5_mT6_T7_P12ihipStream_tbENKUlT_T0_E_clISt17integral_constantIbLb0EES10_EEDaSV_SW_EUlSV_E_NS1_11comp_targetILNS1_3genE9ELNS1_11target_archE1100ELNS1_3gpuE3ELNS1_3repE0EEENS1_30default_config_static_selectorELNS0_4arch9wavefront6targetE0EEEvT1_ ; -- Begin function _ZN7rocprim17ROCPRIM_400000_NS6detail17trampoline_kernelINS0_14default_configENS1_27scan_by_key_config_selectorIiiEEZZNS1_16scan_by_key_implILNS1_25lookback_scan_determinismE0ELb0ES3_N6thrust23THRUST_200600_302600_NS16reverse_iteratorIPKiEESD_NSA_IPiEEiN6hipcub16HIPCUB_304000_NS3MaxENSH_8EqualityEiEE10hipError_tPvRmT2_T3_T4_T5_mT6_T7_P12ihipStream_tbENKUlT_T0_E_clISt17integral_constantIbLb0EES10_EEDaSV_SW_EUlSV_E_NS1_11comp_targetILNS1_3genE9ELNS1_11target_archE1100ELNS1_3gpuE3ELNS1_3repE0EEENS1_30default_config_static_selectorELNS0_4arch9wavefront6targetE0EEEvT1_
	.globl	_ZN7rocprim17ROCPRIM_400000_NS6detail17trampoline_kernelINS0_14default_configENS1_27scan_by_key_config_selectorIiiEEZZNS1_16scan_by_key_implILNS1_25lookback_scan_determinismE0ELb0ES3_N6thrust23THRUST_200600_302600_NS16reverse_iteratorIPKiEESD_NSA_IPiEEiN6hipcub16HIPCUB_304000_NS3MaxENSH_8EqualityEiEE10hipError_tPvRmT2_T3_T4_T5_mT6_T7_P12ihipStream_tbENKUlT_T0_E_clISt17integral_constantIbLb0EES10_EEDaSV_SW_EUlSV_E_NS1_11comp_targetILNS1_3genE9ELNS1_11target_archE1100ELNS1_3gpuE3ELNS1_3repE0EEENS1_30default_config_static_selectorELNS0_4arch9wavefront6targetE0EEEvT1_
	.p2align	8
	.type	_ZN7rocprim17ROCPRIM_400000_NS6detail17trampoline_kernelINS0_14default_configENS1_27scan_by_key_config_selectorIiiEEZZNS1_16scan_by_key_implILNS1_25lookback_scan_determinismE0ELb0ES3_N6thrust23THRUST_200600_302600_NS16reverse_iteratorIPKiEESD_NSA_IPiEEiN6hipcub16HIPCUB_304000_NS3MaxENSH_8EqualityEiEE10hipError_tPvRmT2_T3_T4_T5_mT6_T7_P12ihipStream_tbENKUlT_T0_E_clISt17integral_constantIbLb0EES10_EEDaSV_SW_EUlSV_E_NS1_11comp_targetILNS1_3genE9ELNS1_11target_archE1100ELNS1_3gpuE3ELNS1_3repE0EEENS1_30default_config_static_selectorELNS0_4arch9wavefront6targetE0EEEvT1_,@function
_ZN7rocprim17ROCPRIM_400000_NS6detail17trampoline_kernelINS0_14default_configENS1_27scan_by_key_config_selectorIiiEEZZNS1_16scan_by_key_implILNS1_25lookback_scan_determinismE0ELb0ES3_N6thrust23THRUST_200600_302600_NS16reverse_iteratorIPKiEESD_NSA_IPiEEiN6hipcub16HIPCUB_304000_NS3MaxENSH_8EqualityEiEE10hipError_tPvRmT2_T3_T4_T5_mT6_T7_P12ihipStream_tbENKUlT_T0_E_clISt17integral_constantIbLb0EES10_EEDaSV_SW_EUlSV_E_NS1_11comp_targetILNS1_3genE9ELNS1_11target_archE1100ELNS1_3gpuE3ELNS1_3repE0EEENS1_30default_config_static_selectorELNS0_4arch9wavefront6targetE0EEEvT1_: ; @_ZN7rocprim17ROCPRIM_400000_NS6detail17trampoline_kernelINS0_14default_configENS1_27scan_by_key_config_selectorIiiEEZZNS1_16scan_by_key_implILNS1_25lookback_scan_determinismE0ELb0ES3_N6thrust23THRUST_200600_302600_NS16reverse_iteratorIPKiEESD_NSA_IPiEEiN6hipcub16HIPCUB_304000_NS3MaxENSH_8EqualityEiEE10hipError_tPvRmT2_T3_T4_T5_mT6_T7_P12ihipStream_tbENKUlT_T0_E_clISt17integral_constantIbLb0EES10_EEDaSV_SW_EUlSV_E_NS1_11comp_targetILNS1_3genE9ELNS1_11target_archE1100ELNS1_3gpuE3ELNS1_3repE0EEENS1_30default_config_static_selectorELNS0_4arch9wavefront6targetE0EEEvT1_
; %bb.0:
	.section	.rodata,"a",@progbits
	.p2align	6, 0x0
	.amdhsa_kernel _ZN7rocprim17ROCPRIM_400000_NS6detail17trampoline_kernelINS0_14default_configENS1_27scan_by_key_config_selectorIiiEEZZNS1_16scan_by_key_implILNS1_25lookback_scan_determinismE0ELb0ES3_N6thrust23THRUST_200600_302600_NS16reverse_iteratorIPKiEESD_NSA_IPiEEiN6hipcub16HIPCUB_304000_NS3MaxENSH_8EqualityEiEE10hipError_tPvRmT2_T3_T4_T5_mT6_T7_P12ihipStream_tbENKUlT_T0_E_clISt17integral_constantIbLb0EES10_EEDaSV_SW_EUlSV_E_NS1_11comp_targetILNS1_3genE9ELNS1_11target_archE1100ELNS1_3gpuE3ELNS1_3repE0EEENS1_30default_config_static_selectorELNS0_4arch9wavefront6targetE0EEEvT1_
		.amdhsa_group_segment_fixed_size 0
		.amdhsa_private_segment_fixed_size 0
		.amdhsa_kernarg_size 112
		.amdhsa_user_sgpr_count 6
		.amdhsa_user_sgpr_private_segment_buffer 1
		.amdhsa_user_sgpr_dispatch_ptr 0
		.amdhsa_user_sgpr_queue_ptr 0
		.amdhsa_user_sgpr_kernarg_segment_ptr 1
		.amdhsa_user_sgpr_dispatch_id 0
		.amdhsa_user_sgpr_flat_scratch_init 0
		.amdhsa_user_sgpr_private_segment_size 0
		.amdhsa_wavefront_size32 1
		.amdhsa_uses_dynamic_stack 0
		.amdhsa_system_sgpr_private_segment_wavefront_offset 0
		.amdhsa_system_sgpr_workgroup_id_x 1
		.amdhsa_system_sgpr_workgroup_id_y 0
		.amdhsa_system_sgpr_workgroup_id_z 0
		.amdhsa_system_sgpr_workgroup_info 0
		.amdhsa_system_vgpr_workitem_id 0
		.amdhsa_next_free_vgpr 1
		.amdhsa_next_free_sgpr 1
		.amdhsa_reserve_vcc 0
		.amdhsa_reserve_flat_scratch 0
		.amdhsa_float_round_mode_32 0
		.amdhsa_float_round_mode_16_64 0
		.amdhsa_float_denorm_mode_32 3
		.amdhsa_float_denorm_mode_16_64 3
		.amdhsa_dx10_clamp 1
		.amdhsa_ieee_mode 1
		.amdhsa_fp16_overflow 0
		.amdhsa_workgroup_processor_mode 1
		.amdhsa_memory_ordered 1
		.amdhsa_forward_progress 1
		.amdhsa_shared_vgpr_count 0
		.amdhsa_exception_fp_ieee_invalid_op 0
		.amdhsa_exception_fp_denorm_src 0
		.amdhsa_exception_fp_ieee_div_zero 0
		.amdhsa_exception_fp_ieee_overflow 0
		.amdhsa_exception_fp_ieee_underflow 0
		.amdhsa_exception_fp_ieee_inexact 0
		.amdhsa_exception_int_div_zero 0
	.end_amdhsa_kernel
	.section	.text._ZN7rocprim17ROCPRIM_400000_NS6detail17trampoline_kernelINS0_14default_configENS1_27scan_by_key_config_selectorIiiEEZZNS1_16scan_by_key_implILNS1_25lookback_scan_determinismE0ELb0ES3_N6thrust23THRUST_200600_302600_NS16reverse_iteratorIPKiEESD_NSA_IPiEEiN6hipcub16HIPCUB_304000_NS3MaxENSH_8EqualityEiEE10hipError_tPvRmT2_T3_T4_T5_mT6_T7_P12ihipStream_tbENKUlT_T0_E_clISt17integral_constantIbLb0EES10_EEDaSV_SW_EUlSV_E_NS1_11comp_targetILNS1_3genE9ELNS1_11target_archE1100ELNS1_3gpuE3ELNS1_3repE0EEENS1_30default_config_static_selectorELNS0_4arch9wavefront6targetE0EEEvT1_,"axG",@progbits,_ZN7rocprim17ROCPRIM_400000_NS6detail17trampoline_kernelINS0_14default_configENS1_27scan_by_key_config_selectorIiiEEZZNS1_16scan_by_key_implILNS1_25lookback_scan_determinismE0ELb0ES3_N6thrust23THRUST_200600_302600_NS16reverse_iteratorIPKiEESD_NSA_IPiEEiN6hipcub16HIPCUB_304000_NS3MaxENSH_8EqualityEiEE10hipError_tPvRmT2_T3_T4_T5_mT6_T7_P12ihipStream_tbENKUlT_T0_E_clISt17integral_constantIbLb0EES10_EEDaSV_SW_EUlSV_E_NS1_11comp_targetILNS1_3genE9ELNS1_11target_archE1100ELNS1_3gpuE3ELNS1_3repE0EEENS1_30default_config_static_selectorELNS0_4arch9wavefront6targetE0EEEvT1_,comdat
.Lfunc_end60:
	.size	_ZN7rocprim17ROCPRIM_400000_NS6detail17trampoline_kernelINS0_14default_configENS1_27scan_by_key_config_selectorIiiEEZZNS1_16scan_by_key_implILNS1_25lookback_scan_determinismE0ELb0ES3_N6thrust23THRUST_200600_302600_NS16reverse_iteratorIPKiEESD_NSA_IPiEEiN6hipcub16HIPCUB_304000_NS3MaxENSH_8EqualityEiEE10hipError_tPvRmT2_T3_T4_T5_mT6_T7_P12ihipStream_tbENKUlT_T0_E_clISt17integral_constantIbLb0EES10_EEDaSV_SW_EUlSV_E_NS1_11comp_targetILNS1_3genE9ELNS1_11target_archE1100ELNS1_3gpuE3ELNS1_3repE0EEENS1_30default_config_static_selectorELNS0_4arch9wavefront6targetE0EEEvT1_, .Lfunc_end60-_ZN7rocprim17ROCPRIM_400000_NS6detail17trampoline_kernelINS0_14default_configENS1_27scan_by_key_config_selectorIiiEEZZNS1_16scan_by_key_implILNS1_25lookback_scan_determinismE0ELb0ES3_N6thrust23THRUST_200600_302600_NS16reverse_iteratorIPKiEESD_NSA_IPiEEiN6hipcub16HIPCUB_304000_NS3MaxENSH_8EqualityEiEE10hipError_tPvRmT2_T3_T4_T5_mT6_T7_P12ihipStream_tbENKUlT_T0_E_clISt17integral_constantIbLb0EES10_EEDaSV_SW_EUlSV_E_NS1_11comp_targetILNS1_3genE9ELNS1_11target_archE1100ELNS1_3gpuE3ELNS1_3repE0EEENS1_30default_config_static_selectorELNS0_4arch9wavefront6targetE0EEEvT1_
                                        ; -- End function
	.set _ZN7rocprim17ROCPRIM_400000_NS6detail17trampoline_kernelINS0_14default_configENS1_27scan_by_key_config_selectorIiiEEZZNS1_16scan_by_key_implILNS1_25lookback_scan_determinismE0ELb0ES3_N6thrust23THRUST_200600_302600_NS16reverse_iteratorIPKiEESD_NSA_IPiEEiN6hipcub16HIPCUB_304000_NS3MaxENSH_8EqualityEiEE10hipError_tPvRmT2_T3_T4_T5_mT6_T7_P12ihipStream_tbENKUlT_T0_E_clISt17integral_constantIbLb0EES10_EEDaSV_SW_EUlSV_E_NS1_11comp_targetILNS1_3genE9ELNS1_11target_archE1100ELNS1_3gpuE3ELNS1_3repE0EEENS1_30default_config_static_selectorELNS0_4arch9wavefront6targetE0EEEvT1_.num_vgpr, 0
	.set _ZN7rocprim17ROCPRIM_400000_NS6detail17trampoline_kernelINS0_14default_configENS1_27scan_by_key_config_selectorIiiEEZZNS1_16scan_by_key_implILNS1_25lookback_scan_determinismE0ELb0ES3_N6thrust23THRUST_200600_302600_NS16reverse_iteratorIPKiEESD_NSA_IPiEEiN6hipcub16HIPCUB_304000_NS3MaxENSH_8EqualityEiEE10hipError_tPvRmT2_T3_T4_T5_mT6_T7_P12ihipStream_tbENKUlT_T0_E_clISt17integral_constantIbLb0EES10_EEDaSV_SW_EUlSV_E_NS1_11comp_targetILNS1_3genE9ELNS1_11target_archE1100ELNS1_3gpuE3ELNS1_3repE0EEENS1_30default_config_static_selectorELNS0_4arch9wavefront6targetE0EEEvT1_.num_agpr, 0
	.set _ZN7rocprim17ROCPRIM_400000_NS6detail17trampoline_kernelINS0_14default_configENS1_27scan_by_key_config_selectorIiiEEZZNS1_16scan_by_key_implILNS1_25lookback_scan_determinismE0ELb0ES3_N6thrust23THRUST_200600_302600_NS16reverse_iteratorIPKiEESD_NSA_IPiEEiN6hipcub16HIPCUB_304000_NS3MaxENSH_8EqualityEiEE10hipError_tPvRmT2_T3_T4_T5_mT6_T7_P12ihipStream_tbENKUlT_T0_E_clISt17integral_constantIbLb0EES10_EEDaSV_SW_EUlSV_E_NS1_11comp_targetILNS1_3genE9ELNS1_11target_archE1100ELNS1_3gpuE3ELNS1_3repE0EEENS1_30default_config_static_selectorELNS0_4arch9wavefront6targetE0EEEvT1_.numbered_sgpr, 0
	.set _ZN7rocprim17ROCPRIM_400000_NS6detail17trampoline_kernelINS0_14default_configENS1_27scan_by_key_config_selectorIiiEEZZNS1_16scan_by_key_implILNS1_25lookback_scan_determinismE0ELb0ES3_N6thrust23THRUST_200600_302600_NS16reverse_iteratorIPKiEESD_NSA_IPiEEiN6hipcub16HIPCUB_304000_NS3MaxENSH_8EqualityEiEE10hipError_tPvRmT2_T3_T4_T5_mT6_T7_P12ihipStream_tbENKUlT_T0_E_clISt17integral_constantIbLb0EES10_EEDaSV_SW_EUlSV_E_NS1_11comp_targetILNS1_3genE9ELNS1_11target_archE1100ELNS1_3gpuE3ELNS1_3repE0EEENS1_30default_config_static_selectorELNS0_4arch9wavefront6targetE0EEEvT1_.num_named_barrier, 0
	.set _ZN7rocprim17ROCPRIM_400000_NS6detail17trampoline_kernelINS0_14default_configENS1_27scan_by_key_config_selectorIiiEEZZNS1_16scan_by_key_implILNS1_25lookback_scan_determinismE0ELb0ES3_N6thrust23THRUST_200600_302600_NS16reverse_iteratorIPKiEESD_NSA_IPiEEiN6hipcub16HIPCUB_304000_NS3MaxENSH_8EqualityEiEE10hipError_tPvRmT2_T3_T4_T5_mT6_T7_P12ihipStream_tbENKUlT_T0_E_clISt17integral_constantIbLb0EES10_EEDaSV_SW_EUlSV_E_NS1_11comp_targetILNS1_3genE9ELNS1_11target_archE1100ELNS1_3gpuE3ELNS1_3repE0EEENS1_30default_config_static_selectorELNS0_4arch9wavefront6targetE0EEEvT1_.private_seg_size, 0
	.set _ZN7rocprim17ROCPRIM_400000_NS6detail17trampoline_kernelINS0_14default_configENS1_27scan_by_key_config_selectorIiiEEZZNS1_16scan_by_key_implILNS1_25lookback_scan_determinismE0ELb0ES3_N6thrust23THRUST_200600_302600_NS16reverse_iteratorIPKiEESD_NSA_IPiEEiN6hipcub16HIPCUB_304000_NS3MaxENSH_8EqualityEiEE10hipError_tPvRmT2_T3_T4_T5_mT6_T7_P12ihipStream_tbENKUlT_T0_E_clISt17integral_constantIbLb0EES10_EEDaSV_SW_EUlSV_E_NS1_11comp_targetILNS1_3genE9ELNS1_11target_archE1100ELNS1_3gpuE3ELNS1_3repE0EEENS1_30default_config_static_selectorELNS0_4arch9wavefront6targetE0EEEvT1_.uses_vcc, 0
	.set _ZN7rocprim17ROCPRIM_400000_NS6detail17trampoline_kernelINS0_14default_configENS1_27scan_by_key_config_selectorIiiEEZZNS1_16scan_by_key_implILNS1_25lookback_scan_determinismE0ELb0ES3_N6thrust23THRUST_200600_302600_NS16reverse_iteratorIPKiEESD_NSA_IPiEEiN6hipcub16HIPCUB_304000_NS3MaxENSH_8EqualityEiEE10hipError_tPvRmT2_T3_T4_T5_mT6_T7_P12ihipStream_tbENKUlT_T0_E_clISt17integral_constantIbLb0EES10_EEDaSV_SW_EUlSV_E_NS1_11comp_targetILNS1_3genE9ELNS1_11target_archE1100ELNS1_3gpuE3ELNS1_3repE0EEENS1_30default_config_static_selectorELNS0_4arch9wavefront6targetE0EEEvT1_.uses_flat_scratch, 0
	.set _ZN7rocprim17ROCPRIM_400000_NS6detail17trampoline_kernelINS0_14default_configENS1_27scan_by_key_config_selectorIiiEEZZNS1_16scan_by_key_implILNS1_25lookback_scan_determinismE0ELb0ES3_N6thrust23THRUST_200600_302600_NS16reverse_iteratorIPKiEESD_NSA_IPiEEiN6hipcub16HIPCUB_304000_NS3MaxENSH_8EqualityEiEE10hipError_tPvRmT2_T3_T4_T5_mT6_T7_P12ihipStream_tbENKUlT_T0_E_clISt17integral_constantIbLb0EES10_EEDaSV_SW_EUlSV_E_NS1_11comp_targetILNS1_3genE9ELNS1_11target_archE1100ELNS1_3gpuE3ELNS1_3repE0EEENS1_30default_config_static_selectorELNS0_4arch9wavefront6targetE0EEEvT1_.has_dyn_sized_stack, 0
	.set _ZN7rocprim17ROCPRIM_400000_NS6detail17trampoline_kernelINS0_14default_configENS1_27scan_by_key_config_selectorIiiEEZZNS1_16scan_by_key_implILNS1_25lookback_scan_determinismE0ELb0ES3_N6thrust23THRUST_200600_302600_NS16reverse_iteratorIPKiEESD_NSA_IPiEEiN6hipcub16HIPCUB_304000_NS3MaxENSH_8EqualityEiEE10hipError_tPvRmT2_T3_T4_T5_mT6_T7_P12ihipStream_tbENKUlT_T0_E_clISt17integral_constantIbLb0EES10_EEDaSV_SW_EUlSV_E_NS1_11comp_targetILNS1_3genE9ELNS1_11target_archE1100ELNS1_3gpuE3ELNS1_3repE0EEENS1_30default_config_static_selectorELNS0_4arch9wavefront6targetE0EEEvT1_.has_recursion, 0
	.set _ZN7rocprim17ROCPRIM_400000_NS6detail17trampoline_kernelINS0_14default_configENS1_27scan_by_key_config_selectorIiiEEZZNS1_16scan_by_key_implILNS1_25lookback_scan_determinismE0ELb0ES3_N6thrust23THRUST_200600_302600_NS16reverse_iteratorIPKiEESD_NSA_IPiEEiN6hipcub16HIPCUB_304000_NS3MaxENSH_8EqualityEiEE10hipError_tPvRmT2_T3_T4_T5_mT6_T7_P12ihipStream_tbENKUlT_T0_E_clISt17integral_constantIbLb0EES10_EEDaSV_SW_EUlSV_E_NS1_11comp_targetILNS1_3genE9ELNS1_11target_archE1100ELNS1_3gpuE3ELNS1_3repE0EEENS1_30default_config_static_selectorELNS0_4arch9wavefront6targetE0EEEvT1_.has_indirect_call, 0
	.section	.AMDGPU.csdata,"",@progbits
; Kernel info:
; codeLenInByte = 0
; TotalNumSgprs: 0
; NumVgprs: 0
; ScratchSize: 0
; MemoryBound: 0
; FloatMode: 240
; IeeeMode: 1
; LDSByteSize: 0 bytes/workgroup (compile time only)
; SGPRBlocks: 0
; VGPRBlocks: 0
; NumSGPRsForWavesPerEU: 1
; NumVGPRsForWavesPerEU: 1
; Occupancy: 16
; WaveLimiterHint : 0
; COMPUTE_PGM_RSRC2:SCRATCH_EN: 0
; COMPUTE_PGM_RSRC2:USER_SGPR: 6
; COMPUTE_PGM_RSRC2:TRAP_HANDLER: 0
; COMPUTE_PGM_RSRC2:TGID_X_EN: 1
; COMPUTE_PGM_RSRC2:TGID_Y_EN: 0
; COMPUTE_PGM_RSRC2:TGID_Z_EN: 0
; COMPUTE_PGM_RSRC2:TIDIG_COMP_CNT: 0
	.section	.text._ZN7rocprim17ROCPRIM_400000_NS6detail17trampoline_kernelINS0_14default_configENS1_27scan_by_key_config_selectorIiiEEZZNS1_16scan_by_key_implILNS1_25lookback_scan_determinismE0ELb0ES3_N6thrust23THRUST_200600_302600_NS16reverse_iteratorIPKiEESD_NSA_IPiEEiN6hipcub16HIPCUB_304000_NS3MaxENSH_8EqualityEiEE10hipError_tPvRmT2_T3_T4_T5_mT6_T7_P12ihipStream_tbENKUlT_T0_E_clISt17integral_constantIbLb0EES10_EEDaSV_SW_EUlSV_E_NS1_11comp_targetILNS1_3genE8ELNS1_11target_archE1030ELNS1_3gpuE2ELNS1_3repE0EEENS1_30default_config_static_selectorELNS0_4arch9wavefront6targetE0EEEvT1_,"axG",@progbits,_ZN7rocprim17ROCPRIM_400000_NS6detail17trampoline_kernelINS0_14default_configENS1_27scan_by_key_config_selectorIiiEEZZNS1_16scan_by_key_implILNS1_25lookback_scan_determinismE0ELb0ES3_N6thrust23THRUST_200600_302600_NS16reverse_iteratorIPKiEESD_NSA_IPiEEiN6hipcub16HIPCUB_304000_NS3MaxENSH_8EqualityEiEE10hipError_tPvRmT2_T3_T4_T5_mT6_T7_P12ihipStream_tbENKUlT_T0_E_clISt17integral_constantIbLb0EES10_EEDaSV_SW_EUlSV_E_NS1_11comp_targetILNS1_3genE8ELNS1_11target_archE1030ELNS1_3gpuE2ELNS1_3repE0EEENS1_30default_config_static_selectorELNS0_4arch9wavefront6targetE0EEEvT1_,comdat
	.protected	_ZN7rocprim17ROCPRIM_400000_NS6detail17trampoline_kernelINS0_14default_configENS1_27scan_by_key_config_selectorIiiEEZZNS1_16scan_by_key_implILNS1_25lookback_scan_determinismE0ELb0ES3_N6thrust23THRUST_200600_302600_NS16reverse_iteratorIPKiEESD_NSA_IPiEEiN6hipcub16HIPCUB_304000_NS3MaxENSH_8EqualityEiEE10hipError_tPvRmT2_T3_T4_T5_mT6_T7_P12ihipStream_tbENKUlT_T0_E_clISt17integral_constantIbLb0EES10_EEDaSV_SW_EUlSV_E_NS1_11comp_targetILNS1_3genE8ELNS1_11target_archE1030ELNS1_3gpuE2ELNS1_3repE0EEENS1_30default_config_static_selectorELNS0_4arch9wavefront6targetE0EEEvT1_ ; -- Begin function _ZN7rocprim17ROCPRIM_400000_NS6detail17trampoline_kernelINS0_14default_configENS1_27scan_by_key_config_selectorIiiEEZZNS1_16scan_by_key_implILNS1_25lookback_scan_determinismE0ELb0ES3_N6thrust23THRUST_200600_302600_NS16reverse_iteratorIPKiEESD_NSA_IPiEEiN6hipcub16HIPCUB_304000_NS3MaxENSH_8EqualityEiEE10hipError_tPvRmT2_T3_T4_T5_mT6_T7_P12ihipStream_tbENKUlT_T0_E_clISt17integral_constantIbLb0EES10_EEDaSV_SW_EUlSV_E_NS1_11comp_targetILNS1_3genE8ELNS1_11target_archE1030ELNS1_3gpuE2ELNS1_3repE0EEENS1_30default_config_static_selectorELNS0_4arch9wavefront6targetE0EEEvT1_
	.globl	_ZN7rocprim17ROCPRIM_400000_NS6detail17trampoline_kernelINS0_14default_configENS1_27scan_by_key_config_selectorIiiEEZZNS1_16scan_by_key_implILNS1_25lookback_scan_determinismE0ELb0ES3_N6thrust23THRUST_200600_302600_NS16reverse_iteratorIPKiEESD_NSA_IPiEEiN6hipcub16HIPCUB_304000_NS3MaxENSH_8EqualityEiEE10hipError_tPvRmT2_T3_T4_T5_mT6_T7_P12ihipStream_tbENKUlT_T0_E_clISt17integral_constantIbLb0EES10_EEDaSV_SW_EUlSV_E_NS1_11comp_targetILNS1_3genE8ELNS1_11target_archE1030ELNS1_3gpuE2ELNS1_3repE0EEENS1_30default_config_static_selectorELNS0_4arch9wavefront6targetE0EEEvT1_
	.p2align	8
	.type	_ZN7rocprim17ROCPRIM_400000_NS6detail17trampoline_kernelINS0_14default_configENS1_27scan_by_key_config_selectorIiiEEZZNS1_16scan_by_key_implILNS1_25lookback_scan_determinismE0ELb0ES3_N6thrust23THRUST_200600_302600_NS16reverse_iteratorIPKiEESD_NSA_IPiEEiN6hipcub16HIPCUB_304000_NS3MaxENSH_8EqualityEiEE10hipError_tPvRmT2_T3_T4_T5_mT6_T7_P12ihipStream_tbENKUlT_T0_E_clISt17integral_constantIbLb0EES10_EEDaSV_SW_EUlSV_E_NS1_11comp_targetILNS1_3genE8ELNS1_11target_archE1030ELNS1_3gpuE2ELNS1_3repE0EEENS1_30default_config_static_selectorELNS0_4arch9wavefront6targetE0EEEvT1_,@function
_ZN7rocprim17ROCPRIM_400000_NS6detail17trampoline_kernelINS0_14default_configENS1_27scan_by_key_config_selectorIiiEEZZNS1_16scan_by_key_implILNS1_25lookback_scan_determinismE0ELb0ES3_N6thrust23THRUST_200600_302600_NS16reverse_iteratorIPKiEESD_NSA_IPiEEiN6hipcub16HIPCUB_304000_NS3MaxENSH_8EqualityEiEE10hipError_tPvRmT2_T3_T4_T5_mT6_T7_P12ihipStream_tbENKUlT_T0_E_clISt17integral_constantIbLb0EES10_EEDaSV_SW_EUlSV_E_NS1_11comp_targetILNS1_3genE8ELNS1_11target_archE1030ELNS1_3gpuE2ELNS1_3repE0EEENS1_30default_config_static_selectorELNS0_4arch9wavefront6targetE0EEEvT1_: ; @_ZN7rocprim17ROCPRIM_400000_NS6detail17trampoline_kernelINS0_14default_configENS1_27scan_by_key_config_selectorIiiEEZZNS1_16scan_by_key_implILNS1_25lookback_scan_determinismE0ELb0ES3_N6thrust23THRUST_200600_302600_NS16reverse_iteratorIPKiEESD_NSA_IPiEEiN6hipcub16HIPCUB_304000_NS3MaxENSH_8EqualityEiEE10hipError_tPvRmT2_T3_T4_T5_mT6_T7_P12ihipStream_tbENKUlT_T0_E_clISt17integral_constantIbLb0EES10_EEDaSV_SW_EUlSV_E_NS1_11comp_targetILNS1_3genE8ELNS1_11target_archE1030ELNS1_3gpuE2ELNS1_3repE0EEENS1_30default_config_static_selectorELNS0_4arch9wavefront6targetE0EEEvT1_
; %bb.0:
	s_clause 0x4
	s_load_dwordx8 s[8:15], s[4:5], 0x0
	s_load_dwordx2 s[30:31], s[4:5], 0x38
	s_load_dword s7, s[4:5], 0x40
	s_load_dwordx8 s[16:23], s[4:5], 0x48
	s_load_dwordx4 s[24:27], s[4:5], 0x28
	s_mov_b32 s1, 0
	s_waitcnt lgkmcnt(0)
	s_barrier
	buffer_gl0_inv
	s_sub_u32 s28, 0, s10
	s_subb_u32 s29, 0, s11
	s_lshl_b64 s[2:3], s[10:11], 2
	s_mul_i32 s0, s31, s7
	s_sub_u32 s10, s8, s2
	s_mul_hi_u32 s4, s30, s7
	s_subb_u32 s11, s9, s3
	s_sub_u32 s2, s12, s2
	s_subb_u32 s27, s13, s3
	s_add_i32 s33, s4, s0
	s_cmp_eq_u64 s[20:21], 0
	s_mul_i32 s0, s6, 0x300
	s_cselect_b32 s12, -1, 0
	s_sub_u32 s8, 0, s0
	s_subb_u32 s9, 0, 0
	s_lshl_b64 s[4:5], s[0:1], 2
	s_mul_i32 s0, s30, s7
	s_sub_u32 s13, s10, s4
	s_subb_u32 s20, s11, s5
	s_sub_u32 s3, s2, s4
	s_subb_u32 s11, s27, s5
	s_add_u32 s4, s0, s6
	s_addc_u32 s5, s33, 0
	s_add_u32 s16, s16, -1
	s_addc_u32 s17, s17, -1
	s_mul_i32 s10, s16, 0xfffffd00
	v_cmp_ge_u64_e64 s7, s[4:5], s[16:17]
	s_and_b32 vcc_lo, exec_lo, s7
	s_cbranch_vccz .LBB61_18
; %bb.1:
	v_add_co_u32 v1, s0, -4, s13
	v_add_co_ci_u32_e64 v2, null, -1, s20, s0
	s_add_i32 s16, s10, s26
	s_add_u32 s17, s13, -4
	v_cmp_gt_u32_e32 vcc_lo, s16, v0
	flat_load_dword v1, v[1:2]
	s_addc_u32 s21, s20, -1
	s_waitcnt vmcnt(0) lgkmcnt(0)
	v_mov_b32_e32 v2, v1
	s_and_saveexec_b32 s1, vcc_lo
	s_cbranch_execz .LBB61_3
; %bb.2:
	v_lshlrev_b32_e32 v2, 2, v0
	v_sub_co_u32 v2, s0, s13, v2
	v_sub_co_ci_u32_e64 v3, null, s20, 0, s0
	v_add_co_u32 v2, s0, -4, v2
	v_add_co_ci_u32_e64 v3, null, -1, v3, s0
	flat_load_dword v2, v[2:3]
.LBB61_3:
	s_or_b32 exec_lo, exec_lo, s1
	v_or_b32_e32 v3, 0x100, v0
	v_cmp_gt_u32_e64 s0, s16, v3
	v_lshlrev_b32_e32 v9, 2, v3
	v_mov_b32_e32 v3, v1
	s_and_saveexec_b32 s2, s0
	s_cbranch_execz .LBB61_5
; %bb.4:
	v_sub_co_u32 v3, s1, s13, v9
	v_sub_co_ci_u32_e64 v4, null, s20, 0, s1
	v_add_co_u32 v3, s1, -4, v3
	v_add_co_ci_u32_e64 v4, null, -1, v4, s1
	flat_load_dword v3, v[3:4]
.LBB61_5:
	s_or_b32 exec_lo, exec_lo, s2
	v_or_b32_e32 v4, 0x200, v0
	v_cmp_gt_u32_e64 s1, s16, v4
	v_lshlrev_b32_e32 v8, 2, v4
	s_and_saveexec_b32 s27, s1
	s_cbranch_execz .LBB61_7
; %bb.6:
	v_sub_co_u32 v1, s2, s13, v8
	v_sub_co_ci_u32_e64 v5, null, s20, 0, s2
	v_add_co_u32 v4, s2, -4, v1
	v_add_co_ci_u32_e64 v5, null, -1, v5, s2
	flat_load_dword v1, v[4:5]
.LBB61_7:
	s_or_b32 exec_lo, exec_lo, s27
	s_lshl_b64 s[34:35], s[4:5], 2
	v_lshlrev_b32_e32 v10, 2, v0
	s_add_u32 s2, s22, s34
	s_addc_u32 s27, s23, s35
	s_add_u32 s2, s2, -4
	s_addc_u32 s27, s27, -1
	s_and_b32 s33, s12, exec_lo
	s_cselect_b32 s2, s13, s2
	s_cselect_b32 s27, s20, s27
	s_cmp_eq_u64 s[4:5], 0
	s_waitcnt vmcnt(0) lgkmcnt(0)
	ds_write2st64_b32 v10, v2, v3 offset1:4
	s_cselect_b32 s2, s17, s2
	s_cselect_b32 s17, s21, s27
	v_mov_b32_e32 v2, s2
	v_mov_b32_e32 v3, s17
	ds_write_b32 v10, v1 offset:2048
	s_waitcnt lgkmcnt(0)
	s_barrier
	buffer_gl0_inv
	flat_load_dword v13, v[2:3]
	v_lshlrev_b32_e32 v1, 3, v0
	s_mov_b32 s17, exec_lo
	v_add_nc_u32_e32 v7, v10, v1
	ds_read_b32 v6, v7 offset:8
	ds_read2_b32 v[4:5], v7 offset1:1
	s_waitcnt lgkmcnt(1)
	ds_write_b32 v10, v6 offset:3072
	s_waitcnt vmcnt(0) lgkmcnt(0)
	s_barrier
	buffer_gl0_inv
	v_cmpx_ne_u32_e32 0, v0
; %bb.8:
	v_sub_nc_u32_e32 v1, 0, v1
	v_add_nc_u32_e32 v1, v7, v1
	ds_read_b32 v13, v1 offset:3068
; %bb.9:
	s_or_b32 exec_lo, exec_lo, s17
	v_mov_b32_e32 v1, 0
	s_waitcnt lgkmcnt(0)
	s_barrier
	buffer_gl0_inv
	v_mov_b32_e32 v2, v1
	v_mov_b32_e32 v3, v1
	s_and_saveexec_b32 s2, vcc_lo
	s_cbranch_execnz .LBB61_91
; %bb.10:
	s_or_b32 exec_lo, exec_lo, s2
	s_and_saveexec_b32 s2, s0
	s_cbranch_execnz .LBB61_92
.LBB61_11:
	s_or_b32 exec_lo, exec_lo, s2
	v_mul_u32_u24_e32 v14, 3, v0
	s_and_saveexec_b32 s0, s1
	s_cbranch_execz .LBB61_13
.LBB61_12:
	v_sub_co_u32 v3, s1, s3, v8
	v_sub_co_ci_u32_e64 v9, null, s11, 0, s1
	v_add_co_u32 v8, vcc_lo, -4, v3
	v_add_co_ci_u32_e64 v9, null, -1, v9, vcc_lo
	flat_load_dword v3, v[8:9]
.LBB61_13:
	s_or_b32 exec_lo, exec_lo, s0
	s_waitcnt vmcnt(0) lgkmcnt(0)
	ds_write2st64_b32 v10, v1, v2 offset1:4
	ds_write_b32 v10, v3 offset:2048
	v_mov_b32_e32 v9, 0
	v_mov_b32_e32 v11, 0
	v_mov_b32_e32 v10, 0
	v_mov_b32_e32 v12, 0
	s_mov_b32 s17, 0
	s_mov_b32 s1, 0
	s_mov_b32 s21, exec_lo
	s_waitcnt lgkmcnt(0)
	s_barrier
	buffer_gl0_inv
                                        ; implicit-def: $sgpr2
                                        ; implicit-def: $vgpr2
	v_cmpx_gt_u32_e64 s16, v14
	s_cbranch_execz .LBB61_17
; %bb.14:
	ds_read_b32 v9, v7
	v_cmp_ne_u32_e32 vcc_lo, v13, v4
	v_mov_b32_e32 v11, 0
	v_add_nc_u32_e32 v1, 1, v14
	v_mov_b32_e32 v12, 0
	s_mov_b32 s0, 0
	v_cndmask_b32_e64 v10, 0, 1, vcc_lo
	s_mov_b32 s1, exec_lo
                                        ; implicit-def: $sgpr2
                                        ; implicit-def: $vgpr2
	v_cmpx_gt_u32_e64 s16, v1
	s_xor_b32 s1, exec_lo, s1
	s_cbranch_execz .LBB61_16
; %bb.15:
	ds_read2_b32 v[1:2], v7 offset0:1 offset1:2
	v_add_nc_u32_e32 v3, 2, v14
	v_cmp_ne_u32_e64 s0, v4, v5
	v_cmp_ne_u32_e64 s2, v5, v6
	v_cmp_gt_u32_e32 vcc_lo, s16, v3
	v_cndmask_b32_e64 v12, 0, 1, s0
	s_and_b32 s0, vcc_lo, exec_lo
	s_waitcnt lgkmcnt(0)
	v_mov_b32_e32 v11, v1
.LBB61_16:
	s_or_b32 exec_lo, exec_lo, s1
	s_and_b32 s1, s0, exec_lo
.LBB61_17:
	s_or_b32 exec_lo, exec_lo, s21
	s_branch .LBB61_19
.LBB61_18:
	s_mov_b32 s17, -1
                                        ; implicit-def: $sgpr2
                                        ; implicit-def: $vgpr2
                                        ; implicit-def: $vgpr9_vgpr10
                                        ; implicit-def: $vgpr11_vgpr12
.LBB61_19:
	v_lshlrev_b32_e32 v18, 2, v0
	v_lshlrev_b32_e32 v19, 3, v0
	v_cmp_ne_u32_e64 s0, 0, v0
	s_and_b32 vcc_lo, exec_lo, s17
	s_cbranch_vccz .LBB61_23
; %bb.20:
	v_sub_co_u32 v3, s1, s13, v18
	v_sub_co_ci_u32_e64 v4, null, s20, 0, s1
	s_add_u32 s1, s13, -4
	v_add_co_u32 v1, vcc_lo, v3, 0xfffffbfc
	v_add_co_ci_u32_e64 v2, null, -1, v4, vcc_lo
	v_add_co_u32 v3, vcc_lo, 0xfffff7fc, v3
	v_add_co_ci_u32_e64 v4, null, -1, v4, vcc_lo
	s_clause 0x2
	flat_load_dword v5, v[1:2] offset:1024
	flat_load_dword v6, v[1:2]
	flat_load_dword v3, v[3:4]
	s_addc_u32 s2, s20, -1
	s_lshl_b64 s[16:17], s[4:5], 2
	s_waitcnt vmcnt(1) lgkmcnt(1)
	ds_write2st64_b32 v18, v5, v6 offset1:4
	s_waitcnt vmcnt(0) lgkmcnt(1)
	ds_write_b32 v18, v3 offset:2048
	s_add_u32 s16, s22, s16
	s_addc_u32 s17, s23, s17
	s_add_u32 s16, s16, -4
	s_addc_u32 s17, s17, -1
	s_and_b32 s12, s12, exec_lo
	s_cselect_b32 s12, s13, s16
	s_cselect_b32 s13, s20, s17
	s_cmp_eq_u64 s[4:5], 0
	s_waitcnt lgkmcnt(0)
	s_cselect_b32 s1, s1, s12
	s_cselect_b32 s2, s2, s13
	v_mov_b32_e32 v1, s1
	v_mov_b32_e32 v2, s2
	s_barrier
	buffer_gl0_inv
	v_add_nc_u32_e32 v5, v18, v19
	flat_load_dword v7, v[1:2]
	ds_read_b32 v6, v5 offset:8
	ds_read2_b32 v[3:4], v5 offset1:1
	v_sub_co_u32 v1, s1, 0, v0
	v_sub_co_ci_u32_e64 v2, null, 0, 0, s1
	s_mov_b32 s1, -1
	s_waitcnt lgkmcnt(1)
	ds_write_b32 v18, v6 offset:3072
	s_waitcnt vmcnt(0) lgkmcnt(0)
	s_barrier
	buffer_gl0_inv
	s_and_saveexec_b32 s2, s0
; %bb.21:
	v_sub_nc_u32_e32 v7, 0, v19
	v_add_nc_u32_e32 v7, v5, v7
	ds_read_b32 v7, v7 offset:3068
; %bb.22:
	s_or_b32 exec_lo, exec_lo, s2
	v_lshlrev_b64 v[1:2], 2, v[1:2]
	s_waitcnt lgkmcnt(0)
	s_barrier
	buffer_gl0_inv
	v_cmp_ne_u32_e64 s2, v4, v6
	v_add_co_u32 v8, vcc_lo, s3, v1
	v_add_co_ci_u32_e64 v9, null, s11, v2, vcc_lo
	v_add_co_u32 v1, vcc_lo, v8, 0xfffffbfc
	v_add_co_ci_u32_e64 v2, null, -1, v9, vcc_lo
	v_add_co_u32 v8, vcc_lo, 0xfffff7fc, v8
	v_add_co_ci_u32_e64 v9, null, -1, v9, vcc_lo
	s_clause 0x2
	flat_load_dword v10, v[1:2] offset:1024
	flat_load_dword v1, v[1:2]
	flat_load_dword v2, v[8:9]
	v_cmp_ne_u32_e32 vcc_lo, v7, v3
	s_waitcnt vmcnt(1) lgkmcnt(1)
	ds_write2st64_b32 v18, v10, v1 offset1:4
	s_waitcnt vmcnt(0) lgkmcnt(1)
	ds_write_b32 v18, v2 offset:2048
	s_waitcnt lgkmcnt(0)
	s_barrier
	buffer_gl0_inv
	ds_read2_b32 v[13:14], v5 offset1:1
	ds_read_b32 v2, v5 offset:8
	v_cndmask_b32_e64 v10, 0, 1, vcc_lo
	v_cmp_ne_u32_e32 vcc_lo, v3, v4
	v_cndmask_b32_e64 v12, 0, 1, vcc_lo
	s_waitcnt lgkmcnt(1)
	v_mov_b32_e32 v9, v13
	v_mov_b32_e32 v11, v14
.LBB61_23:
	v_mov_b32_e32 v13, 0
	v_mov_b32_e32 v14, 0
	s_and_saveexec_b32 s0, s1
	s_cbranch_execz .LBB61_25
; %bb.24:
	v_cndmask_b32_e64 v14, 0, 1, s2
	s_waitcnt lgkmcnt(0)
	v_mov_b32_e32 v13, v2
.LBB61_25:
	s_or_b32 exec_lo, exec_lo, s0
	v_or_b32_e32 v23, v12, v14
	v_mbcnt_lo_u32_b32 v20, -1, 0
	v_lshrrev_b32_e32 v21, 5, v0
	v_or_b32_e32 v22, 31, v0
	s_cmp_lg_u32 s6, 0
	s_mov_b32 s2, 0
	s_waitcnt lgkmcnt(0)
	s_barrier
	buffer_gl0_inv
	s_cbranch_scc0 .LBB61_51
; %bb.26:
	v_and_b32_e32 v2, 0xff, v23
	v_mov_b32_e32 v1, 0
	s_mov_b32 s3, 1
	v_max_i32_e32 v3, v11, v9
	v_cmp_gt_u64_e64 s0, s[2:3], v[11:12]
	v_cmp_gt_u64_e64 s1, s[2:3], v[13:14]
	v_cmp_eq_u64_e32 vcc_lo, 0, v[1:2]
	v_and_b32_e32 v8, 15, v20
	s_mov_b32 s3, exec_lo
	v_cndmask_b32_e64 v3, v11, v3, s0
	v_cndmask_b32_e32 v2, 1, v10, vcc_lo
	v_max_i32_e32 v3, v13, v3
	v_and_b32_e32 v4, 0xff, v2
	v_and_b32_e32 v7, 1, v2
	v_cndmask_b32_e64 v3, v13, v3, s1
	v_mov_b32_dpp v5, v4 row_shr:1 row_mask:0xf bank_mask:0xf
	v_cmp_eq_u32_e32 vcc_lo, 1, v7
	v_mov_b32_dpp v6, v3 row_shr:1 row_mask:0xf bank_mask:0xf
	v_and_b32_e32 v5, 1, v5
	v_max_i32_e32 v6, v3, v6
	v_cndmask_b32_e64 v5, v5, 1, vcc_lo
	v_cmp_eq_u16_e32 vcc_lo, 0, v4
	v_cndmask_b32_e32 v6, v3, v6, vcc_lo
	v_cmp_eq_u32_e32 vcc_lo, 0, v8
	v_cndmask_b32_e32 v4, v5, v4, vcc_lo
	v_cndmask_b32_e32 v2, v5, v2, vcc_lo
	;; [unrolled: 1-line block ×3, first 2 shown]
	v_mov_b32_dpp v5, v4 row_shr:2 row_mask:0xf bank_mask:0xf
	v_and_b32_e32 v6, 1, v2
	v_cmp_eq_u16_sdwa s2, v2, v1 src0_sel:BYTE_0 src1_sel:DWORD
	v_and_b32_e32 v5, 1, v5
	v_cmp_eq_u32_e32 vcc_lo, 1, v6
	v_cndmask_b32_e64 v5, v5, 1, vcc_lo
	v_cmp_lt_u32_e32 vcc_lo, 1, v8
	v_cndmask_b32_e32 v6, v2, v5, vcc_lo
	v_cndmask_b32_e32 v4, v4, v5, vcc_lo
	v_mov_b32_dpp v5, v3 row_shr:2 row_mask:0xf bank_mask:0xf
	s_and_b32 vcc_lo, vcc_lo, s2
	v_cmp_eq_u16_sdwa s2, v6, v1 src0_sel:BYTE_0 src1_sel:DWORD
	v_mov_b32_dpp v7, v4 row_shr:4 row_mask:0xf bank_mask:0xf
	v_max_i32_e32 v2, v3, v5
	v_and_b32_e32 v5, 1, v6
	v_and_b32_e32 v7, 1, v7
	v_cndmask_b32_e32 v2, v3, v2, vcc_lo
	v_cmp_eq_u32_e32 vcc_lo, 1, v5
	v_mov_b32_dpp v5, v2 row_shr:4 row_mask:0xf bank_mask:0xf
	v_cndmask_b32_e64 v3, v7, 1, vcc_lo
	v_cmp_lt_u32_e32 vcc_lo, 3, v8
	v_cndmask_b32_e32 v7, v6, v3, vcc_lo
	v_cndmask_b32_e32 v3, v4, v3, vcc_lo
	v_max_i32_e32 v4, v2, v5
	s_and_b32 vcc_lo, vcc_lo, s2
	v_cmp_eq_u16_sdwa s2, v7, v1 src0_sel:BYTE_0 src1_sel:DWORD
	v_mov_b32_dpp v5, v3 row_shr:8 row_mask:0xf bank_mask:0xf
	v_cndmask_b32_e32 v2, v2, v4, vcc_lo
	v_and_b32_e32 v4, 1, v7
	v_and_b32_e32 v5, 1, v5
	v_mov_b32_dpp v6, v2 row_shr:8 row_mask:0xf bank_mask:0xf
	v_cmp_eq_u32_e32 vcc_lo, 1, v4
	v_cndmask_b32_e64 v4, v5, 1, vcc_lo
	v_cmp_lt_u32_e32 vcc_lo, 7, v8
	v_max_i32_e32 v5, v2, v6
	v_and_b32_e32 v8, 16, v20
	v_cndmask_b32_e32 v6, v7, v4, vcc_lo
	v_cndmask_b32_e32 v3, v3, v4, vcc_lo
	s_and_b32 vcc_lo, vcc_lo, s2
	v_cndmask_b32_e32 v2, v2, v5, vcc_lo
	v_and_b32_e32 v7, 1, v6
	ds_swizzle_b32 v4, v3 offset:swizzle(BROADCAST,32,15)
	v_cmp_eq_u16_sdwa s2, v6, v1 src0_sel:BYTE_0 src1_sel:DWORD
	ds_swizzle_b32 v5, v2 offset:swizzle(BROADCAST,32,15)
	v_cmp_eq_u32_e32 vcc_lo, 1, v7
	s_waitcnt lgkmcnt(1)
	v_and_b32_e32 v4, 1, v4
	s_waitcnt lgkmcnt(0)
	v_max_i32_e32 v5, v2, v5
	v_cndmask_b32_e64 v4, v4, 1, vcc_lo
	v_cmp_eq_u32_e32 vcc_lo, 0, v8
	v_cndmask_b32_e64 v1, v2, v5, s2
	v_lshlrev_b32_e32 v5, 3, v21
	v_cndmask_b32_e32 v4, v4, v3, vcc_lo
	v_cndmask_b32_e32 v3, v1, v2, vcc_lo
	v_cmpx_eq_u32_e64 v0, v22
	s_cbranch_execz .LBB61_28
; %bb.27:
	ds_write_b32 v5, v3
	ds_write_b8 v5, v4 offset:4
.LBB61_28:
	s_or_b32 exec_lo, exec_lo, s3
	s_mov_b32 s2, exec_lo
	s_waitcnt lgkmcnt(0)
	s_barrier
	buffer_gl0_inv
	v_cmpx_gt_u32_e32 8, v0
	s_cbranch_execz .LBB61_34
; %bb.29:
	ds_read_b64 v[1:2], v19
	v_and_b32_e32 v6, 7, v20
	s_mov_b32 s3, exec_lo
	s_waitcnt lgkmcnt(0)
	v_and_b32_e32 v7, 0xffffff00, v2
	v_mov_b32_dpp v15, v1 row_shr:1 row_mask:0xf bank_mask:0xf
	v_mov_b32_dpp v16, v2 row_shr:1 row_mask:0xf bank_mask:0xf
	v_mov_b32_e32 v8, v2
	v_cmpx_ne_u32_e32 0, v6
	s_cbranch_execz .LBB61_31
; %bb.30:
	v_and_b32_e32 v8, 1, v2
	v_and_b32_e32 v16, 1, v16
	v_mov_b32_e32 v17, 0
	v_max_i32_e32 v15, v1, v15
	v_cmp_eq_u32_e32 vcc_lo, 1, v8
	v_cndmask_b32_e64 v16, v16, 1, vcc_lo
	v_cmp_eq_u16_sdwa vcc_lo, v2, v17 src0_sel:BYTE_0 src1_sel:DWORD
	v_or_b32_sdwa v8, v7, v16 dst_sel:DWORD dst_unused:UNUSED_PAD src0_sel:DWORD src1_sel:WORD_0
	v_cndmask_b32_e32 v1, v1, v15, vcc_lo
	v_mov_b32_e32 v2, v16
.LBB61_31:
	s_or_b32 exec_lo, exec_lo, s3
	v_mov_b32_dpp v15, v1 row_shr:2 row_mask:0xf bank_mask:0xf
	v_mov_b32_dpp v16, v8 row_shr:2 row_mask:0xf bank_mask:0xf
	s_mov_b32 s3, exec_lo
	v_cmpx_lt_u32_e32 1, v6
	s_cbranch_execz .LBB61_33
; %bb.32:
	v_and_b32_e32 v8, 1, v2
	v_and_b32_e32 v16, 1, v16
	v_mov_b32_e32 v17, 0
	v_max_i32_e32 v15, v1, v15
	v_cmp_eq_u32_e32 vcc_lo, 1, v8
	v_cndmask_b32_e64 v16, v16, 1, vcc_lo
	v_cmp_eq_u16_sdwa vcc_lo, v2, v17 src0_sel:BYTE_0 src1_sel:DWORD
	v_or_b32_sdwa v8, v7, v16 dst_sel:DWORD dst_unused:UNUSED_PAD src0_sel:DWORD src1_sel:WORD_0
	v_cndmask_b32_e32 v1, v1, v15, vcc_lo
	v_mov_b32_e32 v2, v16
.LBB61_33:
	s_or_b32 exec_lo, exec_lo, s3
	v_mov_b32_dpp v7, v8 row_shr:4 row_mask:0xf bank_mask:0xf
	v_and_b32_e32 v15, 1, v2
	v_mov_b32_e32 v8, 0
	v_mov_b32_dpp v16, v1 row_shr:4 row_mask:0xf bank_mask:0xf
	v_and_b32_e32 v7, 1, v7
	v_cmp_eq_u32_e32 vcc_lo, 1, v15
	v_cmp_eq_u16_sdwa s3, v2, v8 src0_sel:BYTE_0 src1_sel:DWORD
	v_cndmask_b32_e64 v7, v7, 1, vcc_lo
	v_cmp_lt_u32_e32 vcc_lo, 3, v6
	v_max_i32_e32 v6, v1, v16
	v_cndmask_b32_e32 v2, v2, v7, vcc_lo
	s_and_b32 vcc_lo, vcc_lo, s3
	v_cndmask_b32_e32 v1, v1, v6, vcc_lo
	ds_write_b32 v19, v1
	ds_write_b8 v19, v2 offset:4
.LBB61_34:
	s_or_b32 exec_lo, exec_lo, s2
	v_mov_b32_e32 v24, 0
	v_mov_b32_e32 v25, 0
	s_mov_b32 s3, exec_lo
	v_cmp_gt_u32_e32 vcc_lo, 32, v0
	s_waitcnt lgkmcnt(0)
	s_barrier
	buffer_gl0_inv
	v_cmpx_lt_u32_e32 31, v0
	s_cbranch_execz .LBB61_36
; %bb.35:
	v_add_nc_u32_e32 v1, -8, v5
	v_and_b32_e32 v2, 1, v4
	v_cmp_eq_u32_e64 s2, 0, v4
	ds_read_b32 v24, v1
	v_add_nc_u32_e32 v1, -4, v5
	ds_read_u8 v25, v1
	s_waitcnt lgkmcnt(1)
	v_max_i32_e32 v1, v3, v24
	v_cndmask_b32_e64 v3, v3, v1, s2
	v_cmp_eq_u32_e64 s2, 1, v2
	s_waitcnt lgkmcnt(0)
	v_cndmask_b32_e64 v4, v25, 1, s2
.LBB61_36:
	s_or_b32 exec_lo, exec_lo, s3
	v_sub_co_u32 v1, s2, v20, 1
	v_cmp_gt_i32_e64 s3, 0, v1
	v_cndmask_b32_e64 v1, v1, v20, s3
	v_lshlrev_b32_e32 v1, 2, v1
	ds_bpermute_b32 v26, v1, v3
	ds_bpermute_b32 v27, v1, v4
	s_and_saveexec_b32 s11, vcc_lo
	s_cbranch_execz .LBB61_56
; %bb.37:
	v_mov_b32_e32 v4, 0
	ds_read_b64 v[1:2], v4 offset:56
	s_and_saveexec_b32 s3, s2
	s_cbranch_execz .LBB61_39
; %bb.38:
	s_add_i32 s4, s6, 32
	s_mov_b32 s5, 0
	v_mov_b32_e32 v3, 1
	s_lshl_b64 s[4:5], s[4:5], 4
	s_add_u32 s4, s24, s4
	s_addc_u32 s5, s25, s5
	v_mov_b32_e32 v6, s5
	v_mov_b32_e32 v5, s4
	s_waitcnt lgkmcnt(0)
	;;#ASMSTART
	global_store_dwordx4 v[5:6], v[1:4] off	
s_waitcnt vmcnt(0)
	;;#ASMEND
.LBB61_39:
	s_or_b32 exec_lo, exec_lo, s3
	v_xad_u32 v15, v20, -1, s6
	s_mov_b32 s4, 0
	v_add_nc_u32_e32 v3, 32, v15
	v_lshlrev_b64 v[5:6], 4, v[3:4]
	v_add_co_u32 v16, vcc_lo, s24, v5
	v_add_co_ci_u32_e64 v17, null, s25, v6, vcc_lo
	;;#ASMSTART
	global_load_dwordx4 v[5:8], v[16:17] off glc dlc	
s_waitcnt vmcnt(0)
	;;#ASMEND
	v_and_b32_e32 v6, 0xff, v6
	v_cmp_eq_u16_sdwa s5, v7, v4 src0_sel:BYTE_0 src1_sel:DWORD
	s_and_saveexec_b32 s3, s5
	s_cbranch_execz .LBB61_43
; %bb.40:
	v_mov_b32_e32 v3, 0
.LBB61_41:                              ; =>This Inner Loop Header: Depth=1
	;;#ASMSTART
	global_load_dwordx4 v[5:8], v[16:17] off glc dlc	
s_waitcnt vmcnt(0)
	;;#ASMEND
	v_cmp_ne_u16_sdwa s5, v7, v3 src0_sel:BYTE_0 src1_sel:DWORD
	s_or_b32 s4, s5, s4
	s_andn2_b32 exec_lo, exec_lo, s4
	s_cbranch_execnz .LBB61_41
; %bb.42:
	s_or_b32 exec_lo, exec_lo, s4
	v_and_b32_e32 v6, 0xff, v6
.LBB61_43:
	s_or_b32 exec_lo, exec_lo, s3
	v_cmp_ne_u32_e32 vcc_lo, 31, v20
	v_mov_b32_e32 v28, 2
	v_lshlrev_b32_e64 v29, v20, -1
	v_and_b32_e32 v8, 1, v6
	s_mov_b32 s4, 0
	v_add_co_ci_u32_e64 v3, null, 0, v20, vcc_lo
	v_cmp_eq_u16_sdwa s3, v7, v28 src0_sel:BYTE_0 src1_sel:DWORD
	v_cmp_eq_u32_e32 vcc_lo, 1, v8
	s_mov_b32 s5, 1
	v_lshlrev_b32_e32 v17, 2, v3
	v_add_nc_u32_e32 v37, 8, v20
	v_and_or_b32 v4, s3, v29, 0x80000000
	v_cmp_gt_u64_e64 s3, s[4:5], v[5:6]
	v_lshl_or_b32 v38, v20, 2, 64
	ds_bpermute_b32 v3, v17, v6
	ds_bpermute_b32 v16, v17, v5
	v_ffbl_b32_e32 v4, v4
	v_add_nc_u32_e32 v39, 16, v20
	s_waitcnt lgkmcnt(1)
	v_and_b32_e32 v3, 1, v3
	s_waitcnt lgkmcnt(0)
	v_max_i32_e32 v16, v5, v16
	v_cndmask_b32_e64 v3, v3, 1, vcc_lo
	v_cmp_gt_u32_e32 vcc_lo, 30, v20
	v_and_b32_e32 v31, 0xffff, v3
	v_cndmask_b32_e64 v8, 0, 2, vcc_lo
	v_cmp_lt_u32_e32 vcc_lo, v20, v4
	v_add_lshl_u32 v30, v8, v20, 2
	v_cndmask_b32_e32 v8, v6, v31, vcc_lo
	v_cndmask_b32_e32 v3, v6, v3, vcc_lo
	s_and_b32 vcc_lo, vcc_lo, s3
	v_add_nc_u32_e32 v31, 2, v20
	v_cndmask_b32_e32 v5, v5, v16, vcc_lo
	ds_bpermute_b32 v6, v30, v8
	v_and_b32_e32 v16, 1, v3
	ds_bpermute_b32 v32, v30, v5
	v_cmp_eq_u32_e32 vcc_lo, 1, v16
	v_mov_b32_e32 v16, 0
	v_cmp_eq_u16_sdwa s3, v3, v16 src0_sel:BYTE_0 src1_sel:DWORD
	s_waitcnt lgkmcnt(1)
	v_and_b32_e32 v6, 1, v6
	s_waitcnt lgkmcnt(0)
	v_max_i32_e32 v35, v5, v32
	v_cndmask_b32_e64 v6, v6, 1, vcc_lo
	v_cmp_gt_u32_e32 vcc_lo, 28, v20
	v_and_b32_e32 v34, 0xffff, v6
	v_cndmask_b32_e64 v33, 0, 4, vcc_lo
	v_cmp_gt_u32_e32 vcc_lo, v31, v4
	v_add_lshl_u32 v32, v33, v20, 2
	v_cndmask_b32_e32 v8, v34, v8, vcc_lo
	v_cndmask_b32_e32 v6, v6, v3, vcc_lo
	v_cndmask_b32_e64 v3, v5, v35, s3
	ds_bpermute_b32 v33, v32, v8
	v_and_b32_e32 v34, 1, v6
	v_cndmask_b32_e32 v3, v3, v5, vcc_lo
	v_cmp_eq_u16_sdwa s3, v6, v16 src0_sel:BYTE_0 src1_sel:DWORD
	v_cmp_eq_u32_e32 vcc_lo, 1, v34
	ds_bpermute_b32 v5, v32, v3
	s_waitcnt lgkmcnt(1)
	v_and_b32_e32 v35, 1, v33
	v_add_nc_u32_e32 v33, 4, v20
	v_cndmask_b32_e64 v35, v35, 1, vcc_lo
	v_cmp_gt_u32_e32 vcc_lo, 24, v20
	s_waitcnt lgkmcnt(0)
	v_max_i32_e32 v5, v3, v5
	v_and_b32_e32 v36, 0xffff, v35
	v_cndmask_b32_e64 v34, 0, 8, vcc_lo
	v_cmp_gt_u32_e32 vcc_lo, v33, v4
	v_cndmask_b32_e64 v5, v3, v5, s3
	v_add_lshl_u32 v34, v34, v20, 2
	v_cndmask_b32_e32 v8, v36, v8, vcc_lo
	v_cndmask_b32_e32 v3, v5, v3, vcc_lo
	;; [unrolled: 1-line block ×3, first 2 shown]
	ds_bpermute_b32 v5, v34, v8
	ds_bpermute_b32 v35, v34, v3
	v_and_b32_e32 v36, 1, v6
	v_cmp_eq_u32_e32 vcc_lo, 1, v36
	s_waitcnt lgkmcnt(1)
	v_and_b32_e32 v5, 1, v5
	s_waitcnt lgkmcnt(0)
	v_max_i32_e32 v35, v3, v35
	v_cndmask_b32_e64 v5, v5, 1, vcc_lo
	v_cmp_eq_u16_sdwa vcc_lo, v6, v16 src0_sel:BYTE_0 src1_sel:DWORD
	v_and_b32_e32 v36, 0xffff, v5
	v_cndmask_b32_e32 v35, v3, v35, vcc_lo
	v_cmp_gt_u32_e32 vcc_lo, v37, v4
	v_cndmask_b32_e32 v3, v35, v3, vcc_lo
	v_cndmask_b32_e32 v5, v5, v6, vcc_lo
	;; [unrolled: 1-line block ×3, first 2 shown]
	ds_bpermute_b32 v8, v38, v3
	v_and_b32_e32 v35, 1, v5
	ds_bpermute_b32 v6, v38, v6
	v_cmp_eq_u16_sdwa vcc_lo, v5, v16 src0_sel:BYTE_0 src1_sel:DWORD
	s_waitcnt lgkmcnt(1)
	v_max_i32_e32 v8, v3, v8
	s_waitcnt lgkmcnt(0)
	v_and_b32_e32 v6, 1, v6
	v_cndmask_b32_e32 v8, v3, v8, vcc_lo
	v_cmp_eq_u32_e32 vcc_lo, 1, v35
	v_cndmask_b32_e64 v6, v6, 1, vcc_lo
	v_cmp_gt_u32_e32 vcc_lo, v39, v4
	v_cndmask_b32_e32 v4, v6, v5, vcc_lo
	v_cndmask_b32_e32 v3, v8, v3, vcc_lo
	s_branch .LBB61_47
.LBB61_44:                              ;   in Loop: Header=BB61_47 Depth=1
	s_or_b32 exec_lo, exec_lo, s12
	v_and_b32_e32 v6, 0xff, v6
.LBB61_45:                              ;   in Loop: Header=BB61_47 Depth=1
	s_or_b32 exec_lo, exec_lo, s3
	ds_bpermute_b32 v3, v17, v6
	v_cmp_eq_u16_sdwa s3, v7, v28 src0_sel:BYTE_0 src1_sel:DWORD
	v_and_b32_e32 v4, 1, v6
	ds_bpermute_b32 v40, v17, v5
	v_subrev_nc_u32_e32 v15, 32, v15
	v_and_or_b32 v8, s3, v29, 0x80000000
	v_cmp_eq_u32_e32 vcc_lo, 1, v4
	v_cmp_gt_u64_e64 s3, s[4:5], v[5:6]
	v_ffbl_b32_e32 v4, v8
	s_waitcnt lgkmcnt(1)
	v_and_b32_e32 v3, 1, v3
	s_waitcnt lgkmcnt(0)
	v_max_i32_e32 v40, v5, v40
	v_cndmask_b32_e64 v3, v3, 1, vcc_lo
	v_cmp_lt_u32_e32 vcc_lo, v20, v4
	v_and_b32_e32 v8, 0xffff, v3
	v_cndmask_b32_e32 v3, v6, v3, vcc_lo
	v_cndmask_b32_e32 v8, v6, v8, vcc_lo
	s_and_b32 vcc_lo, vcc_lo, s3
	v_and_b32_e32 v41, 1, v3
	v_cndmask_b32_e32 v5, v5, v40, vcc_lo
	v_cmp_eq_u16_sdwa s3, v3, v16 src0_sel:BYTE_0 src1_sel:DWORD
	ds_bpermute_b32 v6, v30, v8
	v_cmp_eq_u32_e32 vcc_lo, 1, v41
	ds_bpermute_b32 v40, v30, v5
	s_waitcnt lgkmcnt(1)
	v_and_b32_e32 v6, 1, v6
	s_waitcnt lgkmcnt(0)
	v_max_i32_e32 v40, v5, v40
	v_cndmask_b32_e64 v6, v6, 1, vcc_lo
	v_cmp_gt_u32_e32 vcc_lo, v31, v4
	v_and_b32_e32 v41, 0xffff, v6
	v_cndmask_b32_e32 v6, v6, v3, vcc_lo
	v_cndmask_b32_e64 v3, v5, v40, s3
	v_cndmask_b32_e32 v8, v41, v8, vcc_lo
	v_and_b32_e32 v41, 1, v6
	v_cndmask_b32_e32 v3, v3, v5, vcc_lo
	v_cmp_eq_u16_sdwa s3, v6, v16 src0_sel:BYTE_0 src1_sel:DWORD
	ds_bpermute_b32 v40, v32, v8
	v_cmp_eq_u32_e32 vcc_lo, 1, v41
	ds_bpermute_b32 v5, v32, v3
	s_waitcnt lgkmcnt(1)
	v_and_b32_e32 v40, 1, v40
	s_waitcnt lgkmcnt(0)
	v_max_i32_e32 v5, v3, v5
	v_cndmask_b32_e64 v40, v40, 1, vcc_lo
	v_cmp_gt_u32_e32 vcc_lo, v33, v4
	v_cndmask_b32_e64 v5, v3, v5, s3
	s_mov_b32 s3, 0
	v_and_b32_e32 v41, 0xffff, v40
	v_cndmask_b32_e32 v6, v40, v6, vcc_lo
	v_cndmask_b32_e32 v3, v5, v3, vcc_lo
	;; [unrolled: 1-line block ×3, first 2 shown]
	v_and_b32_e32 v41, 1, v6
	ds_bpermute_b32 v40, v34, v3
	ds_bpermute_b32 v5, v34, v8
	v_cmp_eq_u32_e32 vcc_lo, 1, v41
	s_waitcnt lgkmcnt(1)
	v_max_i32_e32 v40, v3, v40
	s_waitcnt lgkmcnt(0)
	v_and_b32_e32 v5, 1, v5
	v_cndmask_b32_e64 v5, v5, 1, vcc_lo
	v_cmp_eq_u16_sdwa vcc_lo, v6, v16 src0_sel:BYTE_0 src1_sel:DWORD
	v_and_b32_e32 v41, 0xffff, v5
	v_cndmask_b32_e32 v40, v3, v40, vcc_lo
	v_cmp_gt_u32_e32 vcc_lo, v37, v4
	v_cndmask_b32_e32 v5, v5, v6, vcc_lo
	v_cndmask_b32_e32 v3, v40, v3, vcc_lo
	;; [unrolled: 1-line block ×3, first 2 shown]
	v_and_b32_e32 v40, 1, v5
	ds_bpermute_b32 v8, v38, v3
	ds_bpermute_b32 v6, v38, v6
	v_cmp_eq_u32_e32 vcc_lo, 1, v40
	s_waitcnt lgkmcnt(1)
	v_max_i32_e32 v8, v3, v8
	s_waitcnt lgkmcnt(0)
	v_cndmask_b32_e64 v6, v6, 1, vcc_lo
	v_cmp_eq_u16_sdwa vcc_lo, v5, v16 src0_sel:BYTE_0 src1_sel:DWORD
	v_cndmask_b32_e32 v8, v3, v8, vcc_lo
	v_cmp_gt_u32_e32 vcc_lo, v39, v4
	v_cndmask_b32_e32 v3, v8, v3, vcc_lo
	v_cndmask_b32_e32 v4, v6, v5, vcc_lo
	v_and_b32_e32 v5, 1, v35
	v_cmp_eq_u16_sdwa vcc_lo, v35, v16 src0_sel:BYTE_0 src1_sel:DWORD
	v_max_i32_e32 v3, v36, v3
	v_and_b32_e32 v4, 1, v4
	v_cndmask_b32_e32 v3, v36, v3, vcc_lo
	v_cmp_eq_u32_e32 vcc_lo, 1, v5
	v_cndmask_b32_e64 v4, v4, 1, vcc_lo
.LBB61_46:                              ;   in Loop: Header=BB61_47 Depth=1
	s_and_b32 vcc_lo, exec_lo, s3
	s_cbranch_vccnz .LBB61_52
.LBB61_47:                              ; =>This Loop Header: Depth=1
                                        ;     Child Loop BB61_50 Depth 2
	v_cmp_ne_u16_sdwa s3, v7, v28 src0_sel:BYTE_0 src1_sel:DWORD
	v_mov_b32_e32 v35, v4
	v_mov_b32_e32 v36, v3
                                        ; implicit-def: $vgpr4
                                        ; implicit-def: $vgpr3
                                        ; implicit-def: $vgpr7
	s_cmp_lg_u32 s3, exec_lo
	s_mov_b32 s3, -1
	s_cbranch_scc1 .LBB61_46
; %bb.48:                               ;   in Loop: Header=BB61_47 Depth=1
	v_lshlrev_b64 v[3:4], 4, v[15:16]
	v_add_co_u32 v3, vcc_lo, s24, v3
	v_add_co_ci_u32_e64 v4, null, s25, v4, vcc_lo
	;;#ASMSTART
	global_load_dwordx4 v[5:8], v[3:4] off glc dlc	
s_waitcnt vmcnt(0)
	;;#ASMEND
	v_and_b32_e32 v6, 0xff, v6
	v_cmp_eq_u16_sdwa s12, v7, v16 src0_sel:BYTE_0 src1_sel:DWORD
	s_and_saveexec_b32 s3, s12
	s_cbranch_execz .LBB61_45
; %bb.49:                               ;   in Loop: Header=BB61_47 Depth=1
	s_mov_b32 s12, 0
.LBB61_50:                              ;   Parent Loop BB61_47 Depth=1
                                        ; =>  This Inner Loop Header: Depth=2
	;;#ASMSTART
	global_load_dwordx4 v[5:8], v[3:4] off glc dlc	
s_waitcnt vmcnt(0)
	;;#ASMEND
	v_cmp_ne_u16_sdwa s13, v7, v16 src0_sel:BYTE_0 src1_sel:DWORD
	s_or_b32 s12, s13, s12
	s_andn2_b32 exec_lo, exec_lo, s12
	s_cbranch_execnz .LBB61_50
	s_branch .LBB61_44
.LBB61_51:
                                        ; implicit-def: $vgpr7
                                        ; implicit-def: $vgpr5
                                        ; implicit-def: $vgpr6
	s_cbranch_execnz .LBB61_57
	s_branch .LBB61_74
.LBB61_52:
	s_and_saveexec_b32 s3, s2
	s_cbranch_execz .LBB61_54
; %bb.53:
	v_mov_b32_e32 v4, 0
	v_max_i32_e32 v3, v1, v36
	v_and_b32_e32 v5, 1, v2
	s_mov_b32 s5, 0
	s_add_i32 s4, s6, 32
	v_cmp_eq_u32_sdwa vcc_lo, v2, v4 src0_sel:BYTE_0 src1_sel:DWORD
	s_lshl_b64 s[4:5], s[4:5], 4
	v_and_b32_e32 v6, 1, v35
	s_add_u32 s4, s24, s4
	s_addc_u32 s5, s25, s5
	v_cndmask_b32_e32 v1, v1, v3, vcc_lo
	v_cmp_eq_u32_e32 vcc_lo, 1, v5
	v_mov_b32_e32 v3, 2
	v_cndmask_b32_e64 v2, v6, 1, vcc_lo
	v_mov_b32_e32 v6, s5
	v_mov_b32_e32 v5, s4
	;;#ASMSTART
	global_store_dwordx4 v[5:6], v[1:4] off	
s_waitcnt vmcnt(0)
	;;#ASMEND
.LBB61_54:
	s_or_b32 exec_lo, exec_lo, s3
	v_cmp_eq_u32_e32 vcc_lo, 0, v0
	s_and_b32 exec_lo, exec_lo, vcc_lo
	s_cbranch_execz .LBB61_56
; %bb.55:
	v_mov_b32_e32 v1, 0
	ds_write_b32 v1, v36 offset:56
	ds_write_b8 v1, v35 offset:60
.LBB61_56:
	s_or_b32 exec_lo, exec_lo, s11
	s_waitcnt lgkmcnt(0)
	v_cndmask_b32_e64 v1, v27, v25, s2
	v_and_b32_e32 v5, 1, v10
	v_mov_b32_e32 v2, 0
	v_cndmask_b32_e64 v3, v26, v24, s2
	v_and_b32_e32 v1, 1, v1
	v_cmp_eq_u32_e32 vcc_lo, 1, v5
	s_barrier
	buffer_gl0_inv
	ds_read_b32 v4, v2 offset:56
	s_mov_b32 s2, 0
	s_mov_b32 s3, 1
	v_cndmask_b32_e64 v1, v1, 1, vcc_lo
	v_cmp_gt_u64_e32 vcc_lo, s[2:3], v[9:10]
	v_max_i32_e32 v3, v9, v3
	v_cndmask_b32_e32 v3, v9, v3, vcc_lo
	v_cmp_eq_u32_e32 vcc_lo, 0, v0
	v_cndmask_b32_e32 v1, v1, v10, vcc_lo
	v_cndmask_b32_e32 v3, v3, v9, vcc_lo
	v_cmp_eq_u16_sdwa vcc_lo, v1, v2 src0_sel:BYTE_0 src1_sel:DWORD
	s_waitcnt lgkmcnt(0)
	v_max_i32_e32 v4, v3, v4
	v_cndmask_b32_e32 v7, v3, v4, vcc_lo
	v_max_i32_e32 v1, v11, v7
	v_cndmask_b32_e64 v5, v11, v1, s0
	v_max_i32_e32 v1, v13, v5
	v_cndmask_b32_e64 v6, v13, v1, s1
	s_branch .LBB61_74
.LBB61_57:
	s_cmp_lg_u64 s[30:31], 0
	v_cmp_eq_u32_e32 vcc_lo, 0, v0
	s_cselect_b32 s1, -1, 0
	s_cmp_lg_u64 s[18:19], 0
	v_cmp_ne_u32_e64 s0, 0, v0
	s_cselect_b32 s2, -1, 0
	s_mov_b32 s4, 0
	s_and_b32 s1, s1, s2
	s_and_b32 s1, vcc_lo, s1
	s_and_saveexec_b32 s2, s1
	s_cbranch_execz .LBB61_59
; %bb.58:
	v_mov_b32_e32 v1, 0
	s_mov_b32 s5, 1
	v_and_b32_e32 v2, 1, v10
	v_cmp_gt_u64_e64 s1, s[4:5], v[9:10]
	s_clause 0x1
	global_load_dword v3, v1, s[18:19]
	global_load_ubyte v4, v1, s[18:19] offset:4
	s_waitcnt vmcnt(1)
	v_max_i32_e32 v3, v9, v3
	s_waitcnt vmcnt(0)
	v_and_b32_e32 v4, 1, v4
	v_cndmask_b32_e64 v9, v9, v3, s1
	v_cmp_eq_u64_e64 s1, 0, v[1:2]
	v_cndmask_b32_e64 v10, 1, v4, s1
.LBB61_59:
	s_or_b32 exec_lo, exec_lo, s2
	v_and_b32_e32 v2, 0xff, v23
	v_mov_b32_e32 v1, 0
	s_mov_b32 s5, 1
	v_max_i32_e32 v4, v11, v9
	v_and_b32_e32 v7, 15, v20
	v_cmp_eq_u64_e64 s1, 0, v[1:2]
	v_cmp_eq_u32_e64 s3, 0, v7
	v_cndmask_b32_e64 v2, 1, v10, s1
	v_cmp_gt_u64_e64 s1, s[4:5], v[11:12]
	v_and_b32_e32 v3, 0xff, v2
	v_cndmask_b32_e64 v5, v11, v4, s1
	v_and_b32_e32 v4, 1, v2
	v_mov_b32_dpp v6, v3 row_shr:1 row_mask:0xf bank_mask:0xf
	v_max_i32_e32 v8, v13, v5
	v_cmp_eq_u32_e64 s2, 1, v4
	v_and_b32_e32 v6, 1, v6
	v_cndmask_b32_e64 v4, v6, 1, s2
	v_cmp_gt_u64_e64 s2, s[4:5], v[13:14]
	v_cmp_eq_u16_e64 s4, 0, v3
	v_cndmask_b32_e64 v2, v4, v2, s3
	v_cndmask_b32_e64 v6, v13, v8, s2
	;; [unrolled: 1-line block ×3, first 2 shown]
	v_and_b32_e32 v14, 1, v2
	v_mov_b32_dpp v12, v6 row_shr:1 row_mask:0xf bank_mask:0xf
	v_mov_b32_dpp v4, v8 row_shr:2 row_mask:0xf bank_mask:0xf
	v_max_i32_e32 v12, v6, v12
	v_and_b32_e32 v4, 1, v4
	v_cndmask_b32_e64 v3, v6, v12, s4
	v_cmp_eq_u32_e64 s4, 1, v14
	v_cndmask_b32_e64 v3, v3, v6, s3
	v_cndmask_b32_e64 v4, v4, 1, s4
	v_cmp_lt_u32_e64 s4, 1, v7
	v_cmp_eq_u16_sdwa s3, v2, v1 src0_sel:BYTE_0 src1_sel:DWORD
	v_cndmask_b32_e64 v12, v2, v4, s4
	v_cndmask_b32_e64 v4, v8, v4, s4
	v_mov_b32_dpp v8, v3 row_shr:2 row_mask:0xf bank_mask:0xf
	s_and_b32 s3, s4, s3
	v_cmp_eq_u16_sdwa s4, v12, v1 src0_sel:BYTE_0 src1_sel:DWORD
	v_mov_b32_dpp v14, v4 row_shr:4 row_mask:0xf bank_mask:0xf
	v_max_i32_e32 v2, v3, v8
	v_and_b32_e32 v8, 1, v12
	v_and_b32_e32 v14, 1, v14
	v_cndmask_b32_e64 v2, v3, v2, s3
	v_cmp_eq_u32_e64 s3, 1, v8
	v_mov_b32_dpp v8, v2 row_shr:4 row_mask:0xf bank_mask:0xf
	v_cndmask_b32_e64 v3, v14, 1, s3
	v_cmp_lt_u32_e64 s3, 3, v7
	v_cndmask_b32_e64 v14, v12, v3, s3
	v_cndmask_b32_e64 v3, v4, v3, s3
	v_max_i32_e32 v4, v2, v8
	s_and_b32 s3, s3, s4
	v_cmp_eq_u16_sdwa s4, v14, v1 src0_sel:BYTE_0 src1_sel:DWORD
	v_mov_b32_dpp v8, v3 row_shr:8 row_mask:0xf bank_mask:0xf
	v_cndmask_b32_e64 v2, v2, v4, s3
	v_and_b32_e32 v4, 1, v14
	v_and_b32_e32 v8, 1, v8
	v_mov_b32_dpp v12, v2 row_shr:8 row_mask:0xf bank_mask:0xf
	v_cmp_eq_u32_e64 s3, 1, v4
	v_cndmask_b32_e64 v4, v8, 1, s3
	v_cmp_lt_u32_e64 s3, 7, v7
	v_max_i32_e32 v7, v2, v12
	s_and_b32 s4, s3, s4
	v_cndmask_b32_e64 v8, v14, v4, s3
	v_cndmask_b32_e64 v2, v2, v7, s4
	;; [unrolled: 1-line block ×3, first 2 shown]
	v_and_b32_e32 v14, 16, v20
	s_mov_b32 s4, exec_lo
	v_and_b32_e32 v12, 1, v8
	ds_swizzle_b32 v4, v2 offset:swizzle(BROADCAST,32,15)
	ds_swizzle_b32 v7, v3 offset:swizzle(BROADCAST,32,15)
	v_cmp_eq_u16_sdwa s3, v8, v1 src0_sel:BYTE_0 src1_sel:DWORD
	s_waitcnt lgkmcnt(1)
	v_max_i32_e32 v4, v2, v4
	s_waitcnt lgkmcnt(0)
	v_and_b32_e32 v7, 1, v7
	v_cndmask_b32_e64 v1, v2, v4, s3
	v_cmp_eq_u32_e64 s3, 1, v12
	v_cndmask_b32_e64 v4, v7, 1, s3
	v_cmp_eq_u32_e64 s3, 0, v14
	v_cndmask_b32_e64 v4, v4, v3, s3
	v_cndmask_b32_e64 v3, v1, v2, s3
	v_cmpx_eq_u32_e64 v0, v22
	s_cbranch_execz .LBB61_61
; %bb.60:
	v_lshlrev_b32_e32 v1, 3, v21
	ds_write_b32 v1, v3
	ds_write_b8 v1, v4 offset:4
.LBB61_61:
	s_or_b32 exec_lo, exec_lo, s4
	s_mov_b32 s4, exec_lo
	s_waitcnt lgkmcnt(0)
	s_barrier
	buffer_gl0_inv
	v_cmpx_gt_u32_e32 8, v0
	s_cbranch_execz .LBB61_67
; %bb.62:
	ds_read_b64 v[1:2], v19
	v_and_b32_e32 v7, 7, v20
	s_mov_b32 s5, exec_lo
	s_waitcnt lgkmcnt(0)
	v_and_b32_e32 v8, 0xffffff00, v2
	v_mov_b32_dpp v14, v1 row_shr:1 row_mask:0xf bank_mask:0xf
	v_mov_b32_dpp v15, v2 row_shr:1 row_mask:0xf bank_mask:0xf
	v_mov_b32_e32 v12, v2
	v_cmpx_ne_u32_e32 0, v7
	s_cbranch_execz .LBB61_64
; %bb.63:
	v_and_b32_e32 v12, 1, v2
	v_and_b32_e32 v15, 1, v15
	v_mov_b32_e32 v16, 0
	v_max_i32_e32 v14, v1, v14
	v_cmp_eq_u32_e64 s3, 1, v12
	v_cndmask_b32_e64 v15, v15, 1, s3
	v_cmp_eq_u16_sdwa s3, v2, v16 src0_sel:BYTE_0 src1_sel:DWORD
	v_or_b32_sdwa v12, v8, v15 dst_sel:DWORD dst_unused:UNUSED_PAD src0_sel:DWORD src1_sel:WORD_0
	v_cndmask_b32_e64 v1, v1, v14, s3
	v_mov_b32_e32 v2, v15
.LBB61_64:
	s_or_b32 exec_lo, exec_lo, s5
	v_mov_b32_dpp v14, v1 row_shr:2 row_mask:0xf bank_mask:0xf
	v_mov_b32_dpp v15, v12 row_shr:2 row_mask:0xf bank_mask:0xf
	s_mov_b32 s5, exec_lo
	v_cmpx_lt_u32_e32 1, v7
	s_cbranch_execz .LBB61_66
; %bb.65:
	v_and_b32_e32 v12, 1, v2
	v_and_b32_e32 v15, 1, v15
	v_mov_b32_e32 v16, 0
	v_max_i32_e32 v14, v1, v14
	v_cmp_eq_u32_e64 s3, 1, v12
	v_cndmask_b32_e64 v15, v15, 1, s3
	v_cmp_eq_u16_sdwa s3, v2, v16 src0_sel:BYTE_0 src1_sel:DWORD
	v_or_b32_sdwa v12, v8, v15 dst_sel:DWORD dst_unused:UNUSED_PAD src0_sel:DWORD src1_sel:WORD_0
	v_cndmask_b32_e64 v1, v1, v14, s3
	v_mov_b32_e32 v2, v15
.LBB61_66:
	s_or_b32 exec_lo, exec_lo, s5
	v_mov_b32_dpp v8, v12 row_shr:4 row_mask:0xf bank_mask:0xf
	v_and_b32_e32 v14, 1, v2
	v_mov_b32_e32 v12, 0
	v_mov_b32_dpp v15, v1 row_shr:4 row_mask:0xf bank_mask:0xf
	v_and_b32_e32 v8, 1, v8
	v_cmp_eq_u32_e64 s3, 1, v14
	v_cmp_eq_u16_sdwa s5, v2, v12 src0_sel:BYTE_0 src1_sel:DWORD
	v_cndmask_b32_e64 v8, v8, 1, s3
	v_cmp_lt_u32_e64 s3, 3, v7
	v_max_i32_e32 v7, v1, v15
	v_cndmask_b32_e64 v2, v2, v8, s3
	s_and_b32 s3, s3, s5
	v_cndmask_b32_e64 v1, v1, v7, s3
	ds_write_b32 v19, v1
	ds_write_b8 v19, v2 offset:4
.LBB61_67:
	s_or_b32 exec_lo, exec_lo, s4
	v_mov_b32_e32 v1, 0
	s_mov_b32 s4, exec_lo
	s_waitcnt lgkmcnt(0)
	s_barrier
	buffer_gl0_inv
	v_cmpx_lt_u32_e32 31, v0
	s_cbranch_execz .LBB61_69
; %bb.68:
	v_lshl_add_u32 v1, v21, 3, -8
	v_cmp_eq_u32_e64 s3, 0, v4
	ds_read_b32 v1, v1
	s_waitcnt lgkmcnt(0)
	v_max_i32_e32 v2, v3, v1
	v_cndmask_b32_e64 v3, v3, v2, s3
.LBB61_69:
	s_or_b32 exec_lo, exec_lo, s4
	v_add_nc_u32_e32 v2, -1, v20
	s_mov_b32 s4, 0
	v_cmp_gt_i32_e64 s3, 0, v2
	v_cndmask_b32_e64 v2, v2, v20, s3
	v_lshlrev_b32_e32 v2, 2, v2
	ds_bpermute_b32 v2, v2, v3
	s_and_saveexec_b32 s3, s0
	s_cbranch_execz .LBB61_71
; %bb.70:
	v_cmp_eq_u32_e64 s0, 0, v20
	s_mov_b32 s5, 1
	;;#ASMSTART
	;;#ASMEND
	s_waitcnt lgkmcnt(0)
	v_cndmask_b32_e64 v1, v2, v1, s0
	v_cmp_gt_u64_e64 s0, s[4:5], v[9:10]
	v_max_i32_e32 v1, v9, v1
	v_cndmask_b32_e64 v9, v9, v1, s0
	v_max_i32_e32 v1, v11, v9
	v_cndmask_b32_e64 v5, v11, v1, s1
	;; [unrolled: 2-line block ×3, first 2 shown]
.LBB61_71:
	s_or_b32 exec_lo, exec_lo, s3
	s_and_saveexec_b32 s0, vcc_lo
	s_cbranch_execz .LBB61_73
; %bb.72:
	v_mov_b32_e32 v4, 0
	s_add_u32 s2, s24, 0x200
	s_addc_u32 s3, s25, 0
	v_mov_b32_e32 v3, 2
	v_mov_b32_e32 v8, s3
	ds_read_b32 v1, v4 offset:56
	s_waitcnt lgkmcnt(1)
	ds_read_u8 v2, v4 offset:60
	v_mov_b32_e32 v7, s2
	s_waitcnt lgkmcnt(0)
	;;#ASMSTART
	global_store_dwordx4 v[7:8], v[1:4] off	
s_waitcnt vmcnt(0)
	;;#ASMEND
.LBB61_73:
	s_or_b32 exec_lo, exec_lo, s0
	v_mov_b32_e32 v7, v9
.LBB61_74:
	s_lshl_b64 s[0:1], s[28:29], 2
	s_add_u32 s2, s14, s0
	s_addc_u32 s3, s15, s1
	s_lshl_b64 s[0:1], s[8:9], 2
	s_add_u32 s0, s2, s0
	s_addc_u32 s1, s3, s1
	s_and_b32 vcc_lo, exec_lo, s7
	s_cbranch_vccz .LBB61_86
; %bb.75:
	v_mul_u32_u24_e32 v1, 3, v0
	v_mov_b32_e32 v8, 0
	v_mov_b32_e32 v3, 0
	s_waitcnt lgkmcnt(0)
	v_mov_b32_e32 v2, 0
	s_add_i32 s10, s10, s26
	s_mov_b32 s2, exec_lo
	v_cmpx_gt_u32_e64 s10, v1
	s_cbranch_execz .LBB61_81
; %bb.76:
	v_add_nc_u32_e32 v3, 1, v1
	v_mov_b32_e32 v2, 0
	v_cmp_gt_u32_e32 vcc_lo, s10, v3
	v_mov_b32_e32 v3, 0
	s_and_saveexec_b32 s3, vcc_lo
	s_cbranch_execz .LBB61_80
; %bb.77:
	v_add_nc_u32_e32 v2, 2, v1
	v_cmp_gt_u32_e32 vcc_lo, s10, v2
	v_mov_b32_e32 v2, 0
	s_and_saveexec_b32 s4, vcc_lo
; %bb.78:
	v_mov_b32_e32 v2, v6
; %bb.79:
	s_or_b32 exec_lo, exec_lo, s4
	v_mov_b32_e32 v3, v5
.LBB61_80:
	s_or_b32 exec_lo, exec_lo, s3
	v_mov_b32_e32 v8, v7
.LBB61_81:
	s_or_b32 exec_lo, exec_lo, s2
	v_lshlrev_b32_e32 v4, 2, v1
	s_barrier
	buffer_gl0_inv
	v_sub_nc_u32_e32 v1, v4, v19
	ds_write2_b32 v4, v8, v3 offset1:1
	ds_write_b32 v4, v2 offset:8
	s_waitcnt lgkmcnt(0)
	s_barrier
	buffer_gl0_inv
	ds_read2st64_b32 v[1:2], v1 offset0:4 offset1:8
	v_sub_co_u32 v8, s2, s0, v18
	v_sub_co_ci_u32_e64 v9, null, s1, 0, s2
	s_mov_b32 s2, exec_lo
	v_cmpx_gt_u32_e64 s10, v0
	s_cbranch_execz .LBB61_83
; %bb.82:
	v_sub_nc_u32_e32 v3, 0, v19
	v_add_nc_u32_e32 v3, v4, v3
	ds_read_b32 v10, v3
	v_add_co_u32 v3, vcc_lo, -4, v8
	v_add_co_ci_u32_e64 v4, null, -1, v9, vcc_lo
	s_waitcnt lgkmcnt(0)
	flat_store_dword v[3:4], v10
.LBB61_83:
	s_or_b32 exec_lo, exec_lo, s2
	v_sub_co_u32 v3, s2, 0, v0
	v_or_b32_e32 v10, 0x100, v0
	v_sub_co_ci_u32_e64 v4, null, 0, 0, s2
	s_mov_b32 s2, exec_lo
	v_cmpx_gt_u32_e64 s10, v10
	s_cbranch_execz .LBB61_85
; %bb.84:
	v_add_co_u32 v8, vcc_lo, 0xfffffbfc, v8
	v_add_co_ci_u32_e64 v9, null, -1, v9, vcc_lo
	s_waitcnt lgkmcnt(0)
	flat_store_dword v[8:9], v1
.LBB61_85:
	s_or_b32 exec_lo, exec_lo, s2
	s_waitcnt lgkmcnt(0)
	v_or_b32_e32 v1, 0x200, v0
	v_cmp_gt_u32_e64 s2, s10, v1
	s_branch .LBB61_88
.LBB61_86:
	s_mov_b32 s2, 0
                                        ; implicit-def: $vgpr2
                                        ; implicit-def: $vgpr3_vgpr4
	s_cbranch_execz .LBB61_88
; %bb.87:
	v_mul_u32_u24_e32 v1, 12, v0
	s_waitcnt lgkmcnt(0)
	s_waitcnt_vscnt null, 0x0
	s_barrier
	buffer_gl0_inv
	s_or_b32 s2, s2, exec_lo
	v_sub_nc_u32_e32 v2, v1, v19
	ds_write2_b32 v1, v7, v5 offset1:1
	ds_write_b32 v1, v6 offset:8
	s_waitcnt lgkmcnt(0)
	s_barrier
	buffer_gl0_inv
	ds_read2st64_b32 v[5:6], v2 offset1:4
	ds_read_b32 v2, v2 offset:2048
	v_sub_co_u32 v1, s3, s0, v18
	v_sub_co_ci_u32_e64 v3, null, s1, 0, s3
	v_add_co_u32 v7, vcc_lo, v1, 0xfffffbfc
	v_add_co_ci_u32_e64 v8, null, -1, v3, vcc_lo
	v_sub_co_u32 v3, s3, 0, v0
	v_sub_co_ci_u32_e64 v4, null, 0, 0, s3
	s_waitcnt lgkmcnt(1)
	flat_store_dword v[7:8], v5 offset:1024
	flat_store_dword v[7:8], v6
.LBB61_88:
	s_and_saveexec_b32 s3, s2
	s_cbranch_execnz .LBB61_90
; %bb.89:
	s_endpgm
.LBB61_90:
	v_lshlrev_b64 v[0:1], 2, v[3:4]
	v_add_co_u32 v0, vcc_lo, s0, v0
	v_add_co_ci_u32_e64 v1, null, s1, v1, vcc_lo
	v_add_co_u32 v0, vcc_lo, 0xfffff7fc, v0
	v_add_co_ci_u32_e64 v1, null, -1, v1, vcc_lo
	s_waitcnt lgkmcnt(0)
	flat_store_dword v[0:1], v2
	s_endpgm
.LBB61_91:
	v_sub_co_u32 v2, s17, s3, v10
	v_sub_co_ci_u32_e64 v3, null, s11, 0, s17
	v_mov_b32_e32 v15, v1
	v_add_co_u32 v2, vcc_lo, -4, v2
	v_add_co_ci_u32_e64 v3, null, -1, v3, vcc_lo
	v_mov_b32_e32 v16, v1
	flat_load_dword v14, v[2:3]
	s_waitcnt vmcnt(0) lgkmcnt(0)
	v_mov_b32_e32 v1, v14
	v_mov_b32_e32 v2, v15
	v_mov_b32_e32 v3, v16
	s_or_b32 exec_lo, exec_lo, s2
	s_and_saveexec_b32 s2, s0
	s_cbranch_execz .LBB61_11
.LBB61_92:
	v_sub_co_u32 v2, s0, s3, v9
	v_sub_co_ci_u32_e64 v9, null, s11, 0, s0
	v_add_co_u32 v11, vcc_lo, -4, v2
	v_add_co_ci_u32_e64 v12, null, -1, v9, vcc_lo
	flat_load_dword v2, v[11:12]
	s_or_b32 exec_lo, exec_lo, s2
	v_mul_u32_u24_e32 v14, 3, v0
	s_and_saveexec_b32 s0, s1
	s_cbranch_execnz .LBB61_12
	s_branch .LBB61_13
	.section	.rodata,"a",@progbits
	.p2align	6, 0x0
	.amdhsa_kernel _ZN7rocprim17ROCPRIM_400000_NS6detail17trampoline_kernelINS0_14default_configENS1_27scan_by_key_config_selectorIiiEEZZNS1_16scan_by_key_implILNS1_25lookback_scan_determinismE0ELb0ES3_N6thrust23THRUST_200600_302600_NS16reverse_iteratorIPKiEESD_NSA_IPiEEiN6hipcub16HIPCUB_304000_NS3MaxENSH_8EqualityEiEE10hipError_tPvRmT2_T3_T4_T5_mT6_T7_P12ihipStream_tbENKUlT_T0_E_clISt17integral_constantIbLb0EES10_EEDaSV_SW_EUlSV_E_NS1_11comp_targetILNS1_3genE8ELNS1_11target_archE1030ELNS1_3gpuE2ELNS1_3repE0EEENS1_30default_config_static_selectorELNS0_4arch9wavefront6targetE0EEEvT1_
		.amdhsa_group_segment_fixed_size 5120
		.amdhsa_private_segment_fixed_size 0
		.amdhsa_kernarg_size 112
		.amdhsa_user_sgpr_count 6
		.amdhsa_user_sgpr_private_segment_buffer 1
		.amdhsa_user_sgpr_dispatch_ptr 0
		.amdhsa_user_sgpr_queue_ptr 0
		.amdhsa_user_sgpr_kernarg_segment_ptr 1
		.amdhsa_user_sgpr_dispatch_id 0
		.amdhsa_user_sgpr_flat_scratch_init 0
		.amdhsa_user_sgpr_private_segment_size 0
		.amdhsa_wavefront_size32 1
		.amdhsa_uses_dynamic_stack 0
		.amdhsa_system_sgpr_private_segment_wavefront_offset 0
		.amdhsa_system_sgpr_workgroup_id_x 1
		.amdhsa_system_sgpr_workgroup_id_y 0
		.amdhsa_system_sgpr_workgroup_id_z 0
		.amdhsa_system_sgpr_workgroup_info 0
		.amdhsa_system_vgpr_workitem_id 0
		.amdhsa_next_free_vgpr 42
		.amdhsa_next_free_sgpr 36
		.amdhsa_reserve_vcc 1
		.amdhsa_reserve_flat_scratch 1
		.amdhsa_float_round_mode_32 0
		.amdhsa_float_round_mode_16_64 0
		.amdhsa_float_denorm_mode_32 3
		.amdhsa_float_denorm_mode_16_64 3
		.amdhsa_dx10_clamp 1
		.amdhsa_ieee_mode 1
		.amdhsa_fp16_overflow 0
		.amdhsa_workgroup_processor_mode 1
		.amdhsa_memory_ordered 1
		.amdhsa_forward_progress 1
		.amdhsa_shared_vgpr_count 0
		.amdhsa_exception_fp_ieee_invalid_op 0
		.amdhsa_exception_fp_denorm_src 0
		.amdhsa_exception_fp_ieee_div_zero 0
		.amdhsa_exception_fp_ieee_overflow 0
		.amdhsa_exception_fp_ieee_underflow 0
		.amdhsa_exception_fp_ieee_inexact 0
		.amdhsa_exception_int_div_zero 0
	.end_amdhsa_kernel
	.section	.text._ZN7rocprim17ROCPRIM_400000_NS6detail17trampoline_kernelINS0_14default_configENS1_27scan_by_key_config_selectorIiiEEZZNS1_16scan_by_key_implILNS1_25lookback_scan_determinismE0ELb0ES3_N6thrust23THRUST_200600_302600_NS16reverse_iteratorIPKiEESD_NSA_IPiEEiN6hipcub16HIPCUB_304000_NS3MaxENSH_8EqualityEiEE10hipError_tPvRmT2_T3_T4_T5_mT6_T7_P12ihipStream_tbENKUlT_T0_E_clISt17integral_constantIbLb0EES10_EEDaSV_SW_EUlSV_E_NS1_11comp_targetILNS1_3genE8ELNS1_11target_archE1030ELNS1_3gpuE2ELNS1_3repE0EEENS1_30default_config_static_selectorELNS0_4arch9wavefront6targetE0EEEvT1_,"axG",@progbits,_ZN7rocprim17ROCPRIM_400000_NS6detail17trampoline_kernelINS0_14default_configENS1_27scan_by_key_config_selectorIiiEEZZNS1_16scan_by_key_implILNS1_25lookback_scan_determinismE0ELb0ES3_N6thrust23THRUST_200600_302600_NS16reverse_iteratorIPKiEESD_NSA_IPiEEiN6hipcub16HIPCUB_304000_NS3MaxENSH_8EqualityEiEE10hipError_tPvRmT2_T3_T4_T5_mT6_T7_P12ihipStream_tbENKUlT_T0_E_clISt17integral_constantIbLb0EES10_EEDaSV_SW_EUlSV_E_NS1_11comp_targetILNS1_3genE8ELNS1_11target_archE1030ELNS1_3gpuE2ELNS1_3repE0EEENS1_30default_config_static_selectorELNS0_4arch9wavefront6targetE0EEEvT1_,comdat
.Lfunc_end61:
	.size	_ZN7rocprim17ROCPRIM_400000_NS6detail17trampoline_kernelINS0_14default_configENS1_27scan_by_key_config_selectorIiiEEZZNS1_16scan_by_key_implILNS1_25lookback_scan_determinismE0ELb0ES3_N6thrust23THRUST_200600_302600_NS16reverse_iteratorIPKiEESD_NSA_IPiEEiN6hipcub16HIPCUB_304000_NS3MaxENSH_8EqualityEiEE10hipError_tPvRmT2_T3_T4_T5_mT6_T7_P12ihipStream_tbENKUlT_T0_E_clISt17integral_constantIbLb0EES10_EEDaSV_SW_EUlSV_E_NS1_11comp_targetILNS1_3genE8ELNS1_11target_archE1030ELNS1_3gpuE2ELNS1_3repE0EEENS1_30default_config_static_selectorELNS0_4arch9wavefront6targetE0EEEvT1_, .Lfunc_end61-_ZN7rocprim17ROCPRIM_400000_NS6detail17trampoline_kernelINS0_14default_configENS1_27scan_by_key_config_selectorIiiEEZZNS1_16scan_by_key_implILNS1_25lookback_scan_determinismE0ELb0ES3_N6thrust23THRUST_200600_302600_NS16reverse_iteratorIPKiEESD_NSA_IPiEEiN6hipcub16HIPCUB_304000_NS3MaxENSH_8EqualityEiEE10hipError_tPvRmT2_T3_T4_T5_mT6_T7_P12ihipStream_tbENKUlT_T0_E_clISt17integral_constantIbLb0EES10_EEDaSV_SW_EUlSV_E_NS1_11comp_targetILNS1_3genE8ELNS1_11target_archE1030ELNS1_3gpuE2ELNS1_3repE0EEENS1_30default_config_static_selectorELNS0_4arch9wavefront6targetE0EEEvT1_
                                        ; -- End function
	.set _ZN7rocprim17ROCPRIM_400000_NS6detail17trampoline_kernelINS0_14default_configENS1_27scan_by_key_config_selectorIiiEEZZNS1_16scan_by_key_implILNS1_25lookback_scan_determinismE0ELb0ES3_N6thrust23THRUST_200600_302600_NS16reverse_iteratorIPKiEESD_NSA_IPiEEiN6hipcub16HIPCUB_304000_NS3MaxENSH_8EqualityEiEE10hipError_tPvRmT2_T3_T4_T5_mT6_T7_P12ihipStream_tbENKUlT_T0_E_clISt17integral_constantIbLb0EES10_EEDaSV_SW_EUlSV_E_NS1_11comp_targetILNS1_3genE8ELNS1_11target_archE1030ELNS1_3gpuE2ELNS1_3repE0EEENS1_30default_config_static_selectorELNS0_4arch9wavefront6targetE0EEEvT1_.num_vgpr, 42
	.set _ZN7rocprim17ROCPRIM_400000_NS6detail17trampoline_kernelINS0_14default_configENS1_27scan_by_key_config_selectorIiiEEZZNS1_16scan_by_key_implILNS1_25lookback_scan_determinismE0ELb0ES3_N6thrust23THRUST_200600_302600_NS16reverse_iteratorIPKiEESD_NSA_IPiEEiN6hipcub16HIPCUB_304000_NS3MaxENSH_8EqualityEiEE10hipError_tPvRmT2_T3_T4_T5_mT6_T7_P12ihipStream_tbENKUlT_T0_E_clISt17integral_constantIbLb0EES10_EEDaSV_SW_EUlSV_E_NS1_11comp_targetILNS1_3genE8ELNS1_11target_archE1030ELNS1_3gpuE2ELNS1_3repE0EEENS1_30default_config_static_selectorELNS0_4arch9wavefront6targetE0EEEvT1_.num_agpr, 0
	.set _ZN7rocprim17ROCPRIM_400000_NS6detail17trampoline_kernelINS0_14default_configENS1_27scan_by_key_config_selectorIiiEEZZNS1_16scan_by_key_implILNS1_25lookback_scan_determinismE0ELb0ES3_N6thrust23THRUST_200600_302600_NS16reverse_iteratorIPKiEESD_NSA_IPiEEiN6hipcub16HIPCUB_304000_NS3MaxENSH_8EqualityEiEE10hipError_tPvRmT2_T3_T4_T5_mT6_T7_P12ihipStream_tbENKUlT_T0_E_clISt17integral_constantIbLb0EES10_EEDaSV_SW_EUlSV_E_NS1_11comp_targetILNS1_3genE8ELNS1_11target_archE1030ELNS1_3gpuE2ELNS1_3repE0EEENS1_30default_config_static_selectorELNS0_4arch9wavefront6targetE0EEEvT1_.numbered_sgpr, 36
	.set _ZN7rocprim17ROCPRIM_400000_NS6detail17trampoline_kernelINS0_14default_configENS1_27scan_by_key_config_selectorIiiEEZZNS1_16scan_by_key_implILNS1_25lookback_scan_determinismE0ELb0ES3_N6thrust23THRUST_200600_302600_NS16reverse_iteratorIPKiEESD_NSA_IPiEEiN6hipcub16HIPCUB_304000_NS3MaxENSH_8EqualityEiEE10hipError_tPvRmT2_T3_T4_T5_mT6_T7_P12ihipStream_tbENKUlT_T0_E_clISt17integral_constantIbLb0EES10_EEDaSV_SW_EUlSV_E_NS1_11comp_targetILNS1_3genE8ELNS1_11target_archE1030ELNS1_3gpuE2ELNS1_3repE0EEENS1_30default_config_static_selectorELNS0_4arch9wavefront6targetE0EEEvT1_.num_named_barrier, 0
	.set _ZN7rocprim17ROCPRIM_400000_NS6detail17trampoline_kernelINS0_14default_configENS1_27scan_by_key_config_selectorIiiEEZZNS1_16scan_by_key_implILNS1_25lookback_scan_determinismE0ELb0ES3_N6thrust23THRUST_200600_302600_NS16reverse_iteratorIPKiEESD_NSA_IPiEEiN6hipcub16HIPCUB_304000_NS3MaxENSH_8EqualityEiEE10hipError_tPvRmT2_T3_T4_T5_mT6_T7_P12ihipStream_tbENKUlT_T0_E_clISt17integral_constantIbLb0EES10_EEDaSV_SW_EUlSV_E_NS1_11comp_targetILNS1_3genE8ELNS1_11target_archE1030ELNS1_3gpuE2ELNS1_3repE0EEENS1_30default_config_static_selectorELNS0_4arch9wavefront6targetE0EEEvT1_.private_seg_size, 0
	.set _ZN7rocprim17ROCPRIM_400000_NS6detail17trampoline_kernelINS0_14default_configENS1_27scan_by_key_config_selectorIiiEEZZNS1_16scan_by_key_implILNS1_25lookback_scan_determinismE0ELb0ES3_N6thrust23THRUST_200600_302600_NS16reverse_iteratorIPKiEESD_NSA_IPiEEiN6hipcub16HIPCUB_304000_NS3MaxENSH_8EqualityEiEE10hipError_tPvRmT2_T3_T4_T5_mT6_T7_P12ihipStream_tbENKUlT_T0_E_clISt17integral_constantIbLb0EES10_EEDaSV_SW_EUlSV_E_NS1_11comp_targetILNS1_3genE8ELNS1_11target_archE1030ELNS1_3gpuE2ELNS1_3repE0EEENS1_30default_config_static_selectorELNS0_4arch9wavefront6targetE0EEEvT1_.uses_vcc, 1
	.set _ZN7rocprim17ROCPRIM_400000_NS6detail17trampoline_kernelINS0_14default_configENS1_27scan_by_key_config_selectorIiiEEZZNS1_16scan_by_key_implILNS1_25lookback_scan_determinismE0ELb0ES3_N6thrust23THRUST_200600_302600_NS16reverse_iteratorIPKiEESD_NSA_IPiEEiN6hipcub16HIPCUB_304000_NS3MaxENSH_8EqualityEiEE10hipError_tPvRmT2_T3_T4_T5_mT6_T7_P12ihipStream_tbENKUlT_T0_E_clISt17integral_constantIbLb0EES10_EEDaSV_SW_EUlSV_E_NS1_11comp_targetILNS1_3genE8ELNS1_11target_archE1030ELNS1_3gpuE2ELNS1_3repE0EEENS1_30default_config_static_selectorELNS0_4arch9wavefront6targetE0EEEvT1_.uses_flat_scratch, 1
	.set _ZN7rocprim17ROCPRIM_400000_NS6detail17trampoline_kernelINS0_14default_configENS1_27scan_by_key_config_selectorIiiEEZZNS1_16scan_by_key_implILNS1_25lookback_scan_determinismE0ELb0ES3_N6thrust23THRUST_200600_302600_NS16reverse_iteratorIPKiEESD_NSA_IPiEEiN6hipcub16HIPCUB_304000_NS3MaxENSH_8EqualityEiEE10hipError_tPvRmT2_T3_T4_T5_mT6_T7_P12ihipStream_tbENKUlT_T0_E_clISt17integral_constantIbLb0EES10_EEDaSV_SW_EUlSV_E_NS1_11comp_targetILNS1_3genE8ELNS1_11target_archE1030ELNS1_3gpuE2ELNS1_3repE0EEENS1_30default_config_static_selectorELNS0_4arch9wavefront6targetE0EEEvT1_.has_dyn_sized_stack, 0
	.set _ZN7rocprim17ROCPRIM_400000_NS6detail17trampoline_kernelINS0_14default_configENS1_27scan_by_key_config_selectorIiiEEZZNS1_16scan_by_key_implILNS1_25lookback_scan_determinismE0ELb0ES3_N6thrust23THRUST_200600_302600_NS16reverse_iteratorIPKiEESD_NSA_IPiEEiN6hipcub16HIPCUB_304000_NS3MaxENSH_8EqualityEiEE10hipError_tPvRmT2_T3_T4_T5_mT6_T7_P12ihipStream_tbENKUlT_T0_E_clISt17integral_constantIbLb0EES10_EEDaSV_SW_EUlSV_E_NS1_11comp_targetILNS1_3genE8ELNS1_11target_archE1030ELNS1_3gpuE2ELNS1_3repE0EEENS1_30default_config_static_selectorELNS0_4arch9wavefront6targetE0EEEvT1_.has_recursion, 0
	.set _ZN7rocprim17ROCPRIM_400000_NS6detail17trampoline_kernelINS0_14default_configENS1_27scan_by_key_config_selectorIiiEEZZNS1_16scan_by_key_implILNS1_25lookback_scan_determinismE0ELb0ES3_N6thrust23THRUST_200600_302600_NS16reverse_iteratorIPKiEESD_NSA_IPiEEiN6hipcub16HIPCUB_304000_NS3MaxENSH_8EqualityEiEE10hipError_tPvRmT2_T3_T4_T5_mT6_T7_P12ihipStream_tbENKUlT_T0_E_clISt17integral_constantIbLb0EES10_EEDaSV_SW_EUlSV_E_NS1_11comp_targetILNS1_3genE8ELNS1_11target_archE1030ELNS1_3gpuE2ELNS1_3repE0EEENS1_30default_config_static_selectorELNS0_4arch9wavefront6targetE0EEEvT1_.has_indirect_call, 0
	.section	.AMDGPU.csdata,"",@progbits
; Kernel info:
; codeLenInByte = 6428
; TotalNumSgprs: 38
; NumVgprs: 42
; ScratchSize: 0
; MemoryBound: 0
; FloatMode: 240
; IeeeMode: 1
; LDSByteSize: 5120 bytes/workgroup (compile time only)
; SGPRBlocks: 0
; VGPRBlocks: 5
; NumSGPRsForWavesPerEU: 38
; NumVGPRsForWavesPerEU: 42
; Occupancy: 16
; WaveLimiterHint : 1
; COMPUTE_PGM_RSRC2:SCRATCH_EN: 0
; COMPUTE_PGM_RSRC2:USER_SGPR: 6
; COMPUTE_PGM_RSRC2:TRAP_HANDLER: 0
; COMPUTE_PGM_RSRC2:TGID_X_EN: 1
; COMPUTE_PGM_RSRC2:TGID_Y_EN: 0
; COMPUTE_PGM_RSRC2:TGID_Z_EN: 0
; COMPUTE_PGM_RSRC2:TIDIG_COMP_CNT: 0
	.section	.text._ZN7rocprim17ROCPRIM_400000_NS6detail30init_device_scan_by_key_kernelINS1_19lookback_scan_stateINS0_5tupleIJibEEELb1ELb1EEEN6thrust23THRUST_200600_302600_NS16reverse_iteratorIPKiEEjNS1_16block_id_wrapperIjLb1EEEEEvT_jjPNSF_10value_typeET0_PNSt15iterator_traitsISI_E10value_typeEmT1_T2_,"axG",@progbits,_ZN7rocprim17ROCPRIM_400000_NS6detail30init_device_scan_by_key_kernelINS1_19lookback_scan_stateINS0_5tupleIJibEEELb1ELb1EEEN6thrust23THRUST_200600_302600_NS16reverse_iteratorIPKiEEjNS1_16block_id_wrapperIjLb1EEEEEvT_jjPNSF_10value_typeET0_PNSt15iterator_traitsISI_E10value_typeEmT1_T2_,comdat
	.protected	_ZN7rocprim17ROCPRIM_400000_NS6detail30init_device_scan_by_key_kernelINS1_19lookback_scan_stateINS0_5tupleIJibEEELb1ELb1EEEN6thrust23THRUST_200600_302600_NS16reverse_iteratorIPKiEEjNS1_16block_id_wrapperIjLb1EEEEEvT_jjPNSF_10value_typeET0_PNSt15iterator_traitsISI_E10value_typeEmT1_T2_ ; -- Begin function _ZN7rocprim17ROCPRIM_400000_NS6detail30init_device_scan_by_key_kernelINS1_19lookback_scan_stateINS0_5tupleIJibEEELb1ELb1EEEN6thrust23THRUST_200600_302600_NS16reverse_iteratorIPKiEEjNS1_16block_id_wrapperIjLb1EEEEEvT_jjPNSF_10value_typeET0_PNSt15iterator_traitsISI_E10value_typeEmT1_T2_
	.globl	_ZN7rocprim17ROCPRIM_400000_NS6detail30init_device_scan_by_key_kernelINS1_19lookback_scan_stateINS0_5tupleIJibEEELb1ELb1EEEN6thrust23THRUST_200600_302600_NS16reverse_iteratorIPKiEEjNS1_16block_id_wrapperIjLb1EEEEEvT_jjPNSF_10value_typeET0_PNSt15iterator_traitsISI_E10value_typeEmT1_T2_
	.p2align	8
	.type	_ZN7rocprim17ROCPRIM_400000_NS6detail30init_device_scan_by_key_kernelINS1_19lookback_scan_stateINS0_5tupleIJibEEELb1ELb1EEEN6thrust23THRUST_200600_302600_NS16reverse_iteratorIPKiEEjNS1_16block_id_wrapperIjLb1EEEEEvT_jjPNSF_10value_typeET0_PNSt15iterator_traitsISI_E10value_typeEmT1_T2_,@function
_ZN7rocprim17ROCPRIM_400000_NS6detail30init_device_scan_by_key_kernelINS1_19lookback_scan_stateINS0_5tupleIJibEEELb1ELb1EEEN6thrust23THRUST_200600_302600_NS16reverse_iteratorIPKiEEjNS1_16block_id_wrapperIjLb1EEEEEvT_jjPNSF_10value_typeET0_PNSt15iterator_traitsISI_E10value_typeEmT1_T2_: ; @_ZN7rocprim17ROCPRIM_400000_NS6detail30init_device_scan_by_key_kernelINS1_19lookback_scan_stateINS0_5tupleIJibEEELb1ELb1EEEN6thrust23THRUST_200600_302600_NS16reverse_iteratorIPKiEEjNS1_16block_id_wrapperIjLb1EEEEEvT_jjPNSF_10value_typeET0_PNSt15iterator_traitsISI_E10value_typeEmT1_T2_
; %bb.0:
	s_clause 0x2
	s_load_dword s0, s[4:5], 0x4c
	s_load_dwordx8 s[8:15], s[4:5], 0x0
	s_load_dword s7, s[4:5], 0x40
	s_waitcnt lgkmcnt(0)
	s_and_b32 s16, s0, 0xffff
	s_cmp_eq_u64 s[12:13], 0
	v_mad_u64_u32 v[4:5], null, s6, s16, v[0:1]
	s_cbranch_scc1 .LBB62_10
; %bb.1:
	s_cmp_lt_u32 s11, s10
	s_mov_b32 s1, 0
	s_cselect_b32 s0, s11, 0
	s_mov_b32 s2, exec_lo
	v_cmpx_eq_u32_e64 s0, v4
	s_cbranch_execz .LBB62_9
; %bb.2:
	s_add_i32 s0, s11, 32
	v_mov_b32_e32 v6, 0
	s_lshl_b64 s[0:1], s[0:1], 4
	s_mov_b32 s3, exec_lo
	s_add_u32 s0, s8, s0
	s_addc_u32 s1, s9, s1
	v_mov_b32_e32 v0, s0
	v_mov_b32_e32 v1, s1
	;;#ASMSTART
	global_load_dwordx4 v[0:3], v[0:1] off glc dlc	
s_waitcnt vmcnt(0)
	;;#ASMEND
	v_and_b32_e32 v5, 0xff, v2
	v_cmpx_eq_u64_e32 0, v[5:6]
	s_cbranch_execz .LBB62_8
; %bb.3:
	v_mov_b32_e32 v8, s1
	v_mov_b32_e32 v7, s0
	s_mov_b32 s1, 1
	s_mov_b32 s0, 0
	.p2align	6
.LBB62_4:                               ; =>This Loop Header: Depth=1
                                        ;     Child Loop BB62_5 Depth 2
	s_mov_b32 s6, s1
.LBB62_5:                               ;   Parent Loop BB62_4 Depth=1
                                        ; =>  This Inner Loop Header: Depth=2
	s_add_i32 s6, s6, -1
	s_sleep 1
	s_cmp_eq_u32 s6, 0
	s_cbranch_scc0 .LBB62_5
; %bb.6:                                ;   in Loop: Header=BB62_4 Depth=1
	;;#ASMSTART
	global_load_dwordx4 v[0:3], v[7:8] off glc dlc	
s_waitcnt vmcnt(0)
	;;#ASMEND
	v_and_b32_e32 v5, 0xff, v2
	s_cmp_lt_u32 s1, 32
	s_cselect_b32 s6, -1, 0
	v_cmp_ne_u64_e32 vcc_lo, 0, v[5:6]
	s_cmp_lg_u32 s6, 0
	s_addc_u32 s1, s1, 0
	s_or_b32 s0, vcc_lo, s0
	s_andn2_b32 exec_lo, exec_lo, s0
	s_cbranch_execnz .LBB62_4
; %bb.7:
	s_or_b32 exec_lo, exec_lo, s0
.LBB62_8:
	s_or_b32 exec_lo, exec_lo, s3
	v_mov_b32_e32 v2, 0
	global_store_dword v2, v0, s[12:13]
	global_store_byte v2, v1, s[12:13] offset:4
.LBB62_9:
	s_or_b32 exec_lo, exec_lo, s2
.LBB62_10:
	s_mov_b32 s0, exec_lo
	v_cmpx_eq_u32_e32 0, v4
	s_cbranch_execz .LBB62_12
; %bb.11:
	s_load_dwordx2 s[2:3], s[4:5], 0x38
	v_mov_b32_e32 v0, 0
	s_waitcnt lgkmcnt(0)
	global_store_dword v0, v0, s[2:3]
.LBB62_12:
	s_or_b32 exec_lo, exec_lo, s0
	s_mov_b32 s0, exec_lo
	v_cmpx_gt_u32_e64 s10, v4
	s_cbranch_execz .LBB62_14
; %bb.13:
	v_add_nc_u32_e32 v0, 32, v4
	v_mov_b32_e32 v1, 0
	v_lshlrev_b64 v[5:6], 4, v[0:1]
	v_mov_b32_e32 v0, v1
	v_mov_b32_e32 v2, v1
	;; [unrolled: 1-line block ×3, first 2 shown]
	v_add_co_u32 v5, vcc_lo, s8, v5
	v_add_co_ci_u32_e64 v6, null, s9, v6, vcc_lo
	global_store_dwordx4 v[5:6], v[0:3], off
.LBB62_14:
	s_or_b32 exec_lo, exec_lo, s0
	v_mov_b32_e32 v5, 0
	s_mov_b32 s0, exec_lo
	v_cmpx_gt_u32_e32 32, v4
	s_cbranch_execz .LBB62_16
; %bb.15:
	v_lshlrev_b64 v[6:7], 4, v[4:5]
	v_mov_b32_e32 v2, 0xff
	v_mov_b32_e32 v0, v5
	;; [unrolled: 1-line block ×4, first 2 shown]
	v_add_co_u32 v6, vcc_lo, s8, v6
	v_add_co_ci_u32_e64 v7, null, s9, v7, vcc_lo
	global_store_dwordx4 v[6:7], v[0:3], off
.LBB62_16:
	s_or_b32 exec_lo, exec_lo, s0
	s_load_dwordx2 s[2:3], s[4:5], 0x28
	s_mov_b32 s0, exec_lo
	s_waitcnt lgkmcnt(0)
	v_cmpx_gt_u64_e64 s[2:3], v[4:5]
	s_cbranch_execz .LBB62_19
; %bb.17:
	s_clause 0x1
	s_load_dword s6, s[4:5], 0x30
	s_load_dwordx2 s[8:9], s[4:5], 0x20
	s_mov_b32 s1, 0
	v_lshlrev_b64 v[2:3], 2, v[4:5]
	s_mul_i32 s4, s7, s16
	s_mov_b32 s5, s1
	s_waitcnt lgkmcnt(0)
	s_add_i32 s0, s6, -1
	s_mul_hi_u32 s7, s6, s4
	v_mad_u64_u32 v[0:1], null, s6, v4, s[0:1]
	s_mul_i32 s6, s6, s4
	s_lshl_b64 s[6:7], s[6:7], 2
	v_not_b32_e32 v1, v1
	v_not_b32_e32 v0, v0
	v_lshlrev_b64 v[0:1], 2, v[0:1]
	v_add_co_u32 v0, vcc_lo, s14, v0
	v_add_co_ci_u32_e64 v1, null, s15, v1, vcc_lo
	v_add_co_u32 v2, vcc_lo, s8, v2
	v_add_co_ci_u32_e64 v3, null, s9, v3, vcc_lo
	s_sub_u32 s8, 0, s6
	s_subb_u32 s9, 0, s7
	s_lshl_b64 s[6:7], s[4:5], 2
	.p2align	6
.LBB62_18:                              ; =>This Inner Loop Header: Depth=1
	global_load_dword v6, v[0:1], off
	v_add_co_u32 v4, vcc_lo, v4, s4
	v_add_co_ci_u32_e64 v5, null, 0, v5, vcc_lo
	v_add_co_u32 v0, vcc_lo, v0, s8
	v_add_co_ci_u32_e64 v1, null, s9, v1, vcc_lo
	v_cmp_le_u64_e32 vcc_lo, s[2:3], v[4:5]
	s_or_b32 s1, vcc_lo, s1
	s_waitcnt vmcnt(0)
	global_store_dword v[2:3], v6, off
	v_add_co_u32 v2, s0, v2, s6
	v_add_co_ci_u32_e64 v3, null, s7, v3, s0
	s_andn2_b32 exec_lo, exec_lo, s1
	s_cbranch_execnz .LBB62_18
.LBB62_19:
	s_endpgm
	.section	.rodata,"a",@progbits
	.p2align	6, 0x0
	.amdhsa_kernel _ZN7rocprim17ROCPRIM_400000_NS6detail30init_device_scan_by_key_kernelINS1_19lookback_scan_stateINS0_5tupleIJibEEELb1ELb1EEEN6thrust23THRUST_200600_302600_NS16reverse_iteratorIPKiEEjNS1_16block_id_wrapperIjLb1EEEEEvT_jjPNSF_10value_typeET0_PNSt15iterator_traitsISI_E10value_typeEmT1_T2_
		.amdhsa_group_segment_fixed_size 0
		.amdhsa_private_segment_fixed_size 0
		.amdhsa_kernarg_size 320
		.amdhsa_user_sgpr_count 6
		.amdhsa_user_sgpr_private_segment_buffer 1
		.amdhsa_user_sgpr_dispatch_ptr 0
		.amdhsa_user_sgpr_queue_ptr 0
		.amdhsa_user_sgpr_kernarg_segment_ptr 1
		.amdhsa_user_sgpr_dispatch_id 0
		.amdhsa_user_sgpr_flat_scratch_init 0
		.amdhsa_user_sgpr_private_segment_size 0
		.amdhsa_wavefront_size32 1
		.amdhsa_uses_dynamic_stack 0
		.amdhsa_system_sgpr_private_segment_wavefront_offset 0
		.amdhsa_system_sgpr_workgroup_id_x 1
		.amdhsa_system_sgpr_workgroup_id_y 0
		.amdhsa_system_sgpr_workgroup_id_z 0
		.amdhsa_system_sgpr_workgroup_info 0
		.amdhsa_system_vgpr_workitem_id 0
		.amdhsa_next_free_vgpr 9
		.amdhsa_next_free_sgpr 17
		.amdhsa_reserve_vcc 1
		.amdhsa_reserve_flat_scratch 0
		.amdhsa_float_round_mode_32 0
		.amdhsa_float_round_mode_16_64 0
		.amdhsa_float_denorm_mode_32 3
		.amdhsa_float_denorm_mode_16_64 3
		.amdhsa_dx10_clamp 1
		.amdhsa_ieee_mode 1
		.amdhsa_fp16_overflow 0
		.amdhsa_workgroup_processor_mode 1
		.amdhsa_memory_ordered 1
		.amdhsa_forward_progress 1
		.amdhsa_shared_vgpr_count 0
		.amdhsa_exception_fp_ieee_invalid_op 0
		.amdhsa_exception_fp_denorm_src 0
		.amdhsa_exception_fp_ieee_div_zero 0
		.amdhsa_exception_fp_ieee_overflow 0
		.amdhsa_exception_fp_ieee_underflow 0
		.amdhsa_exception_fp_ieee_inexact 0
		.amdhsa_exception_int_div_zero 0
	.end_amdhsa_kernel
	.section	.text._ZN7rocprim17ROCPRIM_400000_NS6detail30init_device_scan_by_key_kernelINS1_19lookback_scan_stateINS0_5tupleIJibEEELb1ELb1EEEN6thrust23THRUST_200600_302600_NS16reverse_iteratorIPKiEEjNS1_16block_id_wrapperIjLb1EEEEEvT_jjPNSF_10value_typeET0_PNSt15iterator_traitsISI_E10value_typeEmT1_T2_,"axG",@progbits,_ZN7rocprim17ROCPRIM_400000_NS6detail30init_device_scan_by_key_kernelINS1_19lookback_scan_stateINS0_5tupleIJibEEELb1ELb1EEEN6thrust23THRUST_200600_302600_NS16reverse_iteratorIPKiEEjNS1_16block_id_wrapperIjLb1EEEEEvT_jjPNSF_10value_typeET0_PNSt15iterator_traitsISI_E10value_typeEmT1_T2_,comdat
.Lfunc_end62:
	.size	_ZN7rocprim17ROCPRIM_400000_NS6detail30init_device_scan_by_key_kernelINS1_19lookback_scan_stateINS0_5tupleIJibEEELb1ELb1EEEN6thrust23THRUST_200600_302600_NS16reverse_iteratorIPKiEEjNS1_16block_id_wrapperIjLb1EEEEEvT_jjPNSF_10value_typeET0_PNSt15iterator_traitsISI_E10value_typeEmT1_T2_, .Lfunc_end62-_ZN7rocprim17ROCPRIM_400000_NS6detail30init_device_scan_by_key_kernelINS1_19lookback_scan_stateINS0_5tupleIJibEEELb1ELb1EEEN6thrust23THRUST_200600_302600_NS16reverse_iteratorIPKiEEjNS1_16block_id_wrapperIjLb1EEEEEvT_jjPNSF_10value_typeET0_PNSt15iterator_traitsISI_E10value_typeEmT1_T2_
                                        ; -- End function
	.set _ZN7rocprim17ROCPRIM_400000_NS6detail30init_device_scan_by_key_kernelINS1_19lookback_scan_stateINS0_5tupleIJibEEELb1ELb1EEEN6thrust23THRUST_200600_302600_NS16reverse_iteratorIPKiEEjNS1_16block_id_wrapperIjLb1EEEEEvT_jjPNSF_10value_typeET0_PNSt15iterator_traitsISI_E10value_typeEmT1_T2_.num_vgpr, 9
	.set _ZN7rocprim17ROCPRIM_400000_NS6detail30init_device_scan_by_key_kernelINS1_19lookback_scan_stateINS0_5tupleIJibEEELb1ELb1EEEN6thrust23THRUST_200600_302600_NS16reverse_iteratorIPKiEEjNS1_16block_id_wrapperIjLb1EEEEEvT_jjPNSF_10value_typeET0_PNSt15iterator_traitsISI_E10value_typeEmT1_T2_.num_agpr, 0
	.set _ZN7rocprim17ROCPRIM_400000_NS6detail30init_device_scan_by_key_kernelINS1_19lookback_scan_stateINS0_5tupleIJibEEELb1ELb1EEEN6thrust23THRUST_200600_302600_NS16reverse_iteratorIPKiEEjNS1_16block_id_wrapperIjLb1EEEEEvT_jjPNSF_10value_typeET0_PNSt15iterator_traitsISI_E10value_typeEmT1_T2_.numbered_sgpr, 17
	.set _ZN7rocprim17ROCPRIM_400000_NS6detail30init_device_scan_by_key_kernelINS1_19lookback_scan_stateINS0_5tupleIJibEEELb1ELb1EEEN6thrust23THRUST_200600_302600_NS16reverse_iteratorIPKiEEjNS1_16block_id_wrapperIjLb1EEEEEvT_jjPNSF_10value_typeET0_PNSt15iterator_traitsISI_E10value_typeEmT1_T2_.num_named_barrier, 0
	.set _ZN7rocprim17ROCPRIM_400000_NS6detail30init_device_scan_by_key_kernelINS1_19lookback_scan_stateINS0_5tupleIJibEEELb1ELb1EEEN6thrust23THRUST_200600_302600_NS16reverse_iteratorIPKiEEjNS1_16block_id_wrapperIjLb1EEEEEvT_jjPNSF_10value_typeET0_PNSt15iterator_traitsISI_E10value_typeEmT1_T2_.private_seg_size, 0
	.set _ZN7rocprim17ROCPRIM_400000_NS6detail30init_device_scan_by_key_kernelINS1_19lookback_scan_stateINS0_5tupleIJibEEELb1ELb1EEEN6thrust23THRUST_200600_302600_NS16reverse_iteratorIPKiEEjNS1_16block_id_wrapperIjLb1EEEEEvT_jjPNSF_10value_typeET0_PNSt15iterator_traitsISI_E10value_typeEmT1_T2_.uses_vcc, 1
	.set _ZN7rocprim17ROCPRIM_400000_NS6detail30init_device_scan_by_key_kernelINS1_19lookback_scan_stateINS0_5tupleIJibEEELb1ELb1EEEN6thrust23THRUST_200600_302600_NS16reverse_iteratorIPKiEEjNS1_16block_id_wrapperIjLb1EEEEEvT_jjPNSF_10value_typeET0_PNSt15iterator_traitsISI_E10value_typeEmT1_T2_.uses_flat_scratch, 0
	.set _ZN7rocprim17ROCPRIM_400000_NS6detail30init_device_scan_by_key_kernelINS1_19lookback_scan_stateINS0_5tupleIJibEEELb1ELb1EEEN6thrust23THRUST_200600_302600_NS16reverse_iteratorIPKiEEjNS1_16block_id_wrapperIjLb1EEEEEvT_jjPNSF_10value_typeET0_PNSt15iterator_traitsISI_E10value_typeEmT1_T2_.has_dyn_sized_stack, 0
	.set _ZN7rocprim17ROCPRIM_400000_NS6detail30init_device_scan_by_key_kernelINS1_19lookback_scan_stateINS0_5tupleIJibEEELb1ELb1EEEN6thrust23THRUST_200600_302600_NS16reverse_iteratorIPKiEEjNS1_16block_id_wrapperIjLb1EEEEEvT_jjPNSF_10value_typeET0_PNSt15iterator_traitsISI_E10value_typeEmT1_T2_.has_recursion, 0
	.set _ZN7rocprim17ROCPRIM_400000_NS6detail30init_device_scan_by_key_kernelINS1_19lookback_scan_stateINS0_5tupleIJibEEELb1ELb1EEEN6thrust23THRUST_200600_302600_NS16reverse_iteratorIPKiEEjNS1_16block_id_wrapperIjLb1EEEEEvT_jjPNSF_10value_typeET0_PNSt15iterator_traitsISI_E10value_typeEmT1_T2_.has_indirect_call, 0
	.section	.AMDGPU.csdata,"",@progbits
; Kernel info:
; codeLenInByte = 792
; TotalNumSgprs: 19
; NumVgprs: 9
; ScratchSize: 0
; MemoryBound: 0
; FloatMode: 240
; IeeeMode: 1
; LDSByteSize: 0 bytes/workgroup (compile time only)
; SGPRBlocks: 0
; VGPRBlocks: 1
; NumSGPRsForWavesPerEU: 19
; NumVGPRsForWavesPerEU: 9
; Occupancy: 16
; WaveLimiterHint : 0
; COMPUTE_PGM_RSRC2:SCRATCH_EN: 0
; COMPUTE_PGM_RSRC2:USER_SGPR: 6
; COMPUTE_PGM_RSRC2:TRAP_HANDLER: 0
; COMPUTE_PGM_RSRC2:TGID_X_EN: 1
; COMPUTE_PGM_RSRC2:TGID_Y_EN: 0
; COMPUTE_PGM_RSRC2:TGID_Z_EN: 0
; COMPUTE_PGM_RSRC2:TIDIG_COMP_CNT: 0
	.section	.text._ZN7rocprim17ROCPRIM_400000_NS6detail17trampoline_kernelINS0_14default_configENS1_27scan_by_key_config_selectorIiiEEZZNS1_16scan_by_key_implILNS1_25lookback_scan_determinismE0ELb0ES3_N6thrust23THRUST_200600_302600_NS16reverse_iteratorIPKiEESD_NSA_IPiEEiN6hipcub16HIPCUB_304000_NS3MaxENSH_8EqualityEiEE10hipError_tPvRmT2_T3_T4_T5_mT6_T7_P12ihipStream_tbENKUlT_T0_E_clISt17integral_constantIbLb1EES10_EEDaSV_SW_EUlSV_E_NS1_11comp_targetILNS1_3genE0ELNS1_11target_archE4294967295ELNS1_3gpuE0ELNS1_3repE0EEENS1_30default_config_static_selectorELNS0_4arch9wavefront6targetE0EEEvT1_,"axG",@progbits,_ZN7rocprim17ROCPRIM_400000_NS6detail17trampoline_kernelINS0_14default_configENS1_27scan_by_key_config_selectorIiiEEZZNS1_16scan_by_key_implILNS1_25lookback_scan_determinismE0ELb0ES3_N6thrust23THRUST_200600_302600_NS16reverse_iteratorIPKiEESD_NSA_IPiEEiN6hipcub16HIPCUB_304000_NS3MaxENSH_8EqualityEiEE10hipError_tPvRmT2_T3_T4_T5_mT6_T7_P12ihipStream_tbENKUlT_T0_E_clISt17integral_constantIbLb1EES10_EEDaSV_SW_EUlSV_E_NS1_11comp_targetILNS1_3genE0ELNS1_11target_archE4294967295ELNS1_3gpuE0ELNS1_3repE0EEENS1_30default_config_static_selectorELNS0_4arch9wavefront6targetE0EEEvT1_,comdat
	.protected	_ZN7rocprim17ROCPRIM_400000_NS6detail17trampoline_kernelINS0_14default_configENS1_27scan_by_key_config_selectorIiiEEZZNS1_16scan_by_key_implILNS1_25lookback_scan_determinismE0ELb0ES3_N6thrust23THRUST_200600_302600_NS16reverse_iteratorIPKiEESD_NSA_IPiEEiN6hipcub16HIPCUB_304000_NS3MaxENSH_8EqualityEiEE10hipError_tPvRmT2_T3_T4_T5_mT6_T7_P12ihipStream_tbENKUlT_T0_E_clISt17integral_constantIbLb1EES10_EEDaSV_SW_EUlSV_E_NS1_11comp_targetILNS1_3genE0ELNS1_11target_archE4294967295ELNS1_3gpuE0ELNS1_3repE0EEENS1_30default_config_static_selectorELNS0_4arch9wavefront6targetE0EEEvT1_ ; -- Begin function _ZN7rocprim17ROCPRIM_400000_NS6detail17trampoline_kernelINS0_14default_configENS1_27scan_by_key_config_selectorIiiEEZZNS1_16scan_by_key_implILNS1_25lookback_scan_determinismE0ELb0ES3_N6thrust23THRUST_200600_302600_NS16reverse_iteratorIPKiEESD_NSA_IPiEEiN6hipcub16HIPCUB_304000_NS3MaxENSH_8EqualityEiEE10hipError_tPvRmT2_T3_T4_T5_mT6_T7_P12ihipStream_tbENKUlT_T0_E_clISt17integral_constantIbLb1EES10_EEDaSV_SW_EUlSV_E_NS1_11comp_targetILNS1_3genE0ELNS1_11target_archE4294967295ELNS1_3gpuE0ELNS1_3repE0EEENS1_30default_config_static_selectorELNS0_4arch9wavefront6targetE0EEEvT1_
	.globl	_ZN7rocprim17ROCPRIM_400000_NS6detail17trampoline_kernelINS0_14default_configENS1_27scan_by_key_config_selectorIiiEEZZNS1_16scan_by_key_implILNS1_25lookback_scan_determinismE0ELb0ES3_N6thrust23THRUST_200600_302600_NS16reverse_iteratorIPKiEESD_NSA_IPiEEiN6hipcub16HIPCUB_304000_NS3MaxENSH_8EqualityEiEE10hipError_tPvRmT2_T3_T4_T5_mT6_T7_P12ihipStream_tbENKUlT_T0_E_clISt17integral_constantIbLb1EES10_EEDaSV_SW_EUlSV_E_NS1_11comp_targetILNS1_3genE0ELNS1_11target_archE4294967295ELNS1_3gpuE0ELNS1_3repE0EEENS1_30default_config_static_selectorELNS0_4arch9wavefront6targetE0EEEvT1_
	.p2align	8
	.type	_ZN7rocprim17ROCPRIM_400000_NS6detail17trampoline_kernelINS0_14default_configENS1_27scan_by_key_config_selectorIiiEEZZNS1_16scan_by_key_implILNS1_25lookback_scan_determinismE0ELb0ES3_N6thrust23THRUST_200600_302600_NS16reverse_iteratorIPKiEESD_NSA_IPiEEiN6hipcub16HIPCUB_304000_NS3MaxENSH_8EqualityEiEE10hipError_tPvRmT2_T3_T4_T5_mT6_T7_P12ihipStream_tbENKUlT_T0_E_clISt17integral_constantIbLb1EES10_EEDaSV_SW_EUlSV_E_NS1_11comp_targetILNS1_3genE0ELNS1_11target_archE4294967295ELNS1_3gpuE0ELNS1_3repE0EEENS1_30default_config_static_selectorELNS0_4arch9wavefront6targetE0EEEvT1_,@function
_ZN7rocprim17ROCPRIM_400000_NS6detail17trampoline_kernelINS0_14default_configENS1_27scan_by_key_config_selectorIiiEEZZNS1_16scan_by_key_implILNS1_25lookback_scan_determinismE0ELb0ES3_N6thrust23THRUST_200600_302600_NS16reverse_iteratorIPKiEESD_NSA_IPiEEiN6hipcub16HIPCUB_304000_NS3MaxENSH_8EqualityEiEE10hipError_tPvRmT2_T3_T4_T5_mT6_T7_P12ihipStream_tbENKUlT_T0_E_clISt17integral_constantIbLb1EES10_EEDaSV_SW_EUlSV_E_NS1_11comp_targetILNS1_3genE0ELNS1_11target_archE4294967295ELNS1_3gpuE0ELNS1_3repE0EEENS1_30default_config_static_selectorELNS0_4arch9wavefront6targetE0EEEvT1_: ; @_ZN7rocprim17ROCPRIM_400000_NS6detail17trampoline_kernelINS0_14default_configENS1_27scan_by_key_config_selectorIiiEEZZNS1_16scan_by_key_implILNS1_25lookback_scan_determinismE0ELb0ES3_N6thrust23THRUST_200600_302600_NS16reverse_iteratorIPKiEESD_NSA_IPiEEiN6hipcub16HIPCUB_304000_NS3MaxENSH_8EqualityEiEE10hipError_tPvRmT2_T3_T4_T5_mT6_T7_P12ihipStream_tbENKUlT_T0_E_clISt17integral_constantIbLb1EES10_EEDaSV_SW_EUlSV_E_NS1_11comp_targetILNS1_3genE0ELNS1_11target_archE4294967295ELNS1_3gpuE0ELNS1_3repE0EEENS1_30default_config_static_selectorELNS0_4arch9wavefront6targetE0EEEvT1_
; %bb.0:
	.section	.rodata,"a",@progbits
	.p2align	6, 0x0
	.amdhsa_kernel _ZN7rocprim17ROCPRIM_400000_NS6detail17trampoline_kernelINS0_14default_configENS1_27scan_by_key_config_selectorIiiEEZZNS1_16scan_by_key_implILNS1_25lookback_scan_determinismE0ELb0ES3_N6thrust23THRUST_200600_302600_NS16reverse_iteratorIPKiEESD_NSA_IPiEEiN6hipcub16HIPCUB_304000_NS3MaxENSH_8EqualityEiEE10hipError_tPvRmT2_T3_T4_T5_mT6_T7_P12ihipStream_tbENKUlT_T0_E_clISt17integral_constantIbLb1EES10_EEDaSV_SW_EUlSV_E_NS1_11comp_targetILNS1_3genE0ELNS1_11target_archE4294967295ELNS1_3gpuE0ELNS1_3repE0EEENS1_30default_config_static_selectorELNS0_4arch9wavefront6targetE0EEEvT1_
		.amdhsa_group_segment_fixed_size 0
		.amdhsa_private_segment_fixed_size 0
		.amdhsa_kernarg_size 112
		.amdhsa_user_sgpr_count 6
		.amdhsa_user_sgpr_private_segment_buffer 1
		.amdhsa_user_sgpr_dispatch_ptr 0
		.amdhsa_user_sgpr_queue_ptr 0
		.amdhsa_user_sgpr_kernarg_segment_ptr 1
		.amdhsa_user_sgpr_dispatch_id 0
		.amdhsa_user_sgpr_flat_scratch_init 0
		.amdhsa_user_sgpr_private_segment_size 0
		.amdhsa_wavefront_size32 1
		.amdhsa_uses_dynamic_stack 0
		.amdhsa_system_sgpr_private_segment_wavefront_offset 0
		.amdhsa_system_sgpr_workgroup_id_x 1
		.amdhsa_system_sgpr_workgroup_id_y 0
		.amdhsa_system_sgpr_workgroup_id_z 0
		.amdhsa_system_sgpr_workgroup_info 0
		.amdhsa_system_vgpr_workitem_id 0
		.amdhsa_next_free_vgpr 1
		.amdhsa_next_free_sgpr 1
		.amdhsa_reserve_vcc 0
		.amdhsa_reserve_flat_scratch 0
		.amdhsa_float_round_mode_32 0
		.amdhsa_float_round_mode_16_64 0
		.amdhsa_float_denorm_mode_32 3
		.amdhsa_float_denorm_mode_16_64 3
		.amdhsa_dx10_clamp 1
		.amdhsa_ieee_mode 1
		.amdhsa_fp16_overflow 0
		.amdhsa_workgroup_processor_mode 1
		.amdhsa_memory_ordered 1
		.amdhsa_forward_progress 1
		.amdhsa_shared_vgpr_count 0
		.amdhsa_exception_fp_ieee_invalid_op 0
		.amdhsa_exception_fp_denorm_src 0
		.amdhsa_exception_fp_ieee_div_zero 0
		.amdhsa_exception_fp_ieee_overflow 0
		.amdhsa_exception_fp_ieee_underflow 0
		.amdhsa_exception_fp_ieee_inexact 0
		.amdhsa_exception_int_div_zero 0
	.end_amdhsa_kernel
	.section	.text._ZN7rocprim17ROCPRIM_400000_NS6detail17trampoline_kernelINS0_14default_configENS1_27scan_by_key_config_selectorIiiEEZZNS1_16scan_by_key_implILNS1_25lookback_scan_determinismE0ELb0ES3_N6thrust23THRUST_200600_302600_NS16reverse_iteratorIPKiEESD_NSA_IPiEEiN6hipcub16HIPCUB_304000_NS3MaxENSH_8EqualityEiEE10hipError_tPvRmT2_T3_T4_T5_mT6_T7_P12ihipStream_tbENKUlT_T0_E_clISt17integral_constantIbLb1EES10_EEDaSV_SW_EUlSV_E_NS1_11comp_targetILNS1_3genE0ELNS1_11target_archE4294967295ELNS1_3gpuE0ELNS1_3repE0EEENS1_30default_config_static_selectorELNS0_4arch9wavefront6targetE0EEEvT1_,"axG",@progbits,_ZN7rocprim17ROCPRIM_400000_NS6detail17trampoline_kernelINS0_14default_configENS1_27scan_by_key_config_selectorIiiEEZZNS1_16scan_by_key_implILNS1_25lookback_scan_determinismE0ELb0ES3_N6thrust23THRUST_200600_302600_NS16reverse_iteratorIPKiEESD_NSA_IPiEEiN6hipcub16HIPCUB_304000_NS3MaxENSH_8EqualityEiEE10hipError_tPvRmT2_T3_T4_T5_mT6_T7_P12ihipStream_tbENKUlT_T0_E_clISt17integral_constantIbLb1EES10_EEDaSV_SW_EUlSV_E_NS1_11comp_targetILNS1_3genE0ELNS1_11target_archE4294967295ELNS1_3gpuE0ELNS1_3repE0EEENS1_30default_config_static_selectorELNS0_4arch9wavefront6targetE0EEEvT1_,comdat
.Lfunc_end63:
	.size	_ZN7rocprim17ROCPRIM_400000_NS6detail17trampoline_kernelINS0_14default_configENS1_27scan_by_key_config_selectorIiiEEZZNS1_16scan_by_key_implILNS1_25lookback_scan_determinismE0ELb0ES3_N6thrust23THRUST_200600_302600_NS16reverse_iteratorIPKiEESD_NSA_IPiEEiN6hipcub16HIPCUB_304000_NS3MaxENSH_8EqualityEiEE10hipError_tPvRmT2_T3_T4_T5_mT6_T7_P12ihipStream_tbENKUlT_T0_E_clISt17integral_constantIbLb1EES10_EEDaSV_SW_EUlSV_E_NS1_11comp_targetILNS1_3genE0ELNS1_11target_archE4294967295ELNS1_3gpuE0ELNS1_3repE0EEENS1_30default_config_static_selectorELNS0_4arch9wavefront6targetE0EEEvT1_, .Lfunc_end63-_ZN7rocprim17ROCPRIM_400000_NS6detail17trampoline_kernelINS0_14default_configENS1_27scan_by_key_config_selectorIiiEEZZNS1_16scan_by_key_implILNS1_25lookback_scan_determinismE0ELb0ES3_N6thrust23THRUST_200600_302600_NS16reverse_iteratorIPKiEESD_NSA_IPiEEiN6hipcub16HIPCUB_304000_NS3MaxENSH_8EqualityEiEE10hipError_tPvRmT2_T3_T4_T5_mT6_T7_P12ihipStream_tbENKUlT_T0_E_clISt17integral_constantIbLb1EES10_EEDaSV_SW_EUlSV_E_NS1_11comp_targetILNS1_3genE0ELNS1_11target_archE4294967295ELNS1_3gpuE0ELNS1_3repE0EEENS1_30default_config_static_selectorELNS0_4arch9wavefront6targetE0EEEvT1_
                                        ; -- End function
	.set _ZN7rocprim17ROCPRIM_400000_NS6detail17trampoline_kernelINS0_14default_configENS1_27scan_by_key_config_selectorIiiEEZZNS1_16scan_by_key_implILNS1_25lookback_scan_determinismE0ELb0ES3_N6thrust23THRUST_200600_302600_NS16reverse_iteratorIPKiEESD_NSA_IPiEEiN6hipcub16HIPCUB_304000_NS3MaxENSH_8EqualityEiEE10hipError_tPvRmT2_T3_T4_T5_mT6_T7_P12ihipStream_tbENKUlT_T0_E_clISt17integral_constantIbLb1EES10_EEDaSV_SW_EUlSV_E_NS1_11comp_targetILNS1_3genE0ELNS1_11target_archE4294967295ELNS1_3gpuE0ELNS1_3repE0EEENS1_30default_config_static_selectorELNS0_4arch9wavefront6targetE0EEEvT1_.num_vgpr, 0
	.set _ZN7rocprim17ROCPRIM_400000_NS6detail17trampoline_kernelINS0_14default_configENS1_27scan_by_key_config_selectorIiiEEZZNS1_16scan_by_key_implILNS1_25lookback_scan_determinismE0ELb0ES3_N6thrust23THRUST_200600_302600_NS16reverse_iteratorIPKiEESD_NSA_IPiEEiN6hipcub16HIPCUB_304000_NS3MaxENSH_8EqualityEiEE10hipError_tPvRmT2_T3_T4_T5_mT6_T7_P12ihipStream_tbENKUlT_T0_E_clISt17integral_constantIbLb1EES10_EEDaSV_SW_EUlSV_E_NS1_11comp_targetILNS1_3genE0ELNS1_11target_archE4294967295ELNS1_3gpuE0ELNS1_3repE0EEENS1_30default_config_static_selectorELNS0_4arch9wavefront6targetE0EEEvT1_.num_agpr, 0
	.set _ZN7rocprim17ROCPRIM_400000_NS6detail17trampoline_kernelINS0_14default_configENS1_27scan_by_key_config_selectorIiiEEZZNS1_16scan_by_key_implILNS1_25lookback_scan_determinismE0ELb0ES3_N6thrust23THRUST_200600_302600_NS16reverse_iteratorIPKiEESD_NSA_IPiEEiN6hipcub16HIPCUB_304000_NS3MaxENSH_8EqualityEiEE10hipError_tPvRmT2_T3_T4_T5_mT6_T7_P12ihipStream_tbENKUlT_T0_E_clISt17integral_constantIbLb1EES10_EEDaSV_SW_EUlSV_E_NS1_11comp_targetILNS1_3genE0ELNS1_11target_archE4294967295ELNS1_3gpuE0ELNS1_3repE0EEENS1_30default_config_static_selectorELNS0_4arch9wavefront6targetE0EEEvT1_.numbered_sgpr, 0
	.set _ZN7rocprim17ROCPRIM_400000_NS6detail17trampoline_kernelINS0_14default_configENS1_27scan_by_key_config_selectorIiiEEZZNS1_16scan_by_key_implILNS1_25lookback_scan_determinismE0ELb0ES3_N6thrust23THRUST_200600_302600_NS16reverse_iteratorIPKiEESD_NSA_IPiEEiN6hipcub16HIPCUB_304000_NS3MaxENSH_8EqualityEiEE10hipError_tPvRmT2_T3_T4_T5_mT6_T7_P12ihipStream_tbENKUlT_T0_E_clISt17integral_constantIbLb1EES10_EEDaSV_SW_EUlSV_E_NS1_11comp_targetILNS1_3genE0ELNS1_11target_archE4294967295ELNS1_3gpuE0ELNS1_3repE0EEENS1_30default_config_static_selectorELNS0_4arch9wavefront6targetE0EEEvT1_.num_named_barrier, 0
	.set _ZN7rocprim17ROCPRIM_400000_NS6detail17trampoline_kernelINS0_14default_configENS1_27scan_by_key_config_selectorIiiEEZZNS1_16scan_by_key_implILNS1_25lookback_scan_determinismE0ELb0ES3_N6thrust23THRUST_200600_302600_NS16reverse_iteratorIPKiEESD_NSA_IPiEEiN6hipcub16HIPCUB_304000_NS3MaxENSH_8EqualityEiEE10hipError_tPvRmT2_T3_T4_T5_mT6_T7_P12ihipStream_tbENKUlT_T0_E_clISt17integral_constantIbLb1EES10_EEDaSV_SW_EUlSV_E_NS1_11comp_targetILNS1_3genE0ELNS1_11target_archE4294967295ELNS1_3gpuE0ELNS1_3repE0EEENS1_30default_config_static_selectorELNS0_4arch9wavefront6targetE0EEEvT1_.private_seg_size, 0
	.set _ZN7rocprim17ROCPRIM_400000_NS6detail17trampoline_kernelINS0_14default_configENS1_27scan_by_key_config_selectorIiiEEZZNS1_16scan_by_key_implILNS1_25lookback_scan_determinismE0ELb0ES3_N6thrust23THRUST_200600_302600_NS16reverse_iteratorIPKiEESD_NSA_IPiEEiN6hipcub16HIPCUB_304000_NS3MaxENSH_8EqualityEiEE10hipError_tPvRmT2_T3_T4_T5_mT6_T7_P12ihipStream_tbENKUlT_T0_E_clISt17integral_constantIbLb1EES10_EEDaSV_SW_EUlSV_E_NS1_11comp_targetILNS1_3genE0ELNS1_11target_archE4294967295ELNS1_3gpuE0ELNS1_3repE0EEENS1_30default_config_static_selectorELNS0_4arch9wavefront6targetE0EEEvT1_.uses_vcc, 0
	.set _ZN7rocprim17ROCPRIM_400000_NS6detail17trampoline_kernelINS0_14default_configENS1_27scan_by_key_config_selectorIiiEEZZNS1_16scan_by_key_implILNS1_25lookback_scan_determinismE0ELb0ES3_N6thrust23THRUST_200600_302600_NS16reverse_iteratorIPKiEESD_NSA_IPiEEiN6hipcub16HIPCUB_304000_NS3MaxENSH_8EqualityEiEE10hipError_tPvRmT2_T3_T4_T5_mT6_T7_P12ihipStream_tbENKUlT_T0_E_clISt17integral_constantIbLb1EES10_EEDaSV_SW_EUlSV_E_NS1_11comp_targetILNS1_3genE0ELNS1_11target_archE4294967295ELNS1_3gpuE0ELNS1_3repE0EEENS1_30default_config_static_selectorELNS0_4arch9wavefront6targetE0EEEvT1_.uses_flat_scratch, 0
	.set _ZN7rocprim17ROCPRIM_400000_NS6detail17trampoline_kernelINS0_14default_configENS1_27scan_by_key_config_selectorIiiEEZZNS1_16scan_by_key_implILNS1_25lookback_scan_determinismE0ELb0ES3_N6thrust23THRUST_200600_302600_NS16reverse_iteratorIPKiEESD_NSA_IPiEEiN6hipcub16HIPCUB_304000_NS3MaxENSH_8EqualityEiEE10hipError_tPvRmT2_T3_T4_T5_mT6_T7_P12ihipStream_tbENKUlT_T0_E_clISt17integral_constantIbLb1EES10_EEDaSV_SW_EUlSV_E_NS1_11comp_targetILNS1_3genE0ELNS1_11target_archE4294967295ELNS1_3gpuE0ELNS1_3repE0EEENS1_30default_config_static_selectorELNS0_4arch9wavefront6targetE0EEEvT1_.has_dyn_sized_stack, 0
	.set _ZN7rocprim17ROCPRIM_400000_NS6detail17trampoline_kernelINS0_14default_configENS1_27scan_by_key_config_selectorIiiEEZZNS1_16scan_by_key_implILNS1_25lookback_scan_determinismE0ELb0ES3_N6thrust23THRUST_200600_302600_NS16reverse_iteratorIPKiEESD_NSA_IPiEEiN6hipcub16HIPCUB_304000_NS3MaxENSH_8EqualityEiEE10hipError_tPvRmT2_T3_T4_T5_mT6_T7_P12ihipStream_tbENKUlT_T0_E_clISt17integral_constantIbLb1EES10_EEDaSV_SW_EUlSV_E_NS1_11comp_targetILNS1_3genE0ELNS1_11target_archE4294967295ELNS1_3gpuE0ELNS1_3repE0EEENS1_30default_config_static_selectorELNS0_4arch9wavefront6targetE0EEEvT1_.has_recursion, 0
	.set _ZN7rocprim17ROCPRIM_400000_NS6detail17trampoline_kernelINS0_14default_configENS1_27scan_by_key_config_selectorIiiEEZZNS1_16scan_by_key_implILNS1_25lookback_scan_determinismE0ELb0ES3_N6thrust23THRUST_200600_302600_NS16reverse_iteratorIPKiEESD_NSA_IPiEEiN6hipcub16HIPCUB_304000_NS3MaxENSH_8EqualityEiEE10hipError_tPvRmT2_T3_T4_T5_mT6_T7_P12ihipStream_tbENKUlT_T0_E_clISt17integral_constantIbLb1EES10_EEDaSV_SW_EUlSV_E_NS1_11comp_targetILNS1_3genE0ELNS1_11target_archE4294967295ELNS1_3gpuE0ELNS1_3repE0EEENS1_30default_config_static_selectorELNS0_4arch9wavefront6targetE0EEEvT1_.has_indirect_call, 0
	.section	.AMDGPU.csdata,"",@progbits
; Kernel info:
; codeLenInByte = 0
; TotalNumSgprs: 0
; NumVgprs: 0
; ScratchSize: 0
; MemoryBound: 0
; FloatMode: 240
; IeeeMode: 1
; LDSByteSize: 0 bytes/workgroup (compile time only)
; SGPRBlocks: 0
; VGPRBlocks: 0
; NumSGPRsForWavesPerEU: 1
; NumVGPRsForWavesPerEU: 1
; Occupancy: 16
; WaveLimiterHint : 0
; COMPUTE_PGM_RSRC2:SCRATCH_EN: 0
; COMPUTE_PGM_RSRC2:USER_SGPR: 6
; COMPUTE_PGM_RSRC2:TRAP_HANDLER: 0
; COMPUTE_PGM_RSRC2:TGID_X_EN: 1
; COMPUTE_PGM_RSRC2:TGID_Y_EN: 0
; COMPUTE_PGM_RSRC2:TGID_Z_EN: 0
; COMPUTE_PGM_RSRC2:TIDIG_COMP_CNT: 0
	.section	.text._ZN7rocprim17ROCPRIM_400000_NS6detail17trampoline_kernelINS0_14default_configENS1_27scan_by_key_config_selectorIiiEEZZNS1_16scan_by_key_implILNS1_25lookback_scan_determinismE0ELb0ES3_N6thrust23THRUST_200600_302600_NS16reverse_iteratorIPKiEESD_NSA_IPiEEiN6hipcub16HIPCUB_304000_NS3MaxENSH_8EqualityEiEE10hipError_tPvRmT2_T3_T4_T5_mT6_T7_P12ihipStream_tbENKUlT_T0_E_clISt17integral_constantIbLb1EES10_EEDaSV_SW_EUlSV_E_NS1_11comp_targetILNS1_3genE10ELNS1_11target_archE1201ELNS1_3gpuE5ELNS1_3repE0EEENS1_30default_config_static_selectorELNS0_4arch9wavefront6targetE0EEEvT1_,"axG",@progbits,_ZN7rocprim17ROCPRIM_400000_NS6detail17trampoline_kernelINS0_14default_configENS1_27scan_by_key_config_selectorIiiEEZZNS1_16scan_by_key_implILNS1_25lookback_scan_determinismE0ELb0ES3_N6thrust23THRUST_200600_302600_NS16reverse_iteratorIPKiEESD_NSA_IPiEEiN6hipcub16HIPCUB_304000_NS3MaxENSH_8EqualityEiEE10hipError_tPvRmT2_T3_T4_T5_mT6_T7_P12ihipStream_tbENKUlT_T0_E_clISt17integral_constantIbLb1EES10_EEDaSV_SW_EUlSV_E_NS1_11comp_targetILNS1_3genE10ELNS1_11target_archE1201ELNS1_3gpuE5ELNS1_3repE0EEENS1_30default_config_static_selectorELNS0_4arch9wavefront6targetE0EEEvT1_,comdat
	.protected	_ZN7rocprim17ROCPRIM_400000_NS6detail17trampoline_kernelINS0_14default_configENS1_27scan_by_key_config_selectorIiiEEZZNS1_16scan_by_key_implILNS1_25lookback_scan_determinismE0ELb0ES3_N6thrust23THRUST_200600_302600_NS16reverse_iteratorIPKiEESD_NSA_IPiEEiN6hipcub16HIPCUB_304000_NS3MaxENSH_8EqualityEiEE10hipError_tPvRmT2_T3_T4_T5_mT6_T7_P12ihipStream_tbENKUlT_T0_E_clISt17integral_constantIbLb1EES10_EEDaSV_SW_EUlSV_E_NS1_11comp_targetILNS1_3genE10ELNS1_11target_archE1201ELNS1_3gpuE5ELNS1_3repE0EEENS1_30default_config_static_selectorELNS0_4arch9wavefront6targetE0EEEvT1_ ; -- Begin function _ZN7rocprim17ROCPRIM_400000_NS6detail17trampoline_kernelINS0_14default_configENS1_27scan_by_key_config_selectorIiiEEZZNS1_16scan_by_key_implILNS1_25lookback_scan_determinismE0ELb0ES3_N6thrust23THRUST_200600_302600_NS16reverse_iteratorIPKiEESD_NSA_IPiEEiN6hipcub16HIPCUB_304000_NS3MaxENSH_8EqualityEiEE10hipError_tPvRmT2_T3_T4_T5_mT6_T7_P12ihipStream_tbENKUlT_T0_E_clISt17integral_constantIbLb1EES10_EEDaSV_SW_EUlSV_E_NS1_11comp_targetILNS1_3genE10ELNS1_11target_archE1201ELNS1_3gpuE5ELNS1_3repE0EEENS1_30default_config_static_selectorELNS0_4arch9wavefront6targetE0EEEvT1_
	.globl	_ZN7rocprim17ROCPRIM_400000_NS6detail17trampoline_kernelINS0_14default_configENS1_27scan_by_key_config_selectorIiiEEZZNS1_16scan_by_key_implILNS1_25lookback_scan_determinismE0ELb0ES3_N6thrust23THRUST_200600_302600_NS16reverse_iteratorIPKiEESD_NSA_IPiEEiN6hipcub16HIPCUB_304000_NS3MaxENSH_8EqualityEiEE10hipError_tPvRmT2_T3_T4_T5_mT6_T7_P12ihipStream_tbENKUlT_T0_E_clISt17integral_constantIbLb1EES10_EEDaSV_SW_EUlSV_E_NS1_11comp_targetILNS1_3genE10ELNS1_11target_archE1201ELNS1_3gpuE5ELNS1_3repE0EEENS1_30default_config_static_selectorELNS0_4arch9wavefront6targetE0EEEvT1_
	.p2align	8
	.type	_ZN7rocprim17ROCPRIM_400000_NS6detail17trampoline_kernelINS0_14default_configENS1_27scan_by_key_config_selectorIiiEEZZNS1_16scan_by_key_implILNS1_25lookback_scan_determinismE0ELb0ES3_N6thrust23THRUST_200600_302600_NS16reverse_iteratorIPKiEESD_NSA_IPiEEiN6hipcub16HIPCUB_304000_NS3MaxENSH_8EqualityEiEE10hipError_tPvRmT2_T3_T4_T5_mT6_T7_P12ihipStream_tbENKUlT_T0_E_clISt17integral_constantIbLb1EES10_EEDaSV_SW_EUlSV_E_NS1_11comp_targetILNS1_3genE10ELNS1_11target_archE1201ELNS1_3gpuE5ELNS1_3repE0EEENS1_30default_config_static_selectorELNS0_4arch9wavefront6targetE0EEEvT1_,@function
_ZN7rocprim17ROCPRIM_400000_NS6detail17trampoline_kernelINS0_14default_configENS1_27scan_by_key_config_selectorIiiEEZZNS1_16scan_by_key_implILNS1_25lookback_scan_determinismE0ELb0ES3_N6thrust23THRUST_200600_302600_NS16reverse_iteratorIPKiEESD_NSA_IPiEEiN6hipcub16HIPCUB_304000_NS3MaxENSH_8EqualityEiEE10hipError_tPvRmT2_T3_T4_T5_mT6_T7_P12ihipStream_tbENKUlT_T0_E_clISt17integral_constantIbLb1EES10_EEDaSV_SW_EUlSV_E_NS1_11comp_targetILNS1_3genE10ELNS1_11target_archE1201ELNS1_3gpuE5ELNS1_3repE0EEENS1_30default_config_static_selectorELNS0_4arch9wavefront6targetE0EEEvT1_: ; @_ZN7rocprim17ROCPRIM_400000_NS6detail17trampoline_kernelINS0_14default_configENS1_27scan_by_key_config_selectorIiiEEZZNS1_16scan_by_key_implILNS1_25lookback_scan_determinismE0ELb0ES3_N6thrust23THRUST_200600_302600_NS16reverse_iteratorIPKiEESD_NSA_IPiEEiN6hipcub16HIPCUB_304000_NS3MaxENSH_8EqualityEiEE10hipError_tPvRmT2_T3_T4_T5_mT6_T7_P12ihipStream_tbENKUlT_T0_E_clISt17integral_constantIbLb1EES10_EEDaSV_SW_EUlSV_E_NS1_11comp_targetILNS1_3genE10ELNS1_11target_archE1201ELNS1_3gpuE5ELNS1_3repE0EEENS1_30default_config_static_selectorELNS0_4arch9wavefront6targetE0EEEvT1_
; %bb.0:
	.section	.rodata,"a",@progbits
	.p2align	6, 0x0
	.amdhsa_kernel _ZN7rocprim17ROCPRIM_400000_NS6detail17trampoline_kernelINS0_14default_configENS1_27scan_by_key_config_selectorIiiEEZZNS1_16scan_by_key_implILNS1_25lookback_scan_determinismE0ELb0ES3_N6thrust23THRUST_200600_302600_NS16reverse_iteratorIPKiEESD_NSA_IPiEEiN6hipcub16HIPCUB_304000_NS3MaxENSH_8EqualityEiEE10hipError_tPvRmT2_T3_T4_T5_mT6_T7_P12ihipStream_tbENKUlT_T0_E_clISt17integral_constantIbLb1EES10_EEDaSV_SW_EUlSV_E_NS1_11comp_targetILNS1_3genE10ELNS1_11target_archE1201ELNS1_3gpuE5ELNS1_3repE0EEENS1_30default_config_static_selectorELNS0_4arch9wavefront6targetE0EEEvT1_
		.amdhsa_group_segment_fixed_size 0
		.amdhsa_private_segment_fixed_size 0
		.amdhsa_kernarg_size 112
		.amdhsa_user_sgpr_count 6
		.amdhsa_user_sgpr_private_segment_buffer 1
		.amdhsa_user_sgpr_dispatch_ptr 0
		.amdhsa_user_sgpr_queue_ptr 0
		.amdhsa_user_sgpr_kernarg_segment_ptr 1
		.amdhsa_user_sgpr_dispatch_id 0
		.amdhsa_user_sgpr_flat_scratch_init 0
		.amdhsa_user_sgpr_private_segment_size 0
		.amdhsa_wavefront_size32 1
		.amdhsa_uses_dynamic_stack 0
		.amdhsa_system_sgpr_private_segment_wavefront_offset 0
		.amdhsa_system_sgpr_workgroup_id_x 1
		.amdhsa_system_sgpr_workgroup_id_y 0
		.amdhsa_system_sgpr_workgroup_id_z 0
		.amdhsa_system_sgpr_workgroup_info 0
		.amdhsa_system_vgpr_workitem_id 0
		.amdhsa_next_free_vgpr 1
		.amdhsa_next_free_sgpr 1
		.amdhsa_reserve_vcc 0
		.amdhsa_reserve_flat_scratch 0
		.amdhsa_float_round_mode_32 0
		.amdhsa_float_round_mode_16_64 0
		.amdhsa_float_denorm_mode_32 3
		.amdhsa_float_denorm_mode_16_64 3
		.amdhsa_dx10_clamp 1
		.amdhsa_ieee_mode 1
		.amdhsa_fp16_overflow 0
		.amdhsa_workgroup_processor_mode 1
		.amdhsa_memory_ordered 1
		.amdhsa_forward_progress 1
		.amdhsa_shared_vgpr_count 0
		.amdhsa_exception_fp_ieee_invalid_op 0
		.amdhsa_exception_fp_denorm_src 0
		.amdhsa_exception_fp_ieee_div_zero 0
		.amdhsa_exception_fp_ieee_overflow 0
		.amdhsa_exception_fp_ieee_underflow 0
		.amdhsa_exception_fp_ieee_inexact 0
		.amdhsa_exception_int_div_zero 0
	.end_amdhsa_kernel
	.section	.text._ZN7rocprim17ROCPRIM_400000_NS6detail17trampoline_kernelINS0_14default_configENS1_27scan_by_key_config_selectorIiiEEZZNS1_16scan_by_key_implILNS1_25lookback_scan_determinismE0ELb0ES3_N6thrust23THRUST_200600_302600_NS16reverse_iteratorIPKiEESD_NSA_IPiEEiN6hipcub16HIPCUB_304000_NS3MaxENSH_8EqualityEiEE10hipError_tPvRmT2_T3_T4_T5_mT6_T7_P12ihipStream_tbENKUlT_T0_E_clISt17integral_constantIbLb1EES10_EEDaSV_SW_EUlSV_E_NS1_11comp_targetILNS1_3genE10ELNS1_11target_archE1201ELNS1_3gpuE5ELNS1_3repE0EEENS1_30default_config_static_selectorELNS0_4arch9wavefront6targetE0EEEvT1_,"axG",@progbits,_ZN7rocprim17ROCPRIM_400000_NS6detail17trampoline_kernelINS0_14default_configENS1_27scan_by_key_config_selectorIiiEEZZNS1_16scan_by_key_implILNS1_25lookback_scan_determinismE0ELb0ES3_N6thrust23THRUST_200600_302600_NS16reverse_iteratorIPKiEESD_NSA_IPiEEiN6hipcub16HIPCUB_304000_NS3MaxENSH_8EqualityEiEE10hipError_tPvRmT2_T3_T4_T5_mT6_T7_P12ihipStream_tbENKUlT_T0_E_clISt17integral_constantIbLb1EES10_EEDaSV_SW_EUlSV_E_NS1_11comp_targetILNS1_3genE10ELNS1_11target_archE1201ELNS1_3gpuE5ELNS1_3repE0EEENS1_30default_config_static_selectorELNS0_4arch9wavefront6targetE0EEEvT1_,comdat
.Lfunc_end64:
	.size	_ZN7rocprim17ROCPRIM_400000_NS6detail17trampoline_kernelINS0_14default_configENS1_27scan_by_key_config_selectorIiiEEZZNS1_16scan_by_key_implILNS1_25lookback_scan_determinismE0ELb0ES3_N6thrust23THRUST_200600_302600_NS16reverse_iteratorIPKiEESD_NSA_IPiEEiN6hipcub16HIPCUB_304000_NS3MaxENSH_8EqualityEiEE10hipError_tPvRmT2_T3_T4_T5_mT6_T7_P12ihipStream_tbENKUlT_T0_E_clISt17integral_constantIbLb1EES10_EEDaSV_SW_EUlSV_E_NS1_11comp_targetILNS1_3genE10ELNS1_11target_archE1201ELNS1_3gpuE5ELNS1_3repE0EEENS1_30default_config_static_selectorELNS0_4arch9wavefront6targetE0EEEvT1_, .Lfunc_end64-_ZN7rocprim17ROCPRIM_400000_NS6detail17trampoline_kernelINS0_14default_configENS1_27scan_by_key_config_selectorIiiEEZZNS1_16scan_by_key_implILNS1_25lookback_scan_determinismE0ELb0ES3_N6thrust23THRUST_200600_302600_NS16reverse_iteratorIPKiEESD_NSA_IPiEEiN6hipcub16HIPCUB_304000_NS3MaxENSH_8EqualityEiEE10hipError_tPvRmT2_T3_T4_T5_mT6_T7_P12ihipStream_tbENKUlT_T0_E_clISt17integral_constantIbLb1EES10_EEDaSV_SW_EUlSV_E_NS1_11comp_targetILNS1_3genE10ELNS1_11target_archE1201ELNS1_3gpuE5ELNS1_3repE0EEENS1_30default_config_static_selectorELNS0_4arch9wavefront6targetE0EEEvT1_
                                        ; -- End function
	.set _ZN7rocprim17ROCPRIM_400000_NS6detail17trampoline_kernelINS0_14default_configENS1_27scan_by_key_config_selectorIiiEEZZNS1_16scan_by_key_implILNS1_25lookback_scan_determinismE0ELb0ES3_N6thrust23THRUST_200600_302600_NS16reverse_iteratorIPKiEESD_NSA_IPiEEiN6hipcub16HIPCUB_304000_NS3MaxENSH_8EqualityEiEE10hipError_tPvRmT2_T3_T4_T5_mT6_T7_P12ihipStream_tbENKUlT_T0_E_clISt17integral_constantIbLb1EES10_EEDaSV_SW_EUlSV_E_NS1_11comp_targetILNS1_3genE10ELNS1_11target_archE1201ELNS1_3gpuE5ELNS1_3repE0EEENS1_30default_config_static_selectorELNS0_4arch9wavefront6targetE0EEEvT1_.num_vgpr, 0
	.set _ZN7rocprim17ROCPRIM_400000_NS6detail17trampoline_kernelINS0_14default_configENS1_27scan_by_key_config_selectorIiiEEZZNS1_16scan_by_key_implILNS1_25lookback_scan_determinismE0ELb0ES3_N6thrust23THRUST_200600_302600_NS16reverse_iteratorIPKiEESD_NSA_IPiEEiN6hipcub16HIPCUB_304000_NS3MaxENSH_8EqualityEiEE10hipError_tPvRmT2_T3_T4_T5_mT6_T7_P12ihipStream_tbENKUlT_T0_E_clISt17integral_constantIbLb1EES10_EEDaSV_SW_EUlSV_E_NS1_11comp_targetILNS1_3genE10ELNS1_11target_archE1201ELNS1_3gpuE5ELNS1_3repE0EEENS1_30default_config_static_selectorELNS0_4arch9wavefront6targetE0EEEvT1_.num_agpr, 0
	.set _ZN7rocprim17ROCPRIM_400000_NS6detail17trampoline_kernelINS0_14default_configENS1_27scan_by_key_config_selectorIiiEEZZNS1_16scan_by_key_implILNS1_25lookback_scan_determinismE0ELb0ES3_N6thrust23THRUST_200600_302600_NS16reverse_iteratorIPKiEESD_NSA_IPiEEiN6hipcub16HIPCUB_304000_NS3MaxENSH_8EqualityEiEE10hipError_tPvRmT2_T3_T4_T5_mT6_T7_P12ihipStream_tbENKUlT_T0_E_clISt17integral_constantIbLb1EES10_EEDaSV_SW_EUlSV_E_NS1_11comp_targetILNS1_3genE10ELNS1_11target_archE1201ELNS1_3gpuE5ELNS1_3repE0EEENS1_30default_config_static_selectorELNS0_4arch9wavefront6targetE0EEEvT1_.numbered_sgpr, 0
	.set _ZN7rocprim17ROCPRIM_400000_NS6detail17trampoline_kernelINS0_14default_configENS1_27scan_by_key_config_selectorIiiEEZZNS1_16scan_by_key_implILNS1_25lookback_scan_determinismE0ELb0ES3_N6thrust23THRUST_200600_302600_NS16reverse_iteratorIPKiEESD_NSA_IPiEEiN6hipcub16HIPCUB_304000_NS3MaxENSH_8EqualityEiEE10hipError_tPvRmT2_T3_T4_T5_mT6_T7_P12ihipStream_tbENKUlT_T0_E_clISt17integral_constantIbLb1EES10_EEDaSV_SW_EUlSV_E_NS1_11comp_targetILNS1_3genE10ELNS1_11target_archE1201ELNS1_3gpuE5ELNS1_3repE0EEENS1_30default_config_static_selectorELNS0_4arch9wavefront6targetE0EEEvT1_.num_named_barrier, 0
	.set _ZN7rocprim17ROCPRIM_400000_NS6detail17trampoline_kernelINS0_14default_configENS1_27scan_by_key_config_selectorIiiEEZZNS1_16scan_by_key_implILNS1_25lookback_scan_determinismE0ELb0ES3_N6thrust23THRUST_200600_302600_NS16reverse_iteratorIPKiEESD_NSA_IPiEEiN6hipcub16HIPCUB_304000_NS3MaxENSH_8EqualityEiEE10hipError_tPvRmT2_T3_T4_T5_mT6_T7_P12ihipStream_tbENKUlT_T0_E_clISt17integral_constantIbLb1EES10_EEDaSV_SW_EUlSV_E_NS1_11comp_targetILNS1_3genE10ELNS1_11target_archE1201ELNS1_3gpuE5ELNS1_3repE0EEENS1_30default_config_static_selectorELNS0_4arch9wavefront6targetE0EEEvT1_.private_seg_size, 0
	.set _ZN7rocprim17ROCPRIM_400000_NS6detail17trampoline_kernelINS0_14default_configENS1_27scan_by_key_config_selectorIiiEEZZNS1_16scan_by_key_implILNS1_25lookback_scan_determinismE0ELb0ES3_N6thrust23THRUST_200600_302600_NS16reverse_iteratorIPKiEESD_NSA_IPiEEiN6hipcub16HIPCUB_304000_NS3MaxENSH_8EqualityEiEE10hipError_tPvRmT2_T3_T4_T5_mT6_T7_P12ihipStream_tbENKUlT_T0_E_clISt17integral_constantIbLb1EES10_EEDaSV_SW_EUlSV_E_NS1_11comp_targetILNS1_3genE10ELNS1_11target_archE1201ELNS1_3gpuE5ELNS1_3repE0EEENS1_30default_config_static_selectorELNS0_4arch9wavefront6targetE0EEEvT1_.uses_vcc, 0
	.set _ZN7rocprim17ROCPRIM_400000_NS6detail17trampoline_kernelINS0_14default_configENS1_27scan_by_key_config_selectorIiiEEZZNS1_16scan_by_key_implILNS1_25lookback_scan_determinismE0ELb0ES3_N6thrust23THRUST_200600_302600_NS16reverse_iteratorIPKiEESD_NSA_IPiEEiN6hipcub16HIPCUB_304000_NS3MaxENSH_8EqualityEiEE10hipError_tPvRmT2_T3_T4_T5_mT6_T7_P12ihipStream_tbENKUlT_T0_E_clISt17integral_constantIbLb1EES10_EEDaSV_SW_EUlSV_E_NS1_11comp_targetILNS1_3genE10ELNS1_11target_archE1201ELNS1_3gpuE5ELNS1_3repE0EEENS1_30default_config_static_selectorELNS0_4arch9wavefront6targetE0EEEvT1_.uses_flat_scratch, 0
	.set _ZN7rocprim17ROCPRIM_400000_NS6detail17trampoline_kernelINS0_14default_configENS1_27scan_by_key_config_selectorIiiEEZZNS1_16scan_by_key_implILNS1_25lookback_scan_determinismE0ELb0ES3_N6thrust23THRUST_200600_302600_NS16reverse_iteratorIPKiEESD_NSA_IPiEEiN6hipcub16HIPCUB_304000_NS3MaxENSH_8EqualityEiEE10hipError_tPvRmT2_T3_T4_T5_mT6_T7_P12ihipStream_tbENKUlT_T0_E_clISt17integral_constantIbLb1EES10_EEDaSV_SW_EUlSV_E_NS1_11comp_targetILNS1_3genE10ELNS1_11target_archE1201ELNS1_3gpuE5ELNS1_3repE0EEENS1_30default_config_static_selectorELNS0_4arch9wavefront6targetE0EEEvT1_.has_dyn_sized_stack, 0
	.set _ZN7rocprim17ROCPRIM_400000_NS6detail17trampoline_kernelINS0_14default_configENS1_27scan_by_key_config_selectorIiiEEZZNS1_16scan_by_key_implILNS1_25lookback_scan_determinismE0ELb0ES3_N6thrust23THRUST_200600_302600_NS16reverse_iteratorIPKiEESD_NSA_IPiEEiN6hipcub16HIPCUB_304000_NS3MaxENSH_8EqualityEiEE10hipError_tPvRmT2_T3_T4_T5_mT6_T7_P12ihipStream_tbENKUlT_T0_E_clISt17integral_constantIbLb1EES10_EEDaSV_SW_EUlSV_E_NS1_11comp_targetILNS1_3genE10ELNS1_11target_archE1201ELNS1_3gpuE5ELNS1_3repE0EEENS1_30default_config_static_selectorELNS0_4arch9wavefront6targetE0EEEvT1_.has_recursion, 0
	.set _ZN7rocprim17ROCPRIM_400000_NS6detail17trampoline_kernelINS0_14default_configENS1_27scan_by_key_config_selectorIiiEEZZNS1_16scan_by_key_implILNS1_25lookback_scan_determinismE0ELb0ES3_N6thrust23THRUST_200600_302600_NS16reverse_iteratorIPKiEESD_NSA_IPiEEiN6hipcub16HIPCUB_304000_NS3MaxENSH_8EqualityEiEE10hipError_tPvRmT2_T3_T4_T5_mT6_T7_P12ihipStream_tbENKUlT_T0_E_clISt17integral_constantIbLb1EES10_EEDaSV_SW_EUlSV_E_NS1_11comp_targetILNS1_3genE10ELNS1_11target_archE1201ELNS1_3gpuE5ELNS1_3repE0EEENS1_30default_config_static_selectorELNS0_4arch9wavefront6targetE0EEEvT1_.has_indirect_call, 0
	.section	.AMDGPU.csdata,"",@progbits
; Kernel info:
; codeLenInByte = 0
; TotalNumSgprs: 0
; NumVgprs: 0
; ScratchSize: 0
; MemoryBound: 0
; FloatMode: 240
; IeeeMode: 1
; LDSByteSize: 0 bytes/workgroup (compile time only)
; SGPRBlocks: 0
; VGPRBlocks: 0
; NumSGPRsForWavesPerEU: 1
; NumVGPRsForWavesPerEU: 1
; Occupancy: 16
; WaveLimiterHint : 0
; COMPUTE_PGM_RSRC2:SCRATCH_EN: 0
; COMPUTE_PGM_RSRC2:USER_SGPR: 6
; COMPUTE_PGM_RSRC2:TRAP_HANDLER: 0
; COMPUTE_PGM_RSRC2:TGID_X_EN: 1
; COMPUTE_PGM_RSRC2:TGID_Y_EN: 0
; COMPUTE_PGM_RSRC2:TGID_Z_EN: 0
; COMPUTE_PGM_RSRC2:TIDIG_COMP_CNT: 0
	.section	.text._ZN7rocprim17ROCPRIM_400000_NS6detail17trampoline_kernelINS0_14default_configENS1_27scan_by_key_config_selectorIiiEEZZNS1_16scan_by_key_implILNS1_25lookback_scan_determinismE0ELb0ES3_N6thrust23THRUST_200600_302600_NS16reverse_iteratorIPKiEESD_NSA_IPiEEiN6hipcub16HIPCUB_304000_NS3MaxENSH_8EqualityEiEE10hipError_tPvRmT2_T3_T4_T5_mT6_T7_P12ihipStream_tbENKUlT_T0_E_clISt17integral_constantIbLb1EES10_EEDaSV_SW_EUlSV_E_NS1_11comp_targetILNS1_3genE5ELNS1_11target_archE942ELNS1_3gpuE9ELNS1_3repE0EEENS1_30default_config_static_selectorELNS0_4arch9wavefront6targetE0EEEvT1_,"axG",@progbits,_ZN7rocprim17ROCPRIM_400000_NS6detail17trampoline_kernelINS0_14default_configENS1_27scan_by_key_config_selectorIiiEEZZNS1_16scan_by_key_implILNS1_25lookback_scan_determinismE0ELb0ES3_N6thrust23THRUST_200600_302600_NS16reverse_iteratorIPKiEESD_NSA_IPiEEiN6hipcub16HIPCUB_304000_NS3MaxENSH_8EqualityEiEE10hipError_tPvRmT2_T3_T4_T5_mT6_T7_P12ihipStream_tbENKUlT_T0_E_clISt17integral_constantIbLb1EES10_EEDaSV_SW_EUlSV_E_NS1_11comp_targetILNS1_3genE5ELNS1_11target_archE942ELNS1_3gpuE9ELNS1_3repE0EEENS1_30default_config_static_selectorELNS0_4arch9wavefront6targetE0EEEvT1_,comdat
	.protected	_ZN7rocprim17ROCPRIM_400000_NS6detail17trampoline_kernelINS0_14default_configENS1_27scan_by_key_config_selectorIiiEEZZNS1_16scan_by_key_implILNS1_25lookback_scan_determinismE0ELb0ES3_N6thrust23THRUST_200600_302600_NS16reverse_iteratorIPKiEESD_NSA_IPiEEiN6hipcub16HIPCUB_304000_NS3MaxENSH_8EqualityEiEE10hipError_tPvRmT2_T3_T4_T5_mT6_T7_P12ihipStream_tbENKUlT_T0_E_clISt17integral_constantIbLb1EES10_EEDaSV_SW_EUlSV_E_NS1_11comp_targetILNS1_3genE5ELNS1_11target_archE942ELNS1_3gpuE9ELNS1_3repE0EEENS1_30default_config_static_selectorELNS0_4arch9wavefront6targetE0EEEvT1_ ; -- Begin function _ZN7rocprim17ROCPRIM_400000_NS6detail17trampoline_kernelINS0_14default_configENS1_27scan_by_key_config_selectorIiiEEZZNS1_16scan_by_key_implILNS1_25lookback_scan_determinismE0ELb0ES3_N6thrust23THRUST_200600_302600_NS16reverse_iteratorIPKiEESD_NSA_IPiEEiN6hipcub16HIPCUB_304000_NS3MaxENSH_8EqualityEiEE10hipError_tPvRmT2_T3_T4_T5_mT6_T7_P12ihipStream_tbENKUlT_T0_E_clISt17integral_constantIbLb1EES10_EEDaSV_SW_EUlSV_E_NS1_11comp_targetILNS1_3genE5ELNS1_11target_archE942ELNS1_3gpuE9ELNS1_3repE0EEENS1_30default_config_static_selectorELNS0_4arch9wavefront6targetE0EEEvT1_
	.globl	_ZN7rocprim17ROCPRIM_400000_NS6detail17trampoline_kernelINS0_14default_configENS1_27scan_by_key_config_selectorIiiEEZZNS1_16scan_by_key_implILNS1_25lookback_scan_determinismE0ELb0ES3_N6thrust23THRUST_200600_302600_NS16reverse_iteratorIPKiEESD_NSA_IPiEEiN6hipcub16HIPCUB_304000_NS3MaxENSH_8EqualityEiEE10hipError_tPvRmT2_T3_T4_T5_mT6_T7_P12ihipStream_tbENKUlT_T0_E_clISt17integral_constantIbLb1EES10_EEDaSV_SW_EUlSV_E_NS1_11comp_targetILNS1_3genE5ELNS1_11target_archE942ELNS1_3gpuE9ELNS1_3repE0EEENS1_30default_config_static_selectorELNS0_4arch9wavefront6targetE0EEEvT1_
	.p2align	8
	.type	_ZN7rocprim17ROCPRIM_400000_NS6detail17trampoline_kernelINS0_14default_configENS1_27scan_by_key_config_selectorIiiEEZZNS1_16scan_by_key_implILNS1_25lookback_scan_determinismE0ELb0ES3_N6thrust23THRUST_200600_302600_NS16reverse_iteratorIPKiEESD_NSA_IPiEEiN6hipcub16HIPCUB_304000_NS3MaxENSH_8EqualityEiEE10hipError_tPvRmT2_T3_T4_T5_mT6_T7_P12ihipStream_tbENKUlT_T0_E_clISt17integral_constantIbLb1EES10_EEDaSV_SW_EUlSV_E_NS1_11comp_targetILNS1_3genE5ELNS1_11target_archE942ELNS1_3gpuE9ELNS1_3repE0EEENS1_30default_config_static_selectorELNS0_4arch9wavefront6targetE0EEEvT1_,@function
_ZN7rocprim17ROCPRIM_400000_NS6detail17trampoline_kernelINS0_14default_configENS1_27scan_by_key_config_selectorIiiEEZZNS1_16scan_by_key_implILNS1_25lookback_scan_determinismE0ELb0ES3_N6thrust23THRUST_200600_302600_NS16reverse_iteratorIPKiEESD_NSA_IPiEEiN6hipcub16HIPCUB_304000_NS3MaxENSH_8EqualityEiEE10hipError_tPvRmT2_T3_T4_T5_mT6_T7_P12ihipStream_tbENKUlT_T0_E_clISt17integral_constantIbLb1EES10_EEDaSV_SW_EUlSV_E_NS1_11comp_targetILNS1_3genE5ELNS1_11target_archE942ELNS1_3gpuE9ELNS1_3repE0EEENS1_30default_config_static_selectorELNS0_4arch9wavefront6targetE0EEEvT1_: ; @_ZN7rocprim17ROCPRIM_400000_NS6detail17trampoline_kernelINS0_14default_configENS1_27scan_by_key_config_selectorIiiEEZZNS1_16scan_by_key_implILNS1_25lookback_scan_determinismE0ELb0ES3_N6thrust23THRUST_200600_302600_NS16reverse_iteratorIPKiEESD_NSA_IPiEEiN6hipcub16HIPCUB_304000_NS3MaxENSH_8EqualityEiEE10hipError_tPvRmT2_T3_T4_T5_mT6_T7_P12ihipStream_tbENKUlT_T0_E_clISt17integral_constantIbLb1EES10_EEDaSV_SW_EUlSV_E_NS1_11comp_targetILNS1_3genE5ELNS1_11target_archE942ELNS1_3gpuE9ELNS1_3repE0EEENS1_30default_config_static_selectorELNS0_4arch9wavefront6targetE0EEEvT1_
; %bb.0:
	.section	.rodata,"a",@progbits
	.p2align	6, 0x0
	.amdhsa_kernel _ZN7rocprim17ROCPRIM_400000_NS6detail17trampoline_kernelINS0_14default_configENS1_27scan_by_key_config_selectorIiiEEZZNS1_16scan_by_key_implILNS1_25lookback_scan_determinismE0ELb0ES3_N6thrust23THRUST_200600_302600_NS16reverse_iteratorIPKiEESD_NSA_IPiEEiN6hipcub16HIPCUB_304000_NS3MaxENSH_8EqualityEiEE10hipError_tPvRmT2_T3_T4_T5_mT6_T7_P12ihipStream_tbENKUlT_T0_E_clISt17integral_constantIbLb1EES10_EEDaSV_SW_EUlSV_E_NS1_11comp_targetILNS1_3genE5ELNS1_11target_archE942ELNS1_3gpuE9ELNS1_3repE0EEENS1_30default_config_static_selectorELNS0_4arch9wavefront6targetE0EEEvT1_
		.amdhsa_group_segment_fixed_size 0
		.amdhsa_private_segment_fixed_size 0
		.amdhsa_kernarg_size 112
		.amdhsa_user_sgpr_count 6
		.amdhsa_user_sgpr_private_segment_buffer 1
		.amdhsa_user_sgpr_dispatch_ptr 0
		.amdhsa_user_sgpr_queue_ptr 0
		.amdhsa_user_sgpr_kernarg_segment_ptr 1
		.amdhsa_user_sgpr_dispatch_id 0
		.amdhsa_user_sgpr_flat_scratch_init 0
		.amdhsa_user_sgpr_private_segment_size 0
		.amdhsa_wavefront_size32 1
		.amdhsa_uses_dynamic_stack 0
		.amdhsa_system_sgpr_private_segment_wavefront_offset 0
		.amdhsa_system_sgpr_workgroup_id_x 1
		.amdhsa_system_sgpr_workgroup_id_y 0
		.amdhsa_system_sgpr_workgroup_id_z 0
		.amdhsa_system_sgpr_workgroup_info 0
		.amdhsa_system_vgpr_workitem_id 0
		.amdhsa_next_free_vgpr 1
		.amdhsa_next_free_sgpr 1
		.amdhsa_reserve_vcc 0
		.amdhsa_reserve_flat_scratch 0
		.amdhsa_float_round_mode_32 0
		.amdhsa_float_round_mode_16_64 0
		.amdhsa_float_denorm_mode_32 3
		.amdhsa_float_denorm_mode_16_64 3
		.amdhsa_dx10_clamp 1
		.amdhsa_ieee_mode 1
		.amdhsa_fp16_overflow 0
		.amdhsa_workgroup_processor_mode 1
		.amdhsa_memory_ordered 1
		.amdhsa_forward_progress 1
		.amdhsa_shared_vgpr_count 0
		.amdhsa_exception_fp_ieee_invalid_op 0
		.amdhsa_exception_fp_denorm_src 0
		.amdhsa_exception_fp_ieee_div_zero 0
		.amdhsa_exception_fp_ieee_overflow 0
		.amdhsa_exception_fp_ieee_underflow 0
		.amdhsa_exception_fp_ieee_inexact 0
		.amdhsa_exception_int_div_zero 0
	.end_amdhsa_kernel
	.section	.text._ZN7rocprim17ROCPRIM_400000_NS6detail17trampoline_kernelINS0_14default_configENS1_27scan_by_key_config_selectorIiiEEZZNS1_16scan_by_key_implILNS1_25lookback_scan_determinismE0ELb0ES3_N6thrust23THRUST_200600_302600_NS16reverse_iteratorIPKiEESD_NSA_IPiEEiN6hipcub16HIPCUB_304000_NS3MaxENSH_8EqualityEiEE10hipError_tPvRmT2_T3_T4_T5_mT6_T7_P12ihipStream_tbENKUlT_T0_E_clISt17integral_constantIbLb1EES10_EEDaSV_SW_EUlSV_E_NS1_11comp_targetILNS1_3genE5ELNS1_11target_archE942ELNS1_3gpuE9ELNS1_3repE0EEENS1_30default_config_static_selectorELNS0_4arch9wavefront6targetE0EEEvT1_,"axG",@progbits,_ZN7rocprim17ROCPRIM_400000_NS6detail17trampoline_kernelINS0_14default_configENS1_27scan_by_key_config_selectorIiiEEZZNS1_16scan_by_key_implILNS1_25lookback_scan_determinismE0ELb0ES3_N6thrust23THRUST_200600_302600_NS16reverse_iteratorIPKiEESD_NSA_IPiEEiN6hipcub16HIPCUB_304000_NS3MaxENSH_8EqualityEiEE10hipError_tPvRmT2_T3_T4_T5_mT6_T7_P12ihipStream_tbENKUlT_T0_E_clISt17integral_constantIbLb1EES10_EEDaSV_SW_EUlSV_E_NS1_11comp_targetILNS1_3genE5ELNS1_11target_archE942ELNS1_3gpuE9ELNS1_3repE0EEENS1_30default_config_static_selectorELNS0_4arch9wavefront6targetE0EEEvT1_,comdat
.Lfunc_end65:
	.size	_ZN7rocprim17ROCPRIM_400000_NS6detail17trampoline_kernelINS0_14default_configENS1_27scan_by_key_config_selectorIiiEEZZNS1_16scan_by_key_implILNS1_25lookback_scan_determinismE0ELb0ES3_N6thrust23THRUST_200600_302600_NS16reverse_iteratorIPKiEESD_NSA_IPiEEiN6hipcub16HIPCUB_304000_NS3MaxENSH_8EqualityEiEE10hipError_tPvRmT2_T3_T4_T5_mT6_T7_P12ihipStream_tbENKUlT_T0_E_clISt17integral_constantIbLb1EES10_EEDaSV_SW_EUlSV_E_NS1_11comp_targetILNS1_3genE5ELNS1_11target_archE942ELNS1_3gpuE9ELNS1_3repE0EEENS1_30default_config_static_selectorELNS0_4arch9wavefront6targetE0EEEvT1_, .Lfunc_end65-_ZN7rocprim17ROCPRIM_400000_NS6detail17trampoline_kernelINS0_14default_configENS1_27scan_by_key_config_selectorIiiEEZZNS1_16scan_by_key_implILNS1_25lookback_scan_determinismE0ELb0ES3_N6thrust23THRUST_200600_302600_NS16reverse_iteratorIPKiEESD_NSA_IPiEEiN6hipcub16HIPCUB_304000_NS3MaxENSH_8EqualityEiEE10hipError_tPvRmT2_T3_T4_T5_mT6_T7_P12ihipStream_tbENKUlT_T0_E_clISt17integral_constantIbLb1EES10_EEDaSV_SW_EUlSV_E_NS1_11comp_targetILNS1_3genE5ELNS1_11target_archE942ELNS1_3gpuE9ELNS1_3repE0EEENS1_30default_config_static_selectorELNS0_4arch9wavefront6targetE0EEEvT1_
                                        ; -- End function
	.set _ZN7rocprim17ROCPRIM_400000_NS6detail17trampoline_kernelINS0_14default_configENS1_27scan_by_key_config_selectorIiiEEZZNS1_16scan_by_key_implILNS1_25lookback_scan_determinismE0ELb0ES3_N6thrust23THRUST_200600_302600_NS16reverse_iteratorIPKiEESD_NSA_IPiEEiN6hipcub16HIPCUB_304000_NS3MaxENSH_8EqualityEiEE10hipError_tPvRmT2_T3_T4_T5_mT6_T7_P12ihipStream_tbENKUlT_T0_E_clISt17integral_constantIbLb1EES10_EEDaSV_SW_EUlSV_E_NS1_11comp_targetILNS1_3genE5ELNS1_11target_archE942ELNS1_3gpuE9ELNS1_3repE0EEENS1_30default_config_static_selectorELNS0_4arch9wavefront6targetE0EEEvT1_.num_vgpr, 0
	.set _ZN7rocprim17ROCPRIM_400000_NS6detail17trampoline_kernelINS0_14default_configENS1_27scan_by_key_config_selectorIiiEEZZNS1_16scan_by_key_implILNS1_25lookback_scan_determinismE0ELb0ES3_N6thrust23THRUST_200600_302600_NS16reverse_iteratorIPKiEESD_NSA_IPiEEiN6hipcub16HIPCUB_304000_NS3MaxENSH_8EqualityEiEE10hipError_tPvRmT2_T3_T4_T5_mT6_T7_P12ihipStream_tbENKUlT_T0_E_clISt17integral_constantIbLb1EES10_EEDaSV_SW_EUlSV_E_NS1_11comp_targetILNS1_3genE5ELNS1_11target_archE942ELNS1_3gpuE9ELNS1_3repE0EEENS1_30default_config_static_selectorELNS0_4arch9wavefront6targetE0EEEvT1_.num_agpr, 0
	.set _ZN7rocprim17ROCPRIM_400000_NS6detail17trampoline_kernelINS0_14default_configENS1_27scan_by_key_config_selectorIiiEEZZNS1_16scan_by_key_implILNS1_25lookback_scan_determinismE0ELb0ES3_N6thrust23THRUST_200600_302600_NS16reverse_iteratorIPKiEESD_NSA_IPiEEiN6hipcub16HIPCUB_304000_NS3MaxENSH_8EqualityEiEE10hipError_tPvRmT2_T3_T4_T5_mT6_T7_P12ihipStream_tbENKUlT_T0_E_clISt17integral_constantIbLb1EES10_EEDaSV_SW_EUlSV_E_NS1_11comp_targetILNS1_3genE5ELNS1_11target_archE942ELNS1_3gpuE9ELNS1_3repE0EEENS1_30default_config_static_selectorELNS0_4arch9wavefront6targetE0EEEvT1_.numbered_sgpr, 0
	.set _ZN7rocprim17ROCPRIM_400000_NS6detail17trampoline_kernelINS0_14default_configENS1_27scan_by_key_config_selectorIiiEEZZNS1_16scan_by_key_implILNS1_25lookback_scan_determinismE0ELb0ES3_N6thrust23THRUST_200600_302600_NS16reverse_iteratorIPKiEESD_NSA_IPiEEiN6hipcub16HIPCUB_304000_NS3MaxENSH_8EqualityEiEE10hipError_tPvRmT2_T3_T4_T5_mT6_T7_P12ihipStream_tbENKUlT_T0_E_clISt17integral_constantIbLb1EES10_EEDaSV_SW_EUlSV_E_NS1_11comp_targetILNS1_3genE5ELNS1_11target_archE942ELNS1_3gpuE9ELNS1_3repE0EEENS1_30default_config_static_selectorELNS0_4arch9wavefront6targetE0EEEvT1_.num_named_barrier, 0
	.set _ZN7rocprim17ROCPRIM_400000_NS6detail17trampoline_kernelINS0_14default_configENS1_27scan_by_key_config_selectorIiiEEZZNS1_16scan_by_key_implILNS1_25lookback_scan_determinismE0ELb0ES3_N6thrust23THRUST_200600_302600_NS16reverse_iteratorIPKiEESD_NSA_IPiEEiN6hipcub16HIPCUB_304000_NS3MaxENSH_8EqualityEiEE10hipError_tPvRmT2_T3_T4_T5_mT6_T7_P12ihipStream_tbENKUlT_T0_E_clISt17integral_constantIbLb1EES10_EEDaSV_SW_EUlSV_E_NS1_11comp_targetILNS1_3genE5ELNS1_11target_archE942ELNS1_3gpuE9ELNS1_3repE0EEENS1_30default_config_static_selectorELNS0_4arch9wavefront6targetE0EEEvT1_.private_seg_size, 0
	.set _ZN7rocprim17ROCPRIM_400000_NS6detail17trampoline_kernelINS0_14default_configENS1_27scan_by_key_config_selectorIiiEEZZNS1_16scan_by_key_implILNS1_25lookback_scan_determinismE0ELb0ES3_N6thrust23THRUST_200600_302600_NS16reverse_iteratorIPKiEESD_NSA_IPiEEiN6hipcub16HIPCUB_304000_NS3MaxENSH_8EqualityEiEE10hipError_tPvRmT2_T3_T4_T5_mT6_T7_P12ihipStream_tbENKUlT_T0_E_clISt17integral_constantIbLb1EES10_EEDaSV_SW_EUlSV_E_NS1_11comp_targetILNS1_3genE5ELNS1_11target_archE942ELNS1_3gpuE9ELNS1_3repE0EEENS1_30default_config_static_selectorELNS0_4arch9wavefront6targetE0EEEvT1_.uses_vcc, 0
	.set _ZN7rocprim17ROCPRIM_400000_NS6detail17trampoline_kernelINS0_14default_configENS1_27scan_by_key_config_selectorIiiEEZZNS1_16scan_by_key_implILNS1_25lookback_scan_determinismE0ELb0ES3_N6thrust23THRUST_200600_302600_NS16reverse_iteratorIPKiEESD_NSA_IPiEEiN6hipcub16HIPCUB_304000_NS3MaxENSH_8EqualityEiEE10hipError_tPvRmT2_T3_T4_T5_mT6_T7_P12ihipStream_tbENKUlT_T0_E_clISt17integral_constantIbLb1EES10_EEDaSV_SW_EUlSV_E_NS1_11comp_targetILNS1_3genE5ELNS1_11target_archE942ELNS1_3gpuE9ELNS1_3repE0EEENS1_30default_config_static_selectorELNS0_4arch9wavefront6targetE0EEEvT1_.uses_flat_scratch, 0
	.set _ZN7rocprim17ROCPRIM_400000_NS6detail17trampoline_kernelINS0_14default_configENS1_27scan_by_key_config_selectorIiiEEZZNS1_16scan_by_key_implILNS1_25lookback_scan_determinismE0ELb0ES3_N6thrust23THRUST_200600_302600_NS16reverse_iteratorIPKiEESD_NSA_IPiEEiN6hipcub16HIPCUB_304000_NS3MaxENSH_8EqualityEiEE10hipError_tPvRmT2_T3_T4_T5_mT6_T7_P12ihipStream_tbENKUlT_T0_E_clISt17integral_constantIbLb1EES10_EEDaSV_SW_EUlSV_E_NS1_11comp_targetILNS1_3genE5ELNS1_11target_archE942ELNS1_3gpuE9ELNS1_3repE0EEENS1_30default_config_static_selectorELNS0_4arch9wavefront6targetE0EEEvT1_.has_dyn_sized_stack, 0
	.set _ZN7rocprim17ROCPRIM_400000_NS6detail17trampoline_kernelINS0_14default_configENS1_27scan_by_key_config_selectorIiiEEZZNS1_16scan_by_key_implILNS1_25lookback_scan_determinismE0ELb0ES3_N6thrust23THRUST_200600_302600_NS16reverse_iteratorIPKiEESD_NSA_IPiEEiN6hipcub16HIPCUB_304000_NS3MaxENSH_8EqualityEiEE10hipError_tPvRmT2_T3_T4_T5_mT6_T7_P12ihipStream_tbENKUlT_T0_E_clISt17integral_constantIbLb1EES10_EEDaSV_SW_EUlSV_E_NS1_11comp_targetILNS1_3genE5ELNS1_11target_archE942ELNS1_3gpuE9ELNS1_3repE0EEENS1_30default_config_static_selectorELNS0_4arch9wavefront6targetE0EEEvT1_.has_recursion, 0
	.set _ZN7rocprim17ROCPRIM_400000_NS6detail17trampoline_kernelINS0_14default_configENS1_27scan_by_key_config_selectorIiiEEZZNS1_16scan_by_key_implILNS1_25lookback_scan_determinismE0ELb0ES3_N6thrust23THRUST_200600_302600_NS16reverse_iteratorIPKiEESD_NSA_IPiEEiN6hipcub16HIPCUB_304000_NS3MaxENSH_8EqualityEiEE10hipError_tPvRmT2_T3_T4_T5_mT6_T7_P12ihipStream_tbENKUlT_T0_E_clISt17integral_constantIbLb1EES10_EEDaSV_SW_EUlSV_E_NS1_11comp_targetILNS1_3genE5ELNS1_11target_archE942ELNS1_3gpuE9ELNS1_3repE0EEENS1_30default_config_static_selectorELNS0_4arch9wavefront6targetE0EEEvT1_.has_indirect_call, 0
	.section	.AMDGPU.csdata,"",@progbits
; Kernel info:
; codeLenInByte = 0
; TotalNumSgprs: 0
; NumVgprs: 0
; ScratchSize: 0
; MemoryBound: 0
; FloatMode: 240
; IeeeMode: 1
; LDSByteSize: 0 bytes/workgroup (compile time only)
; SGPRBlocks: 0
; VGPRBlocks: 0
; NumSGPRsForWavesPerEU: 1
; NumVGPRsForWavesPerEU: 1
; Occupancy: 16
; WaveLimiterHint : 0
; COMPUTE_PGM_RSRC2:SCRATCH_EN: 0
; COMPUTE_PGM_RSRC2:USER_SGPR: 6
; COMPUTE_PGM_RSRC2:TRAP_HANDLER: 0
; COMPUTE_PGM_RSRC2:TGID_X_EN: 1
; COMPUTE_PGM_RSRC2:TGID_Y_EN: 0
; COMPUTE_PGM_RSRC2:TGID_Z_EN: 0
; COMPUTE_PGM_RSRC2:TIDIG_COMP_CNT: 0
	.section	.text._ZN7rocprim17ROCPRIM_400000_NS6detail17trampoline_kernelINS0_14default_configENS1_27scan_by_key_config_selectorIiiEEZZNS1_16scan_by_key_implILNS1_25lookback_scan_determinismE0ELb0ES3_N6thrust23THRUST_200600_302600_NS16reverse_iteratorIPKiEESD_NSA_IPiEEiN6hipcub16HIPCUB_304000_NS3MaxENSH_8EqualityEiEE10hipError_tPvRmT2_T3_T4_T5_mT6_T7_P12ihipStream_tbENKUlT_T0_E_clISt17integral_constantIbLb1EES10_EEDaSV_SW_EUlSV_E_NS1_11comp_targetILNS1_3genE4ELNS1_11target_archE910ELNS1_3gpuE8ELNS1_3repE0EEENS1_30default_config_static_selectorELNS0_4arch9wavefront6targetE0EEEvT1_,"axG",@progbits,_ZN7rocprim17ROCPRIM_400000_NS6detail17trampoline_kernelINS0_14default_configENS1_27scan_by_key_config_selectorIiiEEZZNS1_16scan_by_key_implILNS1_25lookback_scan_determinismE0ELb0ES3_N6thrust23THRUST_200600_302600_NS16reverse_iteratorIPKiEESD_NSA_IPiEEiN6hipcub16HIPCUB_304000_NS3MaxENSH_8EqualityEiEE10hipError_tPvRmT2_T3_T4_T5_mT6_T7_P12ihipStream_tbENKUlT_T0_E_clISt17integral_constantIbLb1EES10_EEDaSV_SW_EUlSV_E_NS1_11comp_targetILNS1_3genE4ELNS1_11target_archE910ELNS1_3gpuE8ELNS1_3repE0EEENS1_30default_config_static_selectorELNS0_4arch9wavefront6targetE0EEEvT1_,comdat
	.protected	_ZN7rocprim17ROCPRIM_400000_NS6detail17trampoline_kernelINS0_14default_configENS1_27scan_by_key_config_selectorIiiEEZZNS1_16scan_by_key_implILNS1_25lookback_scan_determinismE0ELb0ES3_N6thrust23THRUST_200600_302600_NS16reverse_iteratorIPKiEESD_NSA_IPiEEiN6hipcub16HIPCUB_304000_NS3MaxENSH_8EqualityEiEE10hipError_tPvRmT2_T3_T4_T5_mT6_T7_P12ihipStream_tbENKUlT_T0_E_clISt17integral_constantIbLb1EES10_EEDaSV_SW_EUlSV_E_NS1_11comp_targetILNS1_3genE4ELNS1_11target_archE910ELNS1_3gpuE8ELNS1_3repE0EEENS1_30default_config_static_selectorELNS0_4arch9wavefront6targetE0EEEvT1_ ; -- Begin function _ZN7rocprim17ROCPRIM_400000_NS6detail17trampoline_kernelINS0_14default_configENS1_27scan_by_key_config_selectorIiiEEZZNS1_16scan_by_key_implILNS1_25lookback_scan_determinismE0ELb0ES3_N6thrust23THRUST_200600_302600_NS16reverse_iteratorIPKiEESD_NSA_IPiEEiN6hipcub16HIPCUB_304000_NS3MaxENSH_8EqualityEiEE10hipError_tPvRmT2_T3_T4_T5_mT6_T7_P12ihipStream_tbENKUlT_T0_E_clISt17integral_constantIbLb1EES10_EEDaSV_SW_EUlSV_E_NS1_11comp_targetILNS1_3genE4ELNS1_11target_archE910ELNS1_3gpuE8ELNS1_3repE0EEENS1_30default_config_static_selectorELNS0_4arch9wavefront6targetE0EEEvT1_
	.globl	_ZN7rocprim17ROCPRIM_400000_NS6detail17trampoline_kernelINS0_14default_configENS1_27scan_by_key_config_selectorIiiEEZZNS1_16scan_by_key_implILNS1_25lookback_scan_determinismE0ELb0ES3_N6thrust23THRUST_200600_302600_NS16reverse_iteratorIPKiEESD_NSA_IPiEEiN6hipcub16HIPCUB_304000_NS3MaxENSH_8EqualityEiEE10hipError_tPvRmT2_T3_T4_T5_mT6_T7_P12ihipStream_tbENKUlT_T0_E_clISt17integral_constantIbLb1EES10_EEDaSV_SW_EUlSV_E_NS1_11comp_targetILNS1_3genE4ELNS1_11target_archE910ELNS1_3gpuE8ELNS1_3repE0EEENS1_30default_config_static_selectorELNS0_4arch9wavefront6targetE0EEEvT1_
	.p2align	8
	.type	_ZN7rocprim17ROCPRIM_400000_NS6detail17trampoline_kernelINS0_14default_configENS1_27scan_by_key_config_selectorIiiEEZZNS1_16scan_by_key_implILNS1_25lookback_scan_determinismE0ELb0ES3_N6thrust23THRUST_200600_302600_NS16reverse_iteratorIPKiEESD_NSA_IPiEEiN6hipcub16HIPCUB_304000_NS3MaxENSH_8EqualityEiEE10hipError_tPvRmT2_T3_T4_T5_mT6_T7_P12ihipStream_tbENKUlT_T0_E_clISt17integral_constantIbLb1EES10_EEDaSV_SW_EUlSV_E_NS1_11comp_targetILNS1_3genE4ELNS1_11target_archE910ELNS1_3gpuE8ELNS1_3repE0EEENS1_30default_config_static_selectorELNS0_4arch9wavefront6targetE0EEEvT1_,@function
_ZN7rocprim17ROCPRIM_400000_NS6detail17trampoline_kernelINS0_14default_configENS1_27scan_by_key_config_selectorIiiEEZZNS1_16scan_by_key_implILNS1_25lookback_scan_determinismE0ELb0ES3_N6thrust23THRUST_200600_302600_NS16reverse_iteratorIPKiEESD_NSA_IPiEEiN6hipcub16HIPCUB_304000_NS3MaxENSH_8EqualityEiEE10hipError_tPvRmT2_T3_T4_T5_mT6_T7_P12ihipStream_tbENKUlT_T0_E_clISt17integral_constantIbLb1EES10_EEDaSV_SW_EUlSV_E_NS1_11comp_targetILNS1_3genE4ELNS1_11target_archE910ELNS1_3gpuE8ELNS1_3repE0EEENS1_30default_config_static_selectorELNS0_4arch9wavefront6targetE0EEEvT1_: ; @_ZN7rocprim17ROCPRIM_400000_NS6detail17trampoline_kernelINS0_14default_configENS1_27scan_by_key_config_selectorIiiEEZZNS1_16scan_by_key_implILNS1_25lookback_scan_determinismE0ELb0ES3_N6thrust23THRUST_200600_302600_NS16reverse_iteratorIPKiEESD_NSA_IPiEEiN6hipcub16HIPCUB_304000_NS3MaxENSH_8EqualityEiEE10hipError_tPvRmT2_T3_T4_T5_mT6_T7_P12ihipStream_tbENKUlT_T0_E_clISt17integral_constantIbLb1EES10_EEDaSV_SW_EUlSV_E_NS1_11comp_targetILNS1_3genE4ELNS1_11target_archE910ELNS1_3gpuE8ELNS1_3repE0EEENS1_30default_config_static_selectorELNS0_4arch9wavefront6targetE0EEEvT1_
; %bb.0:
	.section	.rodata,"a",@progbits
	.p2align	6, 0x0
	.amdhsa_kernel _ZN7rocprim17ROCPRIM_400000_NS6detail17trampoline_kernelINS0_14default_configENS1_27scan_by_key_config_selectorIiiEEZZNS1_16scan_by_key_implILNS1_25lookback_scan_determinismE0ELb0ES3_N6thrust23THRUST_200600_302600_NS16reverse_iteratorIPKiEESD_NSA_IPiEEiN6hipcub16HIPCUB_304000_NS3MaxENSH_8EqualityEiEE10hipError_tPvRmT2_T3_T4_T5_mT6_T7_P12ihipStream_tbENKUlT_T0_E_clISt17integral_constantIbLb1EES10_EEDaSV_SW_EUlSV_E_NS1_11comp_targetILNS1_3genE4ELNS1_11target_archE910ELNS1_3gpuE8ELNS1_3repE0EEENS1_30default_config_static_selectorELNS0_4arch9wavefront6targetE0EEEvT1_
		.amdhsa_group_segment_fixed_size 0
		.amdhsa_private_segment_fixed_size 0
		.amdhsa_kernarg_size 112
		.amdhsa_user_sgpr_count 6
		.amdhsa_user_sgpr_private_segment_buffer 1
		.amdhsa_user_sgpr_dispatch_ptr 0
		.amdhsa_user_sgpr_queue_ptr 0
		.amdhsa_user_sgpr_kernarg_segment_ptr 1
		.amdhsa_user_sgpr_dispatch_id 0
		.amdhsa_user_sgpr_flat_scratch_init 0
		.amdhsa_user_sgpr_private_segment_size 0
		.amdhsa_wavefront_size32 1
		.amdhsa_uses_dynamic_stack 0
		.amdhsa_system_sgpr_private_segment_wavefront_offset 0
		.amdhsa_system_sgpr_workgroup_id_x 1
		.amdhsa_system_sgpr_workgroup_id_y 0
		.amdhsa_system_sgpr_workgroup_id_z 0
		.amdhsa_system_sgpr_workgroup_info 0
		.amdhsa_system_vgpr_workitem_id 0
		.amdhsa_next_free_vgpr 1
		.amdhsa_next_free_sgpr 1
		.amdhsa_reserve_vcc 0
		.amdhsa_reserve_flat_scratch 0
		.amdhsa_float_round_mode_32 0
		.amdhsa_float_round_mode_16_64 0
		.amdhsa_float_denorm_mode_32 3
		.amdhsa_float_denorm_mode_16_64 3
		.amdhsa_dx10_clamp 1
		.amdhsa_ieee_mode 1
		.amdhsa_fp16_overflow 0
		.amdhsa_workgroup_processor_mode 1
		.amdhsa_memory_ordered 1
		.amdhsa_forward_progress 1
		.amdhsa_shared_vgpr_count 0
		.amdhsa_exception_fp_ieee_invalid_op 0
		.amdhsa_exception_fp_denorm_src 0
		.amdhsa_exception_fp_ieee_div_zero 0
		.amdhsa_exception_fp_ieee_overflow 0
		.amdhsa_exception_fp_ieee_underflow 0
		.amdhsa_exception_fp_ieee_inexact 0
		.amdhsa_exception_int_div_zero 0
	.end_amdhsa_kernel
	.section	.text._ZN7rocprim17ROCPRIM_400000_NS6detail17trampoline_kernelINS0_14default_configENS1_27scan_by_key_config_selectorIiiEEZZNS1_16scan_by_key_implILNS1_25lookback_scan_determinismE0ELb0ES3_N6thrust23THRUST_200600_302600_NS16reverse_iteratorIPKiEESD_NSA_IPiEEiN6hipcub16HIPCUB_304000_NS3MaxENSH_8EqualityEiEE10hipError_tPvRmT2_T3_T4_T5_mT6_T7_P12ihipStream_tbENKUlT_T0_E_clISt17integral_constantIbLb1EES10_EEDaSV_SW_EUlSV_E_NS1_11comp_targetILNS1_3genE4ELNS1_11target_archE910ELNS1_3gpuE8ELNS1_3repE0EEENS1_30default_config_static_selectorELNS0_4arch9wavefront6targetE0EEEvT1_,"axG",@progbits,_ZN7rocprim17ROCPRIM_400000_NS6detail17trampoline_kernelINS0_14default_configENS1_27scan_by_key_config_selectorIiiEEZZNS1_16scan_by_key_implILNS1_25lookback_scan_determinismE0ELb0ES3_N6thrust23THRUST_200600_302600_NS16reverse_iteratorIPKiEESD_NSA_IPiEEiN6hipcub16HIPCUB_304000_NS3MaxENSH_8EqualityEiEE10hipError_tPvRmT2_T3_T4_T5_mT6_T7_P12ihipStream_tbENKUlT_T0_E_clISt17integral_constantIbLb1EES10_EEDaSV_SW_EUlSV_E_NS1_11comp_targetILNS1_3genE4ELNS1_11target_archE910ELNS1_3gpuE8ELNS1_3repE0EEENS1_30default_config_static_selectorELNS0_4arch9wavefront6targetE0EEEvT1_,comdat
.Lfunc_end66:
	.size	_ZN7rocprim17ROCPRIM_400000_NS6detail17trampoline_kernelINS0_14default_configENS1_27scan_by_key_config_selectorIiiEEZZNS1_16scan_by_key_implILNS1_25lookback_scan_determinismE0ELb0ES3_N6thrust23THRUST_200600_302600_NS16reverse_iteratorIPKiEESD_NSA_IPiEEiN6hipcub16HIPCUB_304000_NS3MaxENSH_8EqualityEiEE10hipError_tPvRmT2_T3_T4_T5_mT6_T7_P12ihipStream_tbENKUlT_T0_E_clISt17integral_constantIbLb1EES10_EEDaSV_SW_EUlSV_E_NS1_11comp_targetILNS1_3genE4ELNS1_11target_archE910ELNS1_3gpuE8ELNS1_3repE0EEENS1_30default_config_static_selectorELNS0_4arch9wavefront6targetE0EEEvT1_, .Lfunc_end66-_ZN7rocprim17ROCPRIM_400000_NS6detail17trampoline_kernelINS0_14default_configENS1_27scan_by_key_config_selectorIiiEEZZNS1_16scan_by_key_implILNS1_25lookback_scan_determinismE0ELb0ES3_N6thrust23THRUST_200600_302600_NS16reverse_iteratorIPKiEESD_NSA_IPiEEiN6hipcub16HIPCUB_304000_NS3MaxENSH_8EqualityEiEE10hipError_tPvRmT2_T3_T4_T5_mT6_T7_P12ihipStream_tbENKUlT_T0_E_clISt17integral_constantIbLb1EES10_EEDaSV_SW_EUlSV_E_NS1_11comp_targetILNS1_3genE4ELNS1_11target_archE910ELNS1_3gpuE8ELNS1_3repE0EEENS1_30default_config_static_selectorELNS0_4arch9wavefront6targetE0EEEvT1_
                                        ; -- End function
	.set _ZN7rocprim17ROCPRIM_400000_NS6detail17trampoline_kernelINS0_14default_configENS1_27scan_by_key_config_selectorIiiEEZZNS1_16scan_by_key_implILNS1_25lookback_scan_determinismE0ELb0ES3_N6thrust23THRUST_200600_302600_NS16reverse_iteratorIPKiEESD_NSA_IPiEEiN6hipcub16HIPCUB_304000_NS3MaxENSH_8EqualityEiEE10hipError_tPvRmT2_T3_T4_T5_mT6_T7_P12ihipStream_tbENKUlT_T0_E_clISt17integral_constantIbLb1EES10_EEDaSV_SW_EUlSV_E_NS1_11comp_targetILNS1_3genE4ELNS1_11target_archE910ELNS1_3gpuE8ELNS1_3repE0EEENS1_30default_config_static_selectorELNS0_4arch9wavefront6targetE0EEEvT1_.num_vgpr, 0
	.set _ZN7rocprim17ROCPRIM_400000_NS6detail17trampoline_kernelINS0_14default_configENS1_27scan_by_key_config_selectorIiiEEZZNS1_16scan_by_key_implILNS1_25lookback_scan_determinismE0ELb0ES3_N6thrust23THRUST_200600_302600_NS16reverse_iteratorIPKiEESD_NSA_IPiEEiN6hipcub16HIPCUB_304000_NS3MaxENSH_8EqualityEiEE10hipError_tPvRmT2_T3_T4_T5_mT6_T7_P12ihipStream_tbENKUlT_T0_E_clISt17integral_constantIbLb1EES10_EEDaSV_SW_EUlSV_E_NS1_11comp_targetILNS1_3genE4ELNS1_11target_archE910ELNS1_3gpuE8ELNS1_3repE0EEENS1_30default_config_static_selectorELNS0_4arch9wavefront6targetE0EEEvT1_.num_agpr, 0
	.set _ZN7rocprim17ROCPRIM_400000_NS6detail17trampoline_kernelINS0_14default_configENS1_27scan_by_key_config_selectorIiiEEZZNS1_16scan_by_key_implILNS1_25lookback_scan_determinismE0ELb0ES3_N6thrust23THRUST_200600_302600_NS16reverse_iteratorIPKiEESD_NSA_IPiEEiN6hipcub16HIPCUB_304000_NS3MaxENSH_8EqualityEiEE10hipError_tPvRmT2_T3_T4_T5_mT6_T7_P12ihipStream_tbENKUlT_T0_E_clISt17integral_constantIbLb1EES10_EEDaSV_SW_EUlSV_E_NS1_11comp_targetILNS1_3genE4ELNS1_11target_archE910ELNS1_3gpuE8ELNS1_3repE0EEENS1_30default_config_static_selectorELNS0_4arch9wavefront6targetE0EEEvT1_.numbered_sgpr, 0
	.set _ZN7rocprim17ROCPRIM_400000_NS6detail17trampoline_kernelINS0_14default_configENS1_27scan_by_key_config_selectorIiiEEZZNS1_16scan_by_key_implILNS1_25lookback_scan_determinismE0ELb0ES3_N6thrust23THRUST_200600_302600_NS16reverse_iteratorIPKiEESD_NSA_IPiEEiN6hipcub16HIPCUB_304000_NS3MaxENSH_8EqualityEiEE10hipError_tPvRmT2_T3_T4_T5_mT6_T7_P12ihipStream_tbENKUlT_T0_E_clISt17integral_constantIbLb1EES10_EEDaSV_SW_EUlSV_E_NS1_11comp_targetILNS1_3genE4ELNS1_11target_archE910ELNS1_3gpuE8ELNS1_3repE0EEENS1_30default_config_static_selectorELNS0_4arch9wavefront6targetE0EEEvT1_.num_named_barrier, 0
	.set _ZN7rocprim17ROCPRIM_400000_NS6detail17trampoline_kernelINS0_14default_configENS1_27scan_by_key_config_selectorIiiEEZZNS1_16scan_by_key_implILNS1_25lookback_scan_determinismE0ELb0ES3_N6thrust23THRUST_200600_302600_NS16reverse_iteratorIPKiEESD_NSA_IPiEEiN6hipcub16HIPCUB_304000_NS3MaxENSH_8EqualityEiEE10hipError_tPvRmT2_T3_T4_T5_mT6_T7_P12ihipStream_tbENKUlT_T0_E_clISt17integral_constantIbLb1EES10_EEDaSV_SW_EUlSV_E_NS1_11comp_targetILNS1_3genE4ELNS1_11target_archE910ELNS1_3gpuE8ELNS1_3repE0EEENS1_30default_config_static_selectorELNS0_4arch9wavefront6targetE0EEEvT1_.private_seg_size, 0
	.set _ZN7rocprim17ROCPRIM_400000_NS6detail17trampoline_kernelINS0_14default_configENS1_27scan_by_key_config_selectorIiiEEZZNS1_16scan_by_key_implILNS1_25lookback_scan_determinismE0ELb0ES3_N6thrust23THRUST_200600_302600_NS16reverse_iteratorIPKiEESD_NSA_IPiEEiN6hipcub16HIPCUB_304000_NS3MaxENSH_8EqualityEiEE10hipError_tPvRmT2_T3_T4_T5_mT6_T7_P12ihipStream_tbENKUlT_T0_E_clISt17integral_constantIbLb1EES10_EEDaSV_SW_EUlSV_E_NS1_11comp_targetILNS1_3genE4ELNS1_11target_archE910ELNS1_3gpuE8ELNS1_3repE0EEENS1_30default_config_static_selectorELNS0_4arch9wavefront6targetE0EEEvT1_.uses_vcc, 0
	.set _ZN7rocprim17ROCPRIM_400000_NS6detail17trampoline_kernelINS0_14default_configENS1_27scan_by_key_config_selectorIiiEEZZNS1_16scan_by_key_implILNS1_25lookback_scan_determinismE0ELb0ES3_N6thrust23THRUST_200600_302600_NS16reverse_iteratorIPKiEESD_NSA_IPiEEiN6hipcub16HIPCUB_304000_NS3MaxENSH_8EqualityEiEE10hipError_tPvRmT2_T3_T4_T5_mT6_T7_P12ihipStream_tbENKUlT_T0_E_clISt17integral_constantIbLb1EES10_EEDaSV_SW_EUlSV_E_NS1_11comp_targetILNS1_3genE4ELNS1_11target_archE910ELNS1_3gpuE8ELNS1_3repE0EEENS1_30default_config_static_selectorELNS0_4arch9wavefront6targetE0EEEvT1_.uses_flat_scratch, 0
	.set _ZN7rocprim17ROCPRIM_400000_NS6detail17trampoline_kernelINS0_14default_configENS1_27scan_by_key_config_selectorIiiEEZZNS1_16scan_by_key_implILNS1_25lookback_scan_determinismE0ELb0ES3_N6thrust23THRUST_200600_302600_NS16reverse_iteratorIPKiEESD_NSA_IPiEEiN6hipcub16HIPCUB_304000_NS3MaxENSH_8EqualityEiEE10hipError_tPvRmT2_T3_T4_T5_mT6_T7_P12ihipStream_tbENKUlT_T0_E_clISt17integral_constantIbLb1EES10_EEDaSV_SW_EUlSV_E_NS1_11comp_targetILNS1_3genE4ELNS1_11target_archE910ELNS1_3gpuE8ELNS1_3repE0EEENS1_30default_config_static_selectorELNS0_4arch9wavefront6targetE0EEEvT1_.has_dyn_sized_stack, 0
	.set _ZN7rocprim17ROCPRIM_400000_NS6detail17trampoline_kernelINS0_14default_configENS1_27scan_by_key_config_selectorIiiEEZZNS1_16scan_by_key_implILNS1_25lookback_scan_determinismE0ELb0ES3_N6thrust23THRUST_200600_302600_NS16reverse_iteratorIPKiEESD_NSA_IPiEEiN6hipcub16HIPCUB_304000_NS3MaxENSH_8EqualityEiEE10hipError_tPvRmT2_T3_T4_T5_mT6_T7_P12ihipStream_tbENKUlT_T0_E_clISt17integral_constantIbLb1EES10_EEDaSV_SW_EUlSV_E_NS1_11comp_targetILNS1_3genE4ELNS1_11target_archE910ELNS1_3gpuE8ELNS1_3repE0EEENS1_30default_config_static_selectorELNS0_4arch9wavefront6targetE0EEEvT1_.has_recursion, 0
	.set _ZN7rocprim17ROCPRIM_400000_NS6detail17trampoline_kernelINS0_14default_configENS1_27scan_by_key_config_selectorIiiEEZZNS1_16scan_by_key_implILNS1_25lookback_scan_determinismE0ELb0ES3_N6thrust23THRUST_200600_302600_NS16reverse_iteratorIPKiEESD_NSA_IPiEEiN6hipcub16HIPCUB_304000_NS3MaxENSH_8EqualityEiEE10hipError_tPvRmT2_T3_T4_T5_mT6_T7_P12ihipStream_tbENKUlT_T0_E_clISt17integral_constantIbLb1EES10_EEDaSV_SW_EUlSV_E_NS1_11comp_targetILNS1_3genE4ELNS1_11target_archE910ELNS1_3gpuE8ELNS1_3repE0EEENS1_30default_config_static_selectorELNS0_4arch9wavefront6targetE0EEEvT1_.has_indirect_call, 0
	.section	.AMDGPU.csdata,"",@progbits
; Kernel info:
; codeLenInByte = 0
; TotalNumSgprs: 0
; NumVgprs: 0
; ScratchSize: 0
; MemoryBound: 0
; FloatMode: 240
; IeeeMode: 1
; LDSByteSize: 0 bytes/workgroup (compile time only)
; SGPRBlocks: 0
; VGPRBlocks: 0
; NumSGPRsForWavesPerEU: 1
; NumVGPRsForWavesPerEU: 1
; Occupancy: 16
; WaveLimiterHint : 0
; COMPUTE_PGM_RSRC2:SCRATCH_EN: 0
; COMPUTE_PGM_RSRC2:USER_SGPR: 6
; COMPUTE_PGM_RSRC2:TRAP_HANDLER: 0
; COMPUTE_PGM_RSRC2:TGID_X_EN: 1
; COMPUTE_PGM_RSRC2:TGID_Y_EN: 0
; COMPUTE_PGM_RSRC2:TGID_Z_EN: 0
; COMPUTE_PGM_RSRC2:TIDIG_COMP_CNT: 0
	.section	.text._ZN7rocprim17ROCPRIM_400000_NS6detail17trampoline_kernelINS0_14default_configENS1_27scan_by_key_config_selectorIiiEEZZNS1_16scan_by_key_implILNS1_25lookback_scan_determinismE0ELb0ES3_N6thrust23THRUST_200600_302600_NS16reverse_iteratorIPKiEESD_NSA_IPiEEiN6hipcub16HIPCUB_304000_NS3MaxENSH_8EqualityEiEE10hipError_tPvRmT2_T3_T4_T5_mT6_T7_P12ihipStream_tbENKUlT_T0_E_clISt17integral_constantIbLb1EES10_EEDaSV_SW_EUlSV_E_NS1_11comp_targetILNS1_3genE3ELNS1_11target_archE908ELNS1_3gpuE7ELNS1_3repE0EEENS1_30default_config_static_selectorELNS0_4arch9wavefront6targetE0EEEvT1_,"axG",@progbits,_ZN7rocprim17ROCPRIM_400000_NS6detail17trampoline_kernelINS0_14default_configENS1_27scan_by_key_config_selectorIiiEEZZNS1_16scan_by_key_implILNS1_25lookback_scan_determinismE0ELb0ES3_N6thrust23THRUST_200600_302600_NS16reverse_iteratorIPKiEESD_NSA_IPiEEiN6hipcub16HIPCUB_304000_NS3MaxENSH_8EqualityEiEE10hipError_tPvRmT2_T3_T4_T5_mT6_T7_P12ihipStream_tbENKUlT_T0_E_clISt17integral_constantIbLb1EES10_EEDaSV_SW_EUlSV_E_NS1_11comp_targetILNS1_3genE3ELNS1_11target_archE908ELNS1_3gpuE7ELNS1_3repE0EEENS1_30default_config_static_selectorELNS0_4arch9wavefront6targetE0EEEvT1_,comdat
	.protected	_ZN7rocprim17ROCPRIM_400000_NS6detail17trampoline_kernelINS0_14default_configENS1_27scan_by_key_config_selectorIiiEEZZNS1_16scan_by_key_implILNS1_25lookback_scan_determinismE0ELb0ES3_N6thrust23THRUST_200600_302600_NS16reverse_iteratorIPKiEESD_NSA_IPiEEiN6hipcub16HIPCUB_304000_NS3MaxENSH_8EqualityEiEE10hipError_tPvRmT2_T3_T4_T5_mT6_T7_P12ihipStream_tbENKUlT_T0_E_clISt17integral_constantIbLb1EES10_EEDaSV_SW_EUlSV_E_NS1_11comp_targetILNS1_3genE3ELNS1_11target_archE908ELNS1_3gpuE7ELNS1_3repE0EEENS1_30default_config_static_selectorELNS0_4arch9wavefront6targetE0EEEvT1_ ; -- Begin function _ZN7rocprim17ROCPRIM_400000_NS6detail17trampoline_kernelINS0_14default_configENS1_27scan_by_key_config_selectorIiiEEZZNS1_16scan_by_key_implILNS1_25lookback_scan_determinismE0ELb0ES3_N6thrust23THRUST_200600_302600_NS16reverse_iteratorIPKiEESD_NSA_IPiEEiN6hipcub16HIPCUB_304000_NS3MaxENSH_8EqualityEiEE10hipError_tPvRmT2_T3_T4_T5_mT6_T7_P12ihipStream_tbENKUlT_T0_E_clISt17integral_constantIbLb1EES10_EEDaSV_SW_EUlSV_E_NS1_11comp_targetILNS1_3genE3ELNS1_11target_archE908ELNS1_3gpuE7ELNS1_3repE0EEENS1_30default_config_static_selectorELNS0_4arch9wavefront6targetE0EEEvT1_
	.globl	_ZN7rocprim17ROCPRIM_400000_NS6detail17trampoline_kernelINS0_14default_configENS1_27scan_by_key_config_selectorIiiEEZZNS1_16scan_by_key_implILNS1_25lookback_scan_determinismE0ELb0ES3_N6thrust23THRUST_200600_302600_NS16reverse_iteratorIPKiEESD_NSA_IPiEEiN6hipcub16HIPCUB_304000_NS3MaxENSH_8EqualityEiEE10hipError_tPvRmT2_T3_T4_T5_mT6_T7_P12ihipStream_tbENKUlT_T0_E_clISt17integral_constantIbLb1EES10_EEDaSV_SW_EUlSV_E_NS1_11comp_targetILNS1_3genE3ELNS1_11target_archE908ELNS1_3gpuE7ELNS1_3repE0EEENS1_30default_config_static_selectorELNS0_4arch9wavefront6targetE0EEEvT1_
	.p2align	8
	.type	_ZN7rocprim17ROCPRIM_400000_NS6detail17trampoline_kernelINS0_14default_configENS1_27scan_by_key_config_selectorIiiEEZZNS1_16scan_by_key_implILNS1_25lookback_scan_determinismE0ELb0ES3_N6thrust23THRUST_200600_302600_NS16reverse_iteratorIPKiEESD_NSA_IPiEEiN6hipcub16HIPCUB_304000_NS3MaxENSH_8EqualityEiEE10hipError_tPvRmT2_T3_T4_T5_mT6_T7_P12ihipStream_tbENKUlT_T0_E_clISt17integral_constantIbLb1EES10_EEDaSV_SW_EUlSV_E_NS1_11comp_targetILNS1_3genE3ELNS1_11target_archE908ELNS1_3gpuE7ELNS1_3repE0EEENS1_30default_config_static_selectorELNS0_4arch9wavefront6targetE0EEEvT1_,@function
_ZN7rocprim17ROCPRIM_400000_NS6detail17trampoline_kernelINS0_14default_configENS1_27scan_by_key_config_selectorIiiEEZZNS1_16scan_by_key_implILNS1_25lookback_scan_determinismE0ELb0ES3_N6thrust23THRUST_200600_302600_NS16reverse_iteratorIPKiEESD_NSA_IPiEEiN6hipcub16HIPCUB_304000_NS3MaxENSH_8EqualityEiEE10hipError_tPvRmT2_T3_T4_T5_mT6_T7_P12ihipStream_tbENKUlT_T0_E_clISt17integral_constantIbLb1EES10_EEDaSV_SW_EUlSV_E_NS1_11comp_targetILNS1_3genE3ELNS1_11target_archE908ELNS1_3gpuE7ELNS1_3repE0EEENS1_30default_config_static_selectorELNS0_4arch9wavefront6targetE0EEEvT1_: ; @_ZN7rocprim17ROCPRIM_400000_NS6detail17trampoline_kernelINS0_14default_configENS1_27scan_by_key_config_selectorIiiEEZZNS1_16scan_by_key_implILNS1_25lookback_scan_determinismE0ELb0ES3_N6thrust23THRUST_200600_302600_NS16reverse_iteratorIPKiEESD_NSA_IPiEEiN6hipcub16HIPCUB_304000_NS3MaxENSH_8EqualityEiEE10hipError_tPvRmT2_T3_T4_T5_mT6_T7_P12ihipStream_tbENKUlT_T0_E_clISt17integral_constantIbLb1EES10_EEDaSV_SW_EUlSV_E_NS1_11comp_targetILNS1_3genE3ELNS1_11target_archE908ELNS1_3gpuE7ELNS1_3repE0EEENS1_30default_config_static_selectorELNS0_4arch9wavefront6targetE0EEEvT1_
; %bb.0:
	.section	.rodata,"a",@progbits
	.p2align	6, 0x0
	.amdhsa_kernel _ZN7rocprim17ROCPRIM_400000_NS6detail17trampoline_kernelINS0_14default_configENS1_27scan_by_key_config_selectorIiiEEZZNS1_16scan_by_key_implILNS1_25lookback_scan_determinismE0ELb0ES3_N6thrust23THRUST_200600_302600_NS16reverse_iteratorIPKiEESD_NSA_IPiEEiN6hipcub16HIPCUB_304000_NS3MaxENSH_8EqualityEiEE10hipError_tPvRmT2_T3_T4_T5_mT6_T7_P12ihipStream_tbENKUlT_T0_E_clISt17integral_constantIbLb1EES10_EEDaSV_SW_EUlSV_E_NS1_11comp_targetILNS1_3genE3ELNS1_11target_archE908ELNS1_3gpuE7ELNS1_3repE0EEENS1_30default_config_static_selectorELNS0_4arch9wavefront6targetE0EEEvT1_
		.amdhsa_group_segment_fixed_size 0
		.amdhsa_private_segment_fixed_size 0
		.amdhsa_kernarg_size 112
		.amdhsa_user_sgpr_count 6
		.amdhsa_user_sgpr_private_segment_buffer 1
		.amdhsa_user_sgpr_dispatch_ptr 0
		.amdhsa_user_sgpr_queue_ptr 0
		.amdhsa_user_sgpr_kernarg_segment_ptr 1
		.amdhsa_user_sgpr_dispatch_id 0
		.amdhsa_user_sgpr_flat_scratch_init 0
		.amdhsa_user_sgpr_private_segment_size 0
		.amdhsa_wavefront_size32 1
		.amdhsa_uses_dynamic_stack 0
		.amdhsa_system_sgpr_private_segment_wavefront_offset 0
		.amdhsa_system_sgpr_workgroup_id_x 1
		.amdhsa_system_sgpr_workgroup_id_y 0
		.amdhsa_system_sgpr_workgroup_id_z 0
		.amdhsa_system_sgpr_workgroup_info 0
		.amdhsa_system_vgpr_workitem_id 0
		.amdhsa_next_free_vgpr 1
		.amdhsa_next_free_sgpr 1
		.amdhsa_reserve_vcc 0
		.amdhsa_reserve_flat_scratch 0
		.amdhsa_float_round_mode_32 0
		.amdhsa_float_round_mode_16_64 0
		.amdhsa_float_denorm_mode_32 3
		.amdhsa_float_denorm_mode_16_64 3
		.amdhsa_dx10_clamp 1
		.amdhsa_ieee_mode 1
		.amdhsa_fp16_overflow 0
		.amdhsa_workgroup_processor_mode 1
		.amdhsa_memory_ordered 1
		.amdhsa_forward_progress 1
		.amdhsa_shared_vgpr_count 0
		.amdhsa_exception_fp_ieee_invalid_op 0
		.amdhsa_exception_fp_denorm_src 0
		.amdhsa_exception_fp_ieee_div_zero 0
		.amdhsa_exception_fp_ieee_overflow 0
		.amdhsa_exception_fp_ieee_underflow 0
		.amdhsa_exception_fp_ieee_inexact 0
		.amdhsa_exception_int_div_zero 0
	.end_amdhsa_kernel
	.section	.text._ZN7rocprim17ROCPRIM_400000_NS6detail17trampoline_kernelINS0_14default_configENS1_27scan_by_key_config_selectorIiiEEZZNS1_16scan_by_key_implILNS1_25lookback_scan_determinismE0ELb0ES3_N6thrust23THRUST_200600_302600_NS16reverse_iteratorIPKiEESD_NSA_IPiEEiN6hipcub16HIPCUB_304000_NS3MaxENSH_8EqualityEiEE10hipError_tPvRmT2_T3_T4_T5_mT6_T7_P12ihipStream_tbENKUlT_T0_E_clISt17integral_constantIbLb1EES10_EEDaSV_SW_EUlSV_E_NS1_11comp_targetILNS1_3genE3ELNS1_11target_archE908ELNS1_3gpuE7ELNS1_3repE0EEENS1_30default_config_static_selectorELNS0_4arch9wavefront6targetE0EEEvT1_,"axG",@progbits,_ZN7rocprim17ROCPRIM_400000_NS6detail17trampoline_kernelINS0_14default_configENS1_27scan_by_key_config_selectorIiiEEZZNS1_16scan_by_key_implILNS1_25lookback_scan_determinismE0ELb0ES3_N6thrust23THRUST_200600_302600_NS16reverse_iteratorIPKiEESD_NSA_IPiEEiN6hipcub16HIPCUB_304000_NS3MaxENSH_8EqualityEiEE10hipError_tPvRmT2_T3_T4_T5_mT6_T7_P12ihipStream_tbENKUlT_T0_E_clISt17integral_constantIbLb1EES10_EEDaSV_SW_EUlSV_E_NS1_11comp_targetILNS1_3genE3ELNS1_11target_archE908ELNS1_3gpuE7ELNS1_3repE0EEENS1_30default_config_static_selectorELNS0_4arch9wavefront6targetE0EEEvT1_,comdat
.Lfunc_end67:
	.size	_ZN7rocprim17ROCPRIM_400000_NS6detail17trampoline_kernelINS0_14default_configENS1_27scan_by_key_config_selectorIiiEEZZNS1_16scan_by_key_implILNS1_25lookback_scan_determinismE0ELb0ES3_N6thrust23THRUST_200600_302600_NS16reverse_iteratorIPKiEESD_NSA_IPiEEiN6hipcub16HIPCUB_304000_NS3MaxENSH_8EqualityEiEE10hipError_tPvRmT2_T3_T4_T5_mT6_T7_P12ihipStream_tbENKUlT_T0_E_clISt17integral_constantIbLb1EES10_EEDaSV_SW_EUlSV_E_NS1_11comp_targetILNS1_3genE3ELNS1_11target_archE908ELNS1_3gpuE7ELNS1_3repE0EEENS1_30default_config_static_selectorELNS0_4arch9wavefront6targetE0EEEvT1_, .Lfunc_end67-_ZN7rocprim17ROCPRIM_400000_NS6detail17trampoline_kernelINS0_14default_configENS1_27scan_by_key_config_selectorIiiEEZZNS1_16scan_by_key_implILNS1_25lookback_scan_determinismE0ELb0ES3_N6thrust23THRUST_200600_302600_NS16reverse_iteratorIPKiEESD_NSA_IPiEEiN6hipcub16HIPCUB_304000_NS3MaxENSH_8EqualityEiEE10hipError_tPvRmT2_T3_T4_T5_mT6_T7_P12ihipStream_tbENKUlT_T0_E_clISt17integral_constantIbLb1EES10_EEDaSV_SW_EUlSV_E_NS1_11comp_targetILNS1_3genE3ELNS1_11target_archE908ELNS1_3gpuE7ELNS1_3repE0EEENS1_30default_config_static_selectorELNS0_4arch9wavefront6targetE0EEEvT1_
                                        ; -- End function
	.set _ZN7rocprim17ROCPRIM_400000_NS6detail17trampoline_kernelINS0_14default_configENS1_27scan_by_key_config_selectorIiiEEZZNS1_16scan_by_key_implILNS1_25lookback_scan_determinismE0ELb0ES3_N6thrust23THRUST_200600_302600_NS16reverse_iteratorIPKiEESD_NSA_IPiEEiN6hipcub16HIPCUB_304000_NS3MaxENSH_8EqualityEiEE10hipError_tPvRmT2_T3_T4_T5_mT6_T7_P12ihipStream_tbENKUlT_T0_E_clISt17integral_constantIbLb1EES10_EEDaSV_SW_EUlSV_E_NS1_11comp_targetILNS1_3genE3ELNS1_11target_archE908ELNS1_3gpuE7ELNS1_3repE0EEENS1_30default_config_static_selectorELNS0_4arch9wavefront6targetE0EEEvT1_.num_vgpr, 0
	.set _ZN7rocprim17ROCPRIM_400000_NS6detail17trampoline_kernelINS0_14default_configENS1_27scan_by_key_config_selectorIiiEEZZNS1_16scan_by_key_implILNS1_25lookback_scan_determinismE0ELb0ES3_N6thrust23THRUST_200600_302600_NS16reverse_iteratorIPKiEESD_NSA_IPiEEiN6hipcub16HIPCUB_304000_NS3MaxENSH_8EqualityEiEE10hipError_tPvRmT2_T3_T4_T5_mT6_T7_P12ihipStream_tbENKUlT_T0_E_clISt17integral_constantIbLb1EES10_EEDaSV_SW_EUlSV_E_NS1_11comp_targetILNS1_3genE3ELNS1_11target_archE908ELNS1_3gpuE7ELNS1_3repE0EEENS1_30default_config_static_selectorELNS0_4arch9wavefront6targetE0EEEvT1_.num_agpr, 0
	.set _ZN7rocprim17ROCPRIM_400000_NS6detail17trampoline_kernelINS0_14default_configENS1_27scan_by_key_config_selectorIiiEEZZNS1_16scan_by_key_implILNS1_25lookback_scan_determinismE0ELb0ES3_N6thrust23THRUST_200600_302600_NS16reverse_iteratorIPKiEESD_NSA_IPiEEiN6hipcub16HIPCUB_304000_NS3MaxENSH_8EqualityEiEE10hipError_tPvRmT2_T3_T4_T5_mT6_T7_P12ihipStream_tbENKUlT_T0_E_clISt17integral_constantIbLb1EES10_EEDaSV_SW_EUlSV_E_NS1_11comp_targetILNS1_3genE3ELNS1_11target_archE908ELNS1_3gpuE7ELNS1_3repE0EEENS1_30default_config_static_selectorELNS0_4arch9wavefront6targetE0EEEvT1_.numbered_sgpr, 0
	.set _ZN7rocprim17ROCPRIM_400000_NS6detail17trampoline_kernelINS0_14default_configENS1_27scan_by_key_config_selectorIiiEEZZNS1_16scan_by_key_implILNS1_25lookback_scan_determinismE0ELb0ES3_N6thrust23THRUST_200600_302600_NS16reverse_iteratorIPKiEESD_NSA_IPiEEiN6hipcub16HIPCUB_304000_NS3MaxENSH_8EqualityEiEE10hipError_tPvRmT2_T3_T4_T5_mT6_T7_P12ihipStream_tbENKUlT_T0_E_clISt17integral_constantIbLb1EES10_EEDaSV_SW_EUlSV_E_NS1_11comp_targetILNS1_3genE3ELNS1_11target_archE908ELNS1_3gpuE7ELNS1_3repE0EEENS1_30default_config_static_selectorELNS0_4arch9wavefront6targetE0EEEvT1_.num_named_barrier, 0
	.set _ZN7rocprim17ROCPRIM_400000_NS6detail17trampoline_kernelINS0_14default_configENS1_27scan_by_key_config_selectorIiiEEZZNS1_16scan_by_key_implILNS1_25lookback_scan_determinismE0ELb0ES3_N6thrust23THRUST_200600_302600_NS16reverse_iteratorIPKiEESD_NSA_IPiEEiN6hipcub16HIPCUB_304000_NS3MaxENSH_8EqualityEiEE10hipError_tPvRmT2_T3_T4_T5_mT6_T7_P12ihipStream_tbENKUlT_T0_E_clISt17integral_constantIbLb1EES10_EEDaSV_SW_EUlSV_E_NS1_11comp_targetILNS1_3genE3ELNS1_11target_archE908ELNS1_3gpuE7ELNS1_3repE0EEENS1_30default_config_static_selectorELNS0_4arch9wavefront6targetE0EEEvT1_.private_seg_size, 0
	.set _ZN7rocprim17ROCPRIM_400000_NS6detail17trampoline_kernelINS0_14default_configENS1_27scan_by_key_config_selectorIiiEEZZNS1_16scan_by_key_implILNS1_25lookback_scan_determinismE0ELb0ES3_N6thrust23THRUST_200600_302600_NS16reverse_iteratorIPKiEESD_NSA_IPiEEiN6hipcub16HIPCUB_304000_NS3MaxENSH_8EqualityEiEE10hipError_tPvRmT2_T3_T4_T5_mT6_T7_P12ihipStream_tbENKUlT_T0_E_clISt17integral_constantIbLb1EES10_EEDaSV_SW_EUlSV_E_NS1_11comp_targetILNS1_3genE3ELNS1_11target_archE908ELNS1_3gpuE7ELNS1_3repE0EEENS1_30default_config_static_selectorELNS0_4arch9wavefront6targetE0EEEvT1_.uses_vcc, 0
	.set _ZN7rocprim17ROCPRIM_400000_NS6detail17trampoline_kernelINS0_14default_configENS1_27scan_by_key_config_selectorIiiEEZZNS1_16scan_by_key_implILNS1_25lookback_scan_determinismE0ELb0ES3_N6thrust23THRUST_200600_302600_NS16reverse_iteratorIPKiEESD_NSA_IPiEEiN6hipcub16HIPCUB_304000_NS3MaxENSH_8EqualityEiEE10hipError_tPvRmT2_T3_T4_T5_mT6_T7_P12ihipStream_tbENKUlT_T0_E_clISt17integral_constantIbLb1EES10_EEDaSV_SW_EUlSV_E_NS1_11comp_targetILNS1_3genE3ELNS1_11target_archE908ELNS1_3gpuE7ELNS1_3repE0EEENS1_30default_config_static_selectorELNS0_4arch9wavefront6targetE0EEEvT1_.uses_flat_scratch, 0
	.set _ZN7rocprim17ROCPRIM_400000_NS6detail17trampoline_kernelINS0_14default_configENS1_27scan_by_key_config_selectorIiiEEZZNS1_16scan_by_key_implILNS1_25lookback_scan_determinismE0ELb0ES3_N6thrust23THRUST_200600_302600_NS16reverse_iteratorIPKiEESD_NSA_IPiEEiN6hipcub16HIPCUB_304000_NS3MaxENSH_8EqualityEiEE10hipError_tPvRmT2_T3_T4_T5_mT6_T7_P12ihipStream_tbENKUlT_T0_E_clISt17integral_constantIbLb1EES10_EEDaSV_SW_EUlSV_E_NS1_11comp_targetILNS1_3genE3ELNS1_11target_archE908ELNS1_3gpuE7ELNS1_3repE0EEENS1_30default_config_static_selectorELNS0_4arch9wavefront6targetE0EEEvT1_.has_dyn_sized_stack, 0
	.set _ZN7rocprim17ROCPRIM_400000_NS6detail17trampoline_kernelINS0_14default_configENS1_27scan_by_key_config_selectorIiiEEZZNS1_16scan_by_key_implILNS1_25lookback_scan_determinismE0ELb0ES3_N6thrust23THRUST_200600_302600_NS16reverse_iteratorIPKiEESD_NSA_IPiEEiN6hipcub16HIPCUB_304000_NS3MaxENSH_8EqualityEiEE10hipError_tPvRmT2_T3_T4_T5_mT6_T7_P12ihipStream_tbENKUlT_T0_E_clISt17integral_constantIbLb1EES10_EEDaSV_SW_EUlSV_E_NS1_11comp_targetILNS1_3genE3ELNS1_11target_archE908ELNS1_3gpuE7ELNS1_3repE0EEENS1_30default_config_static_selectorELNS0_4arch9wavefront6targetE0EEEvT1_.has_recursion, 0
	.set _ZN7rocprim17ROCPRIM_400000_NS6detail17trampoline_kernelINS0_14default_configENS1_27scan_by_key_config_selectorIiiEEZZNS1_16scan_by_key_implILNS1_25lookback_scan_determinismE0ELb0ES3_N6thrust23THRUST_200600_302600_NS16reverse_iteratorIPKiEESD_NSA_IPiEEiN6hipcub16HIPCUB_304000_NS3MaxENSH_8EqualityEiEE10hipError_tPvRmT2_T3_T4_T5_mT6_T7_P12ihipStream_tbENKUlT_T0_E_clISt17integral_constantIbLb1EES10_EEDaSV_SW_EUlSV_E_NS1_11comp_targetILNS1_3genE3ELNS1_11target_archE908ELNS1_3gpuE7ELNS1_3repE0EEENS1_30default_config_static_selectorELNS0_4arch9wavefront6targetE0EEEvT1_.has_indirect_call, 0
	.section	.AMDGPU.csdata,"",@progbits
; Kernel info:
; codeLenInByte = 0
; TotalNumSgprs: 0
; NumVgprs: 0
; ScratchSize: 0
; MemoryBound: 0
; FloatMode: 240
; IeeeMode: 1
; LDSByteSize: 0 bytes/workgroup (compile time only)
; SGPRBlocks: 0
; VGPRBlocks: 0
; NumSGPRsForWavesPerEU: 1
; NumVGPRsForWavesPerEU: 1
; Occupancy: 16
; WaveLimiterHint : 0
; COMPUTE_PGM_RSRC2:SCRATCH_EN: 0
; COMPUTE_PGM_RSRC2:USER_SGPR: 6
; COMPUTE_PGM_RSRC2:TRAP_HANDLER: 0
; COMPUTE_PGM_RSRC2:TGID_X_EN: 1
; COMPUTE_PGM_RSRC2:TGID_Y_EN: 0
; COMPUTE_PGM_RSRC2:TGID_Z_EN: 0
; COMPUTE_PGM_RSRC2:TIDIG_COMP_CNT: 0
	.section	.text._ZN7rocprim17ROCPRIM_400000_NS6detail17trampoline_kernelINS0_14default_configENS1_27scan_by_key_config_selectorIiiEEZZNS1_16scan_by_key_implILNS1_25lookback_scan_determinismE0ELb0ES3_N6thrust23THRUST_200600_302600_NS16reverse_iteratorIPKiEESD_NSA_IPiEEiN6hipcub16HIPCUB_304000_NS3MaxENSH_8EqualityEiEE10hipError_tPvRmT2_T3_T4_T5_mT6_T7_P12ihipStream_tbENKUlT_T0_E_clISt17integral_constantIbLb1EES10_EEDaSV_SW_EUlSV_E_NS1_11comp_targetILNS1_3genE2ELNS1_11target_archE906ELNS1_3gpuE6ELNS1_3repE0EEENS1_30default_config_static_selectorELNS0_4arch9wavefront6targetE0EEEvT1_,"axG",@progbits,_ZN7rocprim17ROCPRIM_400000_NS6detail17trampoline_kernelINS0_14default_configENS1_27scan_by_key_config_selectorIiiEEZZNS1_16scan_by_key_implILNS1_25lookback_scan_determinismE0ELb0ES3_N6thrust23THRUST_200600_302600_NS16reverse_iteratorIPKiEESD_NSA_IPiEEiN6hipcub16HIPCUB_304000_NS3MaxENSH_8EqualityEiEE10hipError_tPvRmT2_T3_T4_T5_mT6_T7_P12ihipStream_tbENKUlT_T0_E_clISt17integral_constantIbLb1EES10_EEDaSV_SW_EUlSV_E_NS1_11comp_targetILNS1_3genE2ELNS1_11target_archE906ELNS1_3gpuE6ELNS1_3repE0EEENS1_30default_config_static_selectorELNS0_4arch9wavefront6targetE0EEEvT1_,comdat
	.protected	_ZN7rocprim17ROCPRIM_400000_NS6detail17trampoline_kernelINS0_14default_configENS1_27scan_by_key_config_selectorIiiEEZZNS1_16scan_by_key_implILNS1_25lookback_scan_determinismE0ELb0ES3_N6thrust23THRUST_200600_302600_NS16reverse_iteratorIPKiEESD_NSA_IPiEEiN6hipcub16HIPCUB_304000_NS3MaxENSH_8EqualityEiEE10hipError_tPvRmT2_T3_T4_T5_mT6_T7_P12ihipStream_tbENKUlT_T0_E_clISt17integral_constantIbLb1EES10_EEDaSV_SW_EUlSV_E_NS1_11comp_targetILNS1_3genE2ELNS1_11target_archE906ELNS1_3gpuE6ELNS1_3repE0EEENS1_30default_config_static_selectorELNS0_4arch9wavefront6targetE0EEEvT1_ ; -- Begin function _ZN7rocprim17ROCPRIM_400000_NS6detail17trampoline_kernelINS0_14default_configENS1_27scan_by_key_config_selectorIiiEEZZNS1_16scan_by_key_implILNS1_25lookback_scan_determinismE0ELb0ES3_N6thrust23THRUST_200600_302600_NS16reverse_iteratorIPKiEESD_NSA_IPiEEiN6hipcub16HIPCUB_304000_NS3MaxENSH_8EqualityEiEE10hipError_tPvRmT2_T3_T4_T5_mT6_T7_P12ihipStream_tbENKUlT_T0_E_clISt17integral_constantIbLb1EES10_EEDaSV_SW_EUlSV_E_NS1_11comp_targetILNS1_3genE2ELNS1_11target_archE906ELNS1_3gpuE6ELNS1_3repE0EEENS1_30default_config_static_selectorELNS0_4arch9wavefront6targetE0EEEvT1_
	.globl	_ZN7rocprim17ROCPRIM_400000_NS6detail17trampoline_kernelINS0_14default_configENS1_27scan_by_key_config_selectorIiiEEZZNS1_16scan_by_key_implILNS1_25lookback_scan_determinismE0ELb0ES3_N6thrust23THRUST_200600_302600_NS16reverse_iteratorIPKiEESD_NSA_IPiEEiN6hipcub16HIPCUB_304000_NS3MaxENSH_8EqualityEiEE10hipError_tPvRmT2_T3_T4_T5_mT6_T7_P12ihipStream_tbENKUlT_T0_E_clISt17integral_constantIbLb1EES10_EEDaSV_SW_EUlSV_E_NS1_11comp_targetILNS1_3genE2ELNS1_11target_archE906ELNS1_3gpuE6ELNS1_3repE0EEENS1_30default_config_static_selectorELNS0_4arch9wavefront6targetE0EEEvT1_
	.p2align	8
	.type	_ZN7rocprim17ROCPRIM_400000_NS6detail17trampoline_kernelINS0_14default_configENS1_27scan_by_key_config_selectorIiiEEZZNS1_16scan_by_key_implILNS1_25lookback_scan_determinismE0ELb0ES3_N6thrust23THRUST_200600_302600_NS16reverse_iteratorIPKiEESD_NSA_IPiEEiN6hipcub16HIPCUB_304000_NS3MaxENSH_8EqualityEiEE10hipError_tPvRmT2_T3_T4_T5_mT6_T7_P12ihipStream_tbENKUlT_T0_E_clISt17integral_constantIbLb1EES10_EEDaSV_SW_EUlSV_E_NS1_11comp_targetILNS1_3genE2ELNS1_11target_archE906ELNS1_3gpuE6ELNS1_3repE0EEENS1_30default_config_static_selectorELNS0_4arch9wavefront6targetE0EEEvT1_,@function
_ZN7rocprim17ROCPRIM_400000_NS6detail17trampoline_kernelINS0_14default_configENS1_27scan_by_key_config_selectorIiiEEZZNS1_16scan_by_key_implILNS1_25lookback_scan_determinismE0ELb0ES3_N6thrust23THRUST_200600_302600_NS16reverse_iteratorIPKiEESD_NSA_IPiEEiN6hipcub16HIPCUB_304000_NS3MaxENSH_8EqualityEiEE10hipError_tPvRmT2_T3_T4_T5_mT6_T7_P12ihipStream_tbENKUlT_T0_E_clISt17integral_constantIbLb1EES10_EEDaSV_SW_EUlSV_E_NS1_11comp_targetILNS1_3genE2ELNS1_11target_archE906ELNS1_3gpuE6ELNS1_3repE0EEENS1_30default_config_static_selectorELNS0_4arch9wavefront6targetE0EEEvT1_: ; @_ZN7rocprim17ROCPRIM_400000_NS6detail17trampoline_kernelINS0_14default_configENS1_27scan_by_key_config_selectorIiiEEZZNS1_16scan_by_key_implILNS1_25lookback_scan_determinismE0ELb0ES3_N6thrust23THRUST_200600_302600_NS16reverse_iteratorIPKiEESD_NSA_IPiEEiN6hipcub16HIPCUB_304000_NS3MaxENSH_8EqualityEiEE10hipError_tPvRmT2_T3_T4_T5_mT6_T7_P12ihipStream_tbENKUlT_T0_E_clISt17integral_constantIbLb1EES10_EEDaSV_SW_EUlSV_E_NS1_11comp_targetILNS1_3genE2ELNS1_11target_archE906ELNS1_3gpuE6ELNS1_3repE0EEENS1_30default_config_static_selectorELNS0_4arch9wavefront6targetE0EEEvT1_
; %bb.0:
	.section	.rodata,"a",@progbits
	.p2align	6, 0x0
	.amdhsa_kernel _ZN7rocprim17ROCPRIM_400000_NS6detail17trampoline_kernelINS0_14default_configENS1_27scan_by_key_config_selectorIiiEEZZNS1_16scan_by_key_implILNS1_25lookback_scan_determinismE0ELb0ES3_N6thrust23THRUST_200600_302600_NS16reverse_iteratorIPKiEESD_NSA_IPiEEiN6hipcub16HIPCUB_304000_NS3MaxENSH_8EqualityEiEE10hipError_tPvRmT2_T3_T4_T5_mT6_T7_P12ihipStream_tbENKUlT_T0_E_clISt17integral_constantIbLb1EES10_EEDaSV_SW_EUlSV_E_NS1_11comp_targetILNS1_3genE2ELNS1_11target_archE906ELNS1_3gpuE6ELNS1_3repE0EEENS1_30default_config_static_selectorELNS0_4arch9wavefront6targetE0EEEvT1_
		.amdhsa_group_segment_fixed_size 0
		.amdhsa_private_segment_fixed_size 0
		.amdhsa_kernarg_size 112
		.amdhsa_user_sgpr_count 6
		.amdhsa_user_sgpr_private_segment_buffer 1
		.amdhsa_user_sgpr_dispatch_ptr 0
		.amdhsa_user_sgpr_queue_ptr 0
		.amdhsa_user_sgpr_kernarg_segment_ptr 1
		.amdhsa_user_sgpr_dispatch_id 0
		.amdhsa_user_sgpr_flat_scratch_init 0
		.amdhsa_user_sgpr_private_segment_size 0
		.amdhsa_wavefront_size32 1
		.amdhsa_uses_dynamic_stack 0
		.amdhsa_system_sgpr_private_segment_wavefront_offset 0
		.amdhsa_system_sgpr_workgroup_id_x 1
		.amdhsa_system_sgpr_workgroup_id_y 0
		.amdhsa_system_sgpr_workgroup_id_z 0
		.amdhsa_system_sgpr_workgroup_info 0
		.amdhsa_system_vgpr_workitem_id 0
		.amdhsa_next_free_vgpr 1
		.amdhsa_next_free_sgpr 1
		.amdhsa_reserve_vcc 0
		.amdhsa_reserve_flat_scratch 0
		.amdhsa_float_round_mode_32 0
		.amdhsa_float_round_mode_16_64 0
		.amdhsa_float_denorm_mode_32 3
		.amdhsa_float_denorm_mode_16_64 3
		.amdhsa_dx10_clamp 1
		.amdhsa_ieee_mode 1
		.amdhsa_fp16_overflow 0
		.amdhsa_workgroup_processor_mode 1
		.amdhsa_memory_ordered 1
		.amdhsa_forward_progress 1
		.amdhsa_shared_vgpr_count 0
		.amdhsa_exception_fp_ieee_invalid_op 0
		.amdhsa_exception_fp_denorm_src 0
		.amdhsa_exception_fp_ieee_div_zero 0
		.amdhsa_exception_fp_ieee_overflow 0
		.amdhsa_exception_fp_ieee_underflow 0
		.amdhsa_exception_fp_ieee_inexact 0
		.amdhsa_exception_int_div_zero 0
	.end_amdhsa_kernel
	.section	.text._ZN7rocprim17ROCPRIM_400000_NS6detail17trampoline_kernelINS0_14default_configENS1_27scan_by_key_config_selectorIiiEEZZNS1_16scan_by_key_implILNS1_25lookback_scan_determinismE0ELb0ES3_N6thrust23THRUST_200600_302600_NS16reverse_iteratorIPKiEESD_NSA_IPiEEiN6hipcub16HIPCUB_304000_NS3MaxENSH_8EqualityEiEE10hipError_tPvRmT2_T3_T4_T5_mT6_T7_P12ihipStream_tbENKUlT_T0_E_clISt17integral_constantIbLb1EES10_EEDaSV_SW_EUlSV_E_NS1_11comp_targetILNS1_3genE2ELNS1_11target_archE906ELNS1_3gpuE6ELNS1_3repE0EEENS1_30default_config_static_selectorELNS0_4arch9wavefront6targetE0EEEvT1_,"axG",@progbits,_ZN7rocprim17ROCPRIM_400000_NS6detail17trampoline_kernelINS0_14default_configENS1_27scan_by_key_config_selectorIiiEEZZNS1_16scan_by_key_implILNS1_25lookback_scan_determinismE0ELb0ES3_N6thrust23THRUST_200600_302600_NS16reverse_iteratorIPKiEESD_NSA_IPiEEiN6hipcub16HIPCUB_304000_NS3MaxENSH_8EqualityEiEE10hipError_tPvRmT2_T3_T4_T5_mT6_T7_P12ihipStream_tbENKUlT_T0_E_clISt17integral_constantIbLb1EES10_EEDaSV_SW_EUlSV_E_NS1_11comp_targetILNS1_3genE2ELNS1_11target_archE906ELNS1_3gpuE6ELNS1_3repE0EEENS1_30default_config_static_selectorELNS0_4arch9wavefront6targetE0EEEvT1_,comdat
.Lfunc_end68:
	.size	_ZN7rocprim17ROCPRIM_400000_NS6detail17trampoline_kernelINS0_14default_configENS1_27scan_by_key_config_selectorIiiEEZZNS1_16scan_by_key_implILNS1_25lookback_scan_determinismE0ELb0ES3_N6thrust23THRUST_200600_302600_NS16reverse_iteratorIPKiEESD_NSA_IPiEEiN6hipcub16HIPCUB_304000_NS3MaxENSH_8EqualityEiEE10hipError_tPvRmT2_T3_T4_T5_mT6_T7_P12ihipStream_tbENKUlT_T0_E_clISt17integral_constantIbLb1EES10_EEDaSV_SW_EUlSV_E_NS1_11comp_targetILNS1_3genE2ELNS1_11target_archE906ELNS1_3gpuE6ELNS1_3repE0EEENS1_30default_config_static_selectorELNS0_4arch9wavefront6targetE0EEEvT1_, .Lfunc_end68-_ZN7rocprim17ROCPRIM_400000_NS6detail17trampoline_kernelINS0_14default_configENS1_27scan_by_key_config_selectorIiiEEZZNS1_16scan_by_key_implILNS1_25lookback_scan_determinismE0ELb0ES3_N6thrust23THRUST_200600_302600_NS16reverse_iteratorIPKiEESD_NSA_IPiEEiN6hipcub16HIPCUB_304000_NS3MaxENSH_8EqualityEiEE10hipError_tPvRmT2_T3_T4_T5_mT6_T7_P12ihipStream_tbENKUlT_T0_E_clISt17integral_constantIbLb1EES10_EEDaSV_SW_EUlSV_E_NS1_11comp_targetILNS1_3genE2ELNS1_11target_archE906ELNS1_3gpuE6ELNS1_3repE0EEENS1_30default_config_static_selectorELNS0_4arch9wavefront6targetE0EEEvT1_
                                        ; -- End function
	.set _ZN7rocprim17ROCPRIM_400000_NS6detail17trampoline_kernelINS0_14default_configENS1_27scan_by_key_config_selectorIiiEEZZNS1_16scan_by_key_implILNS1_25lookback_scan_determinismE0ELb0ES3_N6thrust23THRUST_200600_302600_NS16reverse_iteratorIPKiEESD_NSA_IPiEEiN6hipcub16HIPCUB_304000_NS3MaxENSH_8EqualityEiEE10hipError_tPvRmT2_T3_T4_T5_mT6_T7_P12ihipStream_tbENKUlT_T0_E_clISt17integral_constantIbLb1EES10_EEDaSV_SW_EUlSV_E_NS1_11comp_targetILNS1_3genE2ELNS1_11target_archE906ELNS1_3gpuE6ELNS1_3repE0EEENS1_30default_config_static_selectorELNS0_4arch9wavefront6targetE0EEEvT1_.num_vgpr, 0
	.set _ZN7rocprim17ROCPRIM_400000_NS6detail17trampoline_kernelINS0_14default_configENS1_27scan_by_key_config_selectorIiiEEZZNS1_16scan_by_key_implILNS1_25lookback_scan_determinismE0ELb0ES3_N6thrust23THRUST_200600_302600_NS16reverse_iteratorIPKiEESD_NSA_IPiEEiN6hipcub16HIPCUB_304000_NS3MaxENSH_8EqualityEiEE10hipError_tPvRmT2_T3_T4_T5_mT6_T7_P12ihipStream_tbENKUlT_T0_E_clISt17integral_constantIbLb1EES10_EEDaSV_SW_EUlSV_E_NS1_11comp_targetILNS1_3genE2ELNS1_11target_archE906ELNS1_3gpuE6ELNS1_3repE0EEENS1_30default_config_static_selectorELNS0_4arch9wavefront6targetE0EEEvT1_.num_agpr, 0
	.set _ZN7rocprim17ROCPRIM_400000_NS6detail17trampoline_kernelINS0_14default_configENS1_27scan_by_key_config_selectorIiiEEZZNS1_16scan_by_key_implILNS1_25lookback_scan_determinismE0ELb0ES3_N6thrust23THRUST_200600_302600_NS16reverse_iteratorIPKiEESD_NSA_IPiEEiN6hipcub16HIPCUB_304000_NS3MaxENSH_8EqualityEiEE10hipError_tPvRmT2_T3_T4_T5_mT6_T7_P12ihipStream_tbENKUlT_T0_E_clISt17integral_constantIbLb1EES10_EEDaSV_SW_EUlSV_E_NS1_11comp_targetILNS1_3genE2ELNS1_11target_archE906ELNS1_3gpuE6ELNS1_3repE0EEENS1_30default_config_static_selectorELNS0_4arch9wavefront6targetE0EEEvT1_.numbered_sgpr, 0
	.set _ZN7rocprim17ROCPRIM_400000_NS6detail17trampoline_kernelINS0_14default_configENS1_27scan_by_key_config_selectorIiiEEZZNS1_16scan_by_key_implILNS1_25lookback_scan_determinismE0ELb0ES3_N6thrust23THRUST_200600_302600_NS16reverse_iteratorIPKiEESD_NSA_IPiEEiN6hipcub16HIPCUB_304000_NS3MaxENSH_8EqualityEiEE10hipError_tPvRmT2_T3_T4_T5_mT6_T7_P12ihipStream_tbENKUlT_T0_E_clISt17integral_constantIbLb1EES10_EEDaSV_SW_EUlSV_E_NS1_11comp_targetILNS1_3genE2ELNS1_11target_archE906ELNS1_3gpuE6ELNS1_3repE0EEENS1_30default_config_static_selectorELNS0_4arch9wavefront6targetE0EEEvT1_.num_named_barrier, 0
	.set _ZN7rocprim17ROCPRIM_400000_NS6detail17trampoline_kernelINS0_14default_configENS1_27scan_by_key_config_selectorIiiEEZZNS1_16scan_by_key_implILNS1_25lookback_scan_determinismE0ELb0ES3_N6thrust23THRUST_200600_302600_NS16reverse_iteratorIPKiEESD_NSA_IPiEEiN6hipcub16HIPCUB_304000_NS3MaxENSH_8EqualityEiEE10hipError_tPvRmT2_T3_T4_T5_mT6_T7_P12ihipStream_tbENKUlT_T0_E_clISt17integral_constantIbLb1EES10_EEDaSV_SW_EUlSV_E_NS1_11comp_targetILNS1_3genE2ELNS1_11target_archE906ELNS1_3gpuE6ELNS1_3repE0EEENS1_30default_config_static_selectorELNS0_4arch9wavefront6targetE0EEEvT1_.private_seg_size, 0
	.set _ZN7rocprim17ROCPRIM_400000_NS6detail17trampoline_kernelINS0_14default_configENS1_27scan_by_key_config_selectorIiiEEZZNS1_16scan_by_key_implILNS1_25lookback_scan_determinismE0ELb0ES3_N6thrust23THRUST_200600_302600_NS16reverse_iteratorIPKiEESD_NSA_IPiEEiN6hipcub16HIPCUB_304000_NS3MaxENSH_8EqualityEiEE10hipError_tPvRmT2_T3_T4_T5_mT6_T7_P12ihipStream_tbENKUlT_T0_E_clISt17integral_constantIbLb1EES10_EEDaSV_SW_EUlSV_E_NS1_11comp_targetILNS1_3genE2ELNS1_11target_archE906ELNS1_3gpuE6ELNS1_3repE0EEENS1_30default_config_static_selectorELNS0_4arch9wavefront6targetE0EEEvT1_.uses_vcc, 0
	.set _ZN7rocprim17ROCPRIM_400000_NS6detail17trampoline_kernelINS0_14default_configENS1_27scan_by_key_config_selectorIiiEEZZNS1_16scan_by_key_implILNS1_25lookback_scan_determinismE0ELb0ES3_N6thrust23THRUST_200600_302600_NS16reverse_iteratorIPKiEESD_NSA_IPiEEiN6hipcub16HIPCUB_304000_NS3MaxENSH_8EqualityEiEE10hipError_tPvRmT2_T3_T4_T5_mT6_T7_P12ihipStream_tbENKUlT_T0_E_clISt17integral_constantIbLb1EES10_EEDaSV_SW_EUlSV_E_NS1_11comp_targetILNS1_3genE2ELNS1_11target_archE906ELNS1_3gpuE6ELNS1_3repE0EEENS1_30default_config_static_selectorELNS0_4arch9wavefront6targetE0EEEvT1_.uses_flat_scratch, 0
	.set _ZN7rocprim17ROCPRIM_400000_NS6detail17trampoline_kernelINS0_14default_configENS1_27scan_by_key_config_selectorIiiEEZZNS1_16scan_by_key_implILNS1_25lookback_scan_determinismE0ELb0ES3_N6thrust23THRUST_200600_302600_NS16reverse_iteratorIPKiEESD_NSA_IPiEEiN6hipcub16HIPCUB_304000_NS3MaxENSH_8EqualityEiEE10hipError_tPvRmT2_T3_T4_T5_mT6_T7_P12ihipStream_tbENKUlT_T0_E_clISt17integral_constantIbLb1EES10_EEDaSV_SW_EUlSV_E_NS1_11comp_targetILNS1_3genE2ELNS1_11target_archE906ELNS1_3gpuE6ELNS1_3repE0EEENS1_30default_config_static_selectorELNS0_4arch9wavefront6targetE0EEEvT1_.has_dyn_sized_stack, 0
	.set _ZN7rocprim17ROCPRIM_400000_NS6detail17trampoline_kernelINS0_14default_configENS1_27scan_by_key_config_selectorIiiEEZZNS1_16scan_by_key_implILNS1_25lookback_scan_determinismE0ELb0ES3_N6thrust23THRUST_200600_302600_NS16reverse_iteratorIPKiEESD_NSA_IPiEEiN6hipcub16HIPCUB_304000_NS3MaxENSH_8EqualityEiEE10hipError_tPvRmT2_T3_T4_T5_mT6_T7_P12ihipStream_tbENKUlT_T0_E_clISt17integral_constantIbLb1EES10_EEDaSV_SW_EUlSV_E_NS1_11comp_targetILNS1_3genE2ELNS1_11target_archE906ELNS1_3gpuE6ELNS1_3repE0EEENS1_30default_config_static_selectorELNS0_4arch9wavefront6targetE0EEEvT1_.has_recursion, 0
	.set _ZN7rocprim17ROCPRIM_400000_NS6detail17trampoline_kernelINS0_14default_configENS1_27scan_by_key_config_selectorIiiEEZZNS1_16scan_by_key_implILNS1_25lookback_scan_determinismE0ELb0ES3_N6thrust23THRUST_200600_302600_NS16reverse_iteratorIPKiEESD_NSA_IPiEEiN6hipcub16HIPCUB_304000_NS3MaxENSH_8EqualityEiEE10hipError_tPvRmT2_T3_T4_T5_mT6_T7_P12ihipStream_tbENKUlT_T0_E_clISt17integral_constantIbLb1EES10_EEDaSV_SW_EUlSV_E_NS1_11comp_targetILNS1_3genE2ELNS1_11target_archE906ELNS1_3gpuE6ELNS1_3repE0EEENS1_30default_config_static_selectorELNS0_4arch9wavefront6targetE0EEEvT1_.has_indirect_call, 0
	.section	.AMDGPU.csdata,"",@progbits
; Kernel info:
; codeLenInByte = 0
; TotalNumSgprs: 0
; NumVgprs: 0
; ScratchSize: 0
; MemoryBound: 0
; FloatMode: 240
; IeeeMode: 1
; LDSByteSize: 0 bytes/workgroup (compile time only)
; SGPRBlocks: 0
; VGPRBlocks: 0
; NumSGPRsForWavesPerEU: 1
; NumVGPRsForWavesPerEU: 1
; Occupancy: 16
; WaveLimiterHint : 0
; COMPUTE_PGM_RSRC2:SCRATCH_EN: 0
; COMPUTE_PGM_RSRC2:USER_SGPR: 6
; COMPUTE_PGM_RSRC2:TRAP_HANDLER: 0
; COMPUTE_PGM_RSRC2:TGID_X_EN: 1
; COMPUTE_PGM_RSRC2:TGID_Y_EN: 0
; COMPUTE_PGM_RSRC2:TGID_Z_EN: 0
; COMPUTE_PGM_RSRC2:TIDIG_COMP_CNT: 0
	.section	.text._ZN7rocprim17ROCPRIM_400000_NS6detail17trampoline_kernelINS0_14default_configENS1_27scan_by_key_config_selectorIiiEEZZNS1_16scan_by_key_implILNS1_25lookback_scan_determinismE0ELb0ES3_N6thrust23THRUST_200600_302600_NS16reverse_iteratorIPKiEESD_NSA_IPiEEiN6hipcub16HIPCUB_304000_NS3MaxENSH_8EqualityEiEE10hipError_tPvRmT2_T3_T4_T5_mT6_T7_P12ihipStream_tbENKUlT_T0_E_clISt17integral_constantIbLb1EES10_EEDaSV_SW_EUlSV_E_NS1_11comp_targetILNS1_3genE10ELNS1_11target_archE1200ELNS1_3gpuE4ELNS1_3repE0EEENS1_30default_config_static_selectorELNS0_4arch9wavefront6targetE0EEEvT1_,"axG",@progbits,_ZN7rocprim17ROCPRIM_400000_NS6detail17trampoline_kernelINS0_14default_configENS1_27scan_by_key_config_selectorIiiEEZZNS1_16scan_by_key_implILNS1_25lookback_scan_determinismE0ELb0ES3_N6thrust23THRUST_200600_302600_NS16reverse_iteratorIPKiEESD_NSA_IPiEEiN6hipcub16HIPCUB_304000_NS3MaxENSH_8EqualityEiEE10hipError_tPvRmT2_T3_T4_T5_mT6_T7_P12ihipStream_tbENKUlT_T0_E_clISt17integral_constantIbLb1EES10_EEDaSV_SW_EUlSV_E_NS1_11comp_targetILNS1_3genE10ELNS1_11target_archE1200ELNS1_3gpuE4ELNS1_3repE0EEENS1_30default_config_static_selectorELNS0_4arch9wavefront6targetE0EEEvT1_,comdat
	.protected	_ZN7rocprim17ROCPRIM_400000_NS6detail17trampoline_kernelINS0_14default_configENS1_27scan_by_key_config_selectorIiiEEZZNS1_16scan_by_key_implILNS1_25lookback_scan_determinismE0ELb0ES3_N6thrust23THRUST_200600_302600_NS16reverse_iteratorIPKiEESD_NSA_IPiEEiN6hipcub16HIPCUB_304000_NS3MaxENSH_8EqualityEiEE10hipError_tPvRmT2_T3_T4_T5_mT6_T7_P12ihipStream_tbENKUlT_T0_E_clISt17integral_constantIbLb1EES10_EEDaSV_SW_EUlSV_E_NS1_11comp_targetILNS1_3genE10ELNS1_11target_archE1200ELNS1_3gpuE4ELNS1_3repE0EEENS1_30default_config_static_selectorELNS0_4arch9wavefront6targetE0EEEvT1_ ; -- Begin function _ZN7rocprim17ROCPRIM_400000_NS6detail17trampoline_kernelINS0_14default_configENS1_27scan_by_key_config_selectorIiiEEZZNS1_16scan_by_key_implILNS1_25lookback_scan_determinismE0ELb0ES3_N6thrust23THRUST_200600_302600_NS16reverse_iteratorIPKiEESD_NSA_IPiEEiN6hipcub16HIPCUB_304000_NS3MaxENSH_8EqualityEiEE10hipError_tPvRmT2_T3_T4_T5_mT6_T7_P12ihipStream_tbENKUlT_T0_E_clISt17integral_constantIbLb1EES10_EEDaSV_SW_EUlSV_E_NS1_11comp_targetILNS1_3genE10ELNS1_11target_archE1200ELNS1_3gpuE4ELNS1_3repE0EEENS1_30default_config_static_selectorELNS0_4arch9wavefront6targetE0EEEvT1_
	.globl	_ZN7rocprim17ROCPRIM_400000_NS6detail17trampoline_kernelINS0_14default_configENS1_27scan_by_key_config_selectorIiiEEZZNS1_16scan_by_key_implILNS1_25lookback_scan_determinismE0ELb0ES3_N6thrust23THRUST_200600_302600_NS16reverse_iteratorIPKiEESD_NSA_IPiEEiN6hipcub16HIPCUB_304000_NS3MaxENSH_8EqualityEiEE10hipError_tPvRmT2_T3_T4_T5_mT6_T7_P12ihipStream_tbENKUlT_T0_E_clISt17integral_constantIbLb1EES10_EEDaSV_SW_EUlSV_E_NS1_11comp_targetILNS1_3genE10ELNS1_11target_archE1200ELNS1_3gpuE4ELNS1_3repE0EEENS1_30default_config_static_selectorELNS0_4arch9wavefront6targetE0EEEvT1_
	.p2align	8
	.type	_ZN7rocprim17ROCPRIM_400000_NS6detail17trampoline_kernelINS0_14default_configENS1_27scan_by_key_config_selectorIiiEEZZNS1_16scan_by_key_implILNS1_25lookback_scan_determinismE0ELb0ES3_N6thrust23THRUST_200600_302600_NS16reverse_iteratorIPKiEESD_NSA_IPiEEiN6hipcub16HIPCUB_304000_NS3MaxENSH_8EqualityEiEE10hipError_tPvRmT2_T3_T4_T5_mT6_T7_P12ihipStream_tbENKUlT_T0_E_clISt17integral_constantIbLb1EES10_EEDaSV_SW_EUlSV_E_NS1_11comp_targetILNS1_3genE10ELNS1_11target_archE1200ELNS1_3gpuE4ELNS1_3repE0EEENS1_30default_config_static_selectorELNS0_4arch9wavefront6targetE0EEEvT1_,@function
_ZN7rocprim17ROCPRIM_400000_NS6detail17trampoline_kernelINS0_14default_configENS1_27scan_by_key_config_selectorIiiEEZZNS1_16scan_by_key_implILNS1_25lookback_scan_determinismE0ELb0ES3_N6thrust23THRUST_200600_302600_NS16reverse_iteratorIPKiEESD_NSA_IPiEEiN6hipcub16HIPCUB_304000_NS3MaxENSH_8EqualityEiEE10hipError_tPvRmT2_T3_T4_T5_mT6_T7_P12ihipStream_tbENKUlT_T0_E_clISt17integral_constantIbLb1EES10_EEDaSV_SW_EUlSV_E_NS1_11comp_targetILNS1_3genE10ELNS1_11target_archE1200ELNS1_3gpuE4ELNS1_3repE0EEENS1_30default_config_static_selectorELNS0_4arch9wavefront6targetE0EEEvT1_: ; @_ZN7rocprim17ROCPRIM_400000_NS6detail17trampoline_kernelINS0_14default_configENS1_27scan_by_key_config_selectorIiiEEZZNS1_16scan_by_key_implILNS1_25lookback_scan_determinismE0ELb0ES3_N6thrust23THRUST_200600_302600_NS16reverse_iteratorIPKiEESD_NSA_IPiEEiN6hipcub16HIPCUB_304000_NS3MaxENSH_8EqualityEiEE10hipError_tPvRmT2_T3_T4_T5_mT6_T7_P12ihipStream_tbENKUlT_T0_E_clISt17integral_constantIbLb1EES10_EEDaSV_SW_EUlSV_E_NS1_11comp_targetILNS1_3genE10ELNS1_11target_archE1200ELNS1_3gpuE4ELNS1_3repE0EEENS1_30default_config_static_selectorELNS0_4arch9wavefront6targetE0EEEvT1_
; %bb.0:
	.section	.rodata,"a",@progbits
	.p2align	6, 0x0
	.amdhsa_kernel _ZN7rocprim17ROCPRIM_400000_NS6detail17trampoline_kernelINS0_14default_configENS1_27scan_by_key_config_selectorIiiEEZZNS1_16scan_by_key_implILNS1_25lookback_scan_determinismE0ELb0ES3_N6thrust23THRUST_200600_302600_NS16reverse_iteratorIPKiEESD_NSA_IPiEEiN6hipcub16HIPCUB_304000_NS3MaxENSH_8EqualityEiEE10hipError_tPvRmT2_T3_T4_T5_mT6_T7_P12ihipStream_tbENKUlT_T0_E_clISt17integral_constantIbLb1EES10_EEDaSV_SW_EUlSV_E_NS1_11comp_targetILNS1_3genE10ELNS1_11target_archE1200ELNS1_3gpuE4ELNS1_3repE0EEENS1_30default_config_static_selectorELNS0_4arch9wavefront6targetE0EEEvT1_
		.amdhsa_group_segment_fixed_size 0
		.amdhsa_private_segment_fixed_size 0
		.amdhsa_kernarg_size 112
		.amdhsa_user_sgpr_count 6
		.amdhsa_user_sgpr_private_segment_buffer 1
		.amdhsa_user_sgpr_dispatch_ptr 0
		.amdhsa_user_sgpr_queue_ptr 0
		.amdhsa_user_sgpr_kernarg_segment_ptr 1
		.amdhsa_user_sgpr_dispatch_id 0
		.amdhsa_user_sgpr_flat_scratch_init 0
		.amdhsa_user_sgpr_private_segment_size 0
		.amdhsa_wavefront_size32 1
		.amdhsa_uses_dynamic_stack 0
		.amdhsa_system_sgpr_private_segment_wavefront_offset 0
		.amdhsa_system_sgpr_workgroup_id_x 1
		.amdhsa_system_sgpr_workgroup_id_y 0
		.amdhsa_system_sgpr_workgroup_id_z 0
		.amdhsa_system_sgpr_workgroup_info 0
		.amdhsa_system_vgpr_workitem_id 0
		.amdhsa_next_free_vgpr 1
		.amdhsa_next_free_sgpr 1
		.amdhsa_reserve_vcc 0
		.amdhsa_reserve_flat_scratch 0
		.amdhsa_float_round_mode_32 0
		.amdhsa_float_round_mode_16_64 0
		.amdhsa_float_denorm_mode_32 3
		.amdhsa_float_denorm_mode_16_64 3
		.amdhsa_dx10_clamp 1
		.amdhsa_ieee_mode 1
		.amdhsa_fp16_overflow 0
		.amdhsa_workgroup_processor_mode 1
		.amdhsa_memory_ordered 1
		.amdhsa_forward_progress 1
		.amdhsa_shared_vgpr_count 0
		.amdhsa_exception_fp_ieee_invalid_op 0
		.amdhsa_exception_fp_denorm_src 0
		.amdhsa_exception_fp_ieee_div_zero 0
		.amdhsa_exception_fp_ieee_overflow 0
		.amdhsa_exception_fp_ieee_underflow 0
		.amdhsa_exception_fp_ieee_inexact 0
		.amdhsa_exception_int_div_zero 0
	.end_amdhsa_kernel
	.section	.text._ZN7rocprim17ROCPRIM_400000_NS6detail17trampoline_kernelINS0_14default_configENS1_27scan_by_key_config_selectorIiiEEZZNS1_16scan_by_key_implILNS1_25lookback_scan_determinismE0ELb0ES3_N6thrust23THRUST_200600_302600_NS16reverse_iteratorIPKiEESD_NSA_IPiEEiN6hipcub16HIPCUB_304000_NS3MaxENSH_8EqualityEiEE10hipError_tPvRmT2_T3_T4_T5_mT6_T7_P12ihipStream_tbENKUlT_T0_E_clISt17integral_constantIbLb1EES10_EEDaSV_SW_EUlSV_E_NS1_11comp_targetILNS1_3genE10ELNS1_11target_archE1200ELNS1_3gpuE4ELNS1_3repE0EEENS1_30default_config_static_selectorELNS0_4arch9wavefront6targetE0EEEvT1_,"axG",@progbits,_ZN7rocprim17ROCPRIM_400000_NS6detail17trampoline_kernelINS0_14default_configENS1_27scan_by_key_config_selectorIiiEEZZNS1_16scan_by_key_implILNS1_25lookback_scan_determinismE0ELb0ES3_N6thrust23THRUST_200600_302600_NS16reverse_iteratorIPKiEESD_NSA_IPiEEiN6hipcub16HIPCUB_304000_NS3MaxENSH_8EqualityEiEE10hipError_tPvRmT2_T3_T4_T5_mT6_T7_P12ihipStream_tbENKUlT_T0_E_clISt17integral_constantIbLb1EES10_EEDaSV_SW_EUlSV_E_NS1_11comp_targetILNS1_3genE10ELNS1_11target_archE1200ELNS1_3gpuE4ELNS1_3repE0EEENS1_30default_config_static_selectorELNS0_4arch9wavefront6targetE0EEEvT1_,comdat
.Lfunc_end69:
	.size	_ZN7rocprim17ROCPRIM_400000_NS6detail17trampoline_kernelINS0_14default_configENS1_27scan_by_key_config_selectorIiiEEZZNS1_16scan_by_key_implILNS1_25lookback_scan_determinismE0ELb0ES3_N6thrust23THRUST_200600_302600_NS16reverse_iteratorIPKiEESD_NSA_IPiEEiN6hipcub16HIPCUB_304000_NS3MaxENSH_8EqualityEiEE10hipError_tPvRmT2_T3_T4_T5_mT6_T7_P12ihipStream_tbENKUlT_T0_E_clISt17integral_constantIbLb1EES10_EEDaSV_SW_EUlSV_E_NS1_11comp_targetILNS1_3genE10ELNS1_11target_archE1200ELNS1_3gpuE4ELNS1_3repE0EEENS1_30default_config_static_selectorELNS0_4arch9wavefront6targetE0EEEvT1_, .Lfunc_end69-_ZN7rocprim17ROCPRIM_400000_NS6detail17trampoline_kernelINS0_14default_configENS1_27scan_by_key_config_selectorIiiEEZZNS1_16scan_by_key_implILNS1_25lookback_scan_determinismE0ELb0ES3_N6thrust23THRUST_200600_302600_NS16reverse_iteratorIPKiEESD_NSA_IPiEEiN6hipcub16HIPCUB_304000_NS3MaxENSH_8EqualityEiEE10hipError_tPvRmT2_T3_T4_T5_mT6_T7_P12ihipStream_tbENKUlT_T0_E_clISt17integral_constantIbLb1EES10_EEDaSV_SW_EUlSV_E_NS1_11comp_targetILNS1_3genE10ELNS1_11target_archE1200ELNS1_3gpuE4ELNS1_3repE0EEENS1_30default_config_static_selectorELNS0_4arch9wavefront6targetE0EEEvT1_
                                        ; -- End function
	.set _ZN7rocprim17ROCPRIM_400000_NS6detail17trampoline_kernelINS0_14default_configENS1_27scan_by_key_config_selectorIiiEEZZNS1_16scan_by_key_implILNS1_25lookback_scan_determinismE0ELb0ES3_N6thrust23THRUST_200600_302600_NS16reverse_iteratorIPKiEESD_NSA_IPiEEiN6hipcub16HIPCUB_304000_NS3MaxENSH_8EqualityEiEE10hipError_tPvRmT2_T3_T4_T5_mT6_T7_P12ihipStream_tbENKUlT_T0_E_clISt17integral_constantIbLb1EES10_EEDaSV_SW_EUlSV_E_NS1_11comp_targetILNS1_3genE10ELNS1_11target_archE1200ELNS1_3gpuE4ELNS1_3repE0EEENS1_30default_config_static_selectorELNS0_4arch9wavefront6targetE0EEEvT1_.num_vgpr, 0
	.set _ZN7rocprim17ROCPRIM_400000_NS6detail17trampoline_kernelINS0_14default_configENS1_27scan_by_key_config_selectorIiiEEZZNS1_16scan_by_key_implILNS1_25lookback_scan_determinismE0ELb0ES3_N6thrust23THRUST_200600_302600_NS16reverse_iteratorIPKiEESD_NSA_IPiEEiN6hipcub16HIPCUB_304000_NS3MaxENSH_8EqualityEiEE10hipError_tPvRmT2_T3_T4_T5_mT6_T7_P12ihipStream_tbENKUlT_T0_E_clISt17integral_constantIbLb1EES10_EEDaSV_SW_EUlSV_E_NS1_11comp_targetILNS1_3genE10ELNS1_11target_archE1200ELNS1_3gpuE4ELNS1_3repE0EEENS1_30default_config_static_selectorELNS0_4arch9wavefront6targetE0EEEvT1_.num_agpr, 0
	.set _ZN7rocprim17ROCPRIM_400000_NS6detail17trampoline_kernelINS0_14default_configENS1_27scan_by_key_config_selectorIiiEEZZNS1_16scan_by_key_implILNS1_25lookback_scan_determinismE0ELb0ES3_N6thrust23THRUST_200600_302600_NS16reverse_iteratorIPKiEESD_NSA_IPiEEiN6hipcub16HIPCUB_304000_NS3MaxENSH_8EqualityEiEE10hipError_tPvRmT2_T3_T4_T5_mT6_T7_P12ihipStream_tbENKUlT_T0_E_clISt17integral_constantIbLb1EES10_EEDaSV_SW_EUlSV_E_NS1_11comp_targetILNS1_3genE10ELNS1_11target_archE1200ELNS1_3gpuE4ELNS1_3repE0EEENS1_30default_config_static_selectorELNS0_4arch9wavefront6targetE0EEEvT1_.numbered_sgpr, 0
	.set _ZN7rocprim17ROCPRIM_400000_NS6detail17trampoline_kernelINS0_14default_configENS1_27scan_by_key_config_selectorIiiEEZZNS1_16scan_by_key_implILNS1_25lookback_scan_determinismE0ELb0ES3_N6thrust23THRUST_200600_302600_NS16reverse_iteratorIPKiEESD_NSA_IPiEEiN6hipcub16HIPCUB_304000_NS3MaxENSH_8EqualityEiEE10hipError_tPvRmT2_T3_T4_T5_mT6_T7_P12ihipStream_tbENKUlT_T0_E_clISt17integral_constantIbLb1EES10_EEDaSV_SW_EUlSV_E_NS1_11comp_targetILNS1_3genE10ELNS1_11target_archE1200ELNS1_3gpuE4ELNS1_3repE0EEENS1_30default_config_static_selectorELNS0_4arch9wavefront6targetE0EEEvT1_.num_named_barrier, 0
	.set _ZN7rocprim17ROCPRIM_400000_NS6detail17trampoline_kernelINS0_14default_configENS1_27scan_by_key_config_selectorIiiEEZZNS1_16scan_by_key_implILNS1_25lookback_scan_determinismE0ELb0ES3_N6thrust23THRUST_200600_302600_NS16reverse_iteratorIPKiEESD_NSA_IPiEEiN6hipcub16HIPCUB_304000_NS3MaxENSH_8EqualityEiEE10hipError_tPvRmT2_T3_T4_T5_mT6_T7_P12ihipStream_tbENKUlT_T0_E_clISt17integral_constantIbLb1EES10_EEDaSV_SW_EUlSV_E_NS1_11comp_targetILNS1_3genE10ELNS1_11target_archE1200ELNS1_3gpuE4ELNS1_3repE0EEENS1_30default_config_static_selectorELNS0_4arch9wavefront6targetE0EEEvT1_.private_seg_size, 0
	.set _ZN7rocprim17ROCPRIM_400000_NS6detail17trampoline_kernelINS0_14default_configENS1_27scan_by_key_config_selectorIiiEEZZNS1_16scan_by_key_implILNS1_25lookback_scan_determinismE0ELb0ES3_N6thrust23THRUST_200600_302600_NS16reverse_iteratorIPKiEESD_NSA_IPiEEiN6hipcub16HIPCUB_304000_NS3MaxENSH_8EqualityEiEE10hipError_tPvRmT2_T3_T4_T5_mT6_T7_P12ihipStream_tbENKUlT_T0_E_clISt17integral_constantIbLb1EES10_EEDaSV_SW_EUlSV_E_NS1_11comp_targetILNS1_3genE10ELNS1_11target_archE1200ELNS1_3gpuE4ELNS1_3repE0EEENS1_30default_config_static_selectorELNS0_4arch9wavefront6targetE0EEEvT1_.uses_vcc, 0
	.set _ZN7rocprim17ROCPRIM_400000_NS6detail17trampoline_kernelINS0_14default_configENS1_27scan_by_key_config_selectorIiiEEZZNS1_16scan_by_key_implILNS1_25lookback_scan_determinismE0ELb0ES3_N6thrust23THRUST_200600_302600_NS16reverse_iteratorIPKiEESD_NSA_IPiEEiN6hipcub16HIPCUB_304000_NS3MaxENSH_8EqualityEiEE10hipError_tPvRmT2_T3_T4_T5_mT6_T7_P12ihipStream_tbENKUlT_T0_E_clISt17integral_constantIbLb1EES10_EEDaSV_SW_EUlSV_E_NS1_11comp_targetILNS1_3genE10ELNS1_11target_archE1200ELNS1_3gpuE4ELNS1_3repE0EEENS1_30default_config_static_selectorELNS0_4arch9wavefront6targetE0EEEvT1_.uses_flat_scratch, 0
	.set _ZN7rocprim17ROCPRIM_400000_NS6detail17trampoline_kernelINS0_14default_configENS1_27scan_by_key_config_selectorIiiEEZZNS1_16scan_by_key_implILNS1_25lookback_scan_determinismE0ELb0ES3_N6thrust23THRUST_200600_302600_NS16reverse_iteratorIPKiEESD_NSA_IPiEEiN6hipcub16HIPCUB_304000_NS3MaxENSH_8EqualityEiEE10hipError_tPvRmT2_T3_T4_T5_mT6_T7_P12ihipStream_tbENKUlT_T0_E_clISt17integral_constantIbLb1EES10_EEDaSV_SW_EUlSV_E_NS1_11comp_targetILNS1_3genE10ELNS1_11target_archE1200ELNS1_3gpuE4ELNS1_3repE0EEENS1_30default_config_static_selectorELNS0_4arch9wavefront6targetE0EEEvT1_.has_dyn_sized_stack, 0
	.set _ZN7rocprim17ROCPRIM_400000_NS6detail17trampoline_kernelINS0_14default_configENS1_27scan_by_key_config_selectorIiiEEZZNS1_16scan_by_key_implILNS1_25lookback_scan_determinismE0ELb0ES3_N6thrust23THRUST_200600_302600_NS16reverse_iteratorIPKiEESD_NSA_IPiEEiN6hipcub16HIPCUB_304000_NS3MaxENSH_8EqualityEiEE10hipError_tPvRmT2_T3_T4_T5_mT6_T7_P12ihipStream_tbENKUlT_T0_E_clISt17integral_constantIbLb1EES10_EEDaSV_SW_EUlSV_E_NS1_11comp_targetILNS1_3genE10ELNS1_11target_archE1200ELNS1_3gpuE4ELNS1_3repE0EEENS1_30default_config_static_selectorELNS0_4arch9wavefront6targetE0EEEvT1_.has_recursion, 0
	.set _ZN7rocprim17ROCPRIM_400000_NS6detail17trampoline_kernelINS0_14default_configENS1_27scan_by_key_config_selectorIiiEEZZNS1_16scan_by_key_implILNS1_25lookback_scan_determinismE0ELb0ES3_N6thrust23THRUST_200600_302600_NS16reverse_iteratorIPKiEESD_NSA_IPiEEiN6hipcub16HIPCUB_304000_NS3MaxENSH_8EqualityEiEE10hipError_tPvRmT2_T3_T4_T5_mT6_T7_P12ihipStream_tbENKUlT_T0_E_clISt17integral_constantIbLb1EES10_EEDaSV_SW_EUlSV_E_NS1_11comp_targetILNS1_3genE10ELNS1_11target_archE1200ELNS1_3gpuE4ELNS1_3repE0EEENS1_30default_config_static_selectorELNS0_4arch9wavefront6targetE0EEEvT1_.has_indirect_call, 0
	.section	.AMDGPU.csdata,"",@progbits
; Kernel info:
; codeLenInByte = 0
; TotalNumSgprs: 0
; NumVgprs: 0
; ScratchSize: 0
; MemoryBound: 0
; FloatMode: 240
; IeeeMode: 1
; LDSByteSize: 0 bytes/workgroup (compile time only)
; SGPRBlocks: 0
; VGPRBlocks: 0
; NumSGPRsForWavesPerEU: 1
; NumVGPRsForWavesPerEU: 1
; Occupancy: 16
; WaveLimiterHint : 0
; COMPUTE_PGM_RSRC2:SCRATCH_EN: 0
; COMPUTE_PGM_RSRC2:USER_SGPR: 6
; COMPUTE_PGM_RSRC2:TRAP_HANDLER: 0
; COMPUTE_PGM_RSRC2:TGID_X_EN: 1
; COMPUTE_PGM_RSRC2:TGID_Y_EN: 0
; COMPUTE_PGM_RSRC2:TGID_Z_EN: 0
; COMPUTE_PGM_RSRC2:TIDIG_COMP_CNT: 0
	.section	.text._ZN7rocprim17ROCPRIM_400000_NS6detail17trampoline_kernelINS0_14default_configENS1_27scan_by_key_config_selectorIiiEEZZNS1_16scan_by_key_implILNS1_25lookback_scan_determinismE0ELb0ES3_N6thrust23THRUST_200600_302600_NS16reverse_iteratorIPKiEESD_NSA_IPiEEiN6hipcub16HIPCUB_304000_NS3MaxENSH_8EqualityEiEE10hipError_tPvRmT2_T3_T4_T5_mT6_T7_P12ihipStream_tbENKUlT_T0_E_clISt17integral_constantIbLb1EES10_EEDaSV_SW_EUlSV_E_NS1_11comp_targetILNS1_3genE9ELNS1_11target_archE1100ELNS1_3gpuE3ELNS1_3repE0EEENS1_30default_config_static_selectorELNS0_4arch9wavefront6targetE0EEEvT1_,"axG",@progbits,_ZN7rocprim17ROCPRIM_400000_NS6detail17trampoline_kernelINS0_14default_configENS1_27scan_by_key_config_selectorIiiEEZZNS1_16scan_by_key_implILNS1_25lookback_scan_determinismE0ELb0ES3_N6thrust23THRUST_200600_302600_NS16reverse_iteratorIPKiEESD_NSA_IPiEEiN6hipcub16HIPCUB_304000_NS3MaxENSH_8EqualityEiEE10hipError_tPvRmT2_T3_T4_T5_mT6_T7_P12ihipStream_tbENKUlT_T0_E_clISt17integral_constantIbLb1EES10_EEDaSV_SW_EUlSV_E_NS1_11comp_targetILNS1_3genE9ELNS1_11target_archE1100ELNS1_3gpuE3ELNS1_3repE0EEENS1_30default_config_static_selectorELNS0_4arch9wavefront6targetE0EEEvT1_,comdat
	.protected	_ZN7rocprim17ROCPRIM_400000_NS6detail17trampoline_kernelINS0_14default_configENS1_27scan_by_key_config_selectorIiiEEZZNS1_16scan_by_key_implILNS1_25lookback_scan_determinismE0ELb0ES3_N6thrust23THRUST_200600_302600_NS16reverse_iteratorIPKiEESD_NSA_IPiEEiN6hipcub16HIPCUB_304000_NS3MaxENSH_8EqualityEiEE10hipError_tPvRmT2_T3_T4_T5_mT6_T7_P12ihipStream_tbENKUlT_T0_E_clISt17integral_constantIbLb1EES10_EEDaSV_SW_EUlSV_E_NS1_11comp_targetILNS1_3genE9ELNS1_11target_archE1100ELNS1_3gpuE3ELNS1_3repE0EEENS1_30default_config_static_selectorELNS0_4arch9wavefront6targetE0EEEvT1_ ; -- Begin function _ZN7rocprim17ROCPRIM_400000_NS6detail17trampoline_kernelINS0_14default_configENS1_27scan_by_key_config_selectorIiiEEZZNS1_16scan_by_key_implILNS1_25lookback_scan_determinismE0ELb0ES3_N6thrust23THRUST_200600_302600_NS16reverse_iteratorIPKiEESD_NSA_IPiEEiN6hipcub16HIPCUB_304000_NS3MaxENSH_8EqualityEiEE10hipError_tPvRmT2_T3_T4_T5_mT6_T7_P12ihipStream_tbENKUlT_T0_E_clISt17integral_constantIbLb1EES10_EEDaSV_SW_EUlSV_E_NS1_11comp_targetILNS1_3genE9ELNS1_11target_archE1100ELNS1_3gpuE3ELNS1_3repE0EEENS1_30default_config_static_selectorELNS0_4arch9wavefront6targetE0EEEvT1_
	.globl	_ZN7rocprim17ROCPRIM_400000_NS6detail17trampoline_kernelINS0_14default_configENS1_27scan_by_key_config_selectorIiiEEZZNS1_16scan_by_key_implILNS1_25lookback_scan_determinismE0ELb0ES3_N6thrust23THRUST_200600_302600_NS16reverse_iteratorIPKiEESD_NSA_IPiEEiN6hipcub16HIPCUB_304000_NS3MaxENSH_8EqualityEiEE10hipError_tPvRmT2_T3_T4_T5_mT6_T7_P12ihipStream_tbENKUlT_T0_E_clISt17integral_constantIbLb1EES10_EEDaSV_SW_EUlSV_E_NS1_11comp_targetILNS1_3genE9ELNS1_11target_archE1100ELNS1_3gpuE3ELNS1_3repE0EEENS1_30default_config_static_selectorELNS0_4arch9wavefront6targetE0EEEvT1_
	.p2align	8
	.type	_ZN7rocprim17ROCPRIM_400000_NS6detail17trampoline_kernelINS0_14default_configENS1_27scan_by_key_config_selectorIiiEEZZNS1_16scan_by_key_implILNS1_25lookback_scan_determinismE0ELb0ES3_N6thrust23THRUST_200600_302600_NS16reverse_iteratorIPKiEESD_NSA_IPiEEiN6hipcub16HIPCUB_304000_NS3MaxENSH_8EqualityEiEE10hipError_tPvRmT2_T3_T4_T5_mT6_T7_P12ihipStream_tbENKUlT_T0_E_clISt17integral_constantIbLb1EES10_EEDaSV_SW_EUlSV_E_NS1_11comp_targetILNS1_3genE9ELNS1_11target_archE1100ELNS1_3gpuE3ELNS1_3repE0EEENS1_30default_config_static_selectorELNS0_4arch9wavefront6targetE0EEEvT1_,@function
_ZN7rocprim17ROCPRIM_400000_NS6detail17trampoline_kernelINS0_14default_configENS1_27scan_by_key_config_selectorIiiEEZZNS1_16scan_by_key_implILNS1_25lookback_scan_determinismE0ELb0ES3_N6thrust23THRUST_200600_302600_NS16reverse_iteratorIPKiEESD_NSA_IPiEEiN6hipcub16HIPCUB_304000_NS3MaxENSH_8EqualityEiEE10hipError_tPvRmT2_T3_T4_T5_mT6_T7_P12ihipStream_tbENKUlT_T0_E_clISt17integral_constantIbLb1EES10_EEDaSV_SW_EUlSV_E_NS1_11comp_targetILNS1_3genE9ELNS1_11target_archE1100ELNS1_3gpuE3ELNS1_3repE0EEENS1_30default_config_static_selectorELNS0_4arch9wavefront6targetE0EEEvT1_: ; @_ZN7rocprim17ROCPRIM_400000_NS6detail17trampoline_kernelINS0_14default_configENS1_27scan_by_key_config_selectorIiiEEZZNS1_16scan_by_key_implILNS1_25lookback_scan_determinismE0ELb0ES3_N6thrust23THRUST_200600_302600_NS16reverse_iteratorIPKiEESD_NSA_IPiEEiN6hipcub16HIPCUB_304000_NS3MaxENSH_8EqualityEiEE10hipError_tPvRmT2_T3_T4_T5_mT6_T7_P12ihipStream_tbENKUlT_T0_E_clISt17integral_constantIbLb1EES10_EEDaSV_SW_EUlSV_E_NS1_11comp_targetILNS1_3genE9ELNS1_11target_archE1100ELNS1_3gpuE3ELNS1_3repE0EEENS1_30default_config_static_selectorELNS0_4arch9wavefront6targetE0EEEvT1_
; %bb.0:
	.section	.rodata,"a",@progbits
	.p2align	6, 0x0
	.amdhsa_kernel _ZN7rocprim17ROCPRIM_400000_NS6detail17trampoline_kernelINS0_14default_configENS1_27scan_by_key_config_selectorIiiEEZZNS1_16scan_by_key_implILNS1_25lookback_scan_determinismE0ELb0ES3_N6thrust23THRUST_200600_302600_NS16reverse_iteratorIPKiEESD_NSA_IPiEEiN6hipcub16HIPCUB_304000_NS3MaxENSH_8EqualityEiEE10hipError_tPvRmT2_T3_T4_T5_mT6_T7_P12ihipStream_tbENKUlT_T0_E_clISt17integral_constantIbLb1EES10_EEDaSV_SW_EUlSV_E_NS1_11comp_targetILNS1_3genE9ELNS1_11target_archE1100ELNS1_3gpuE3ELNS1_3repE0EEENS1_30default_config_static_selectorELNS0_4arch9wavefront6targetE0EEEvT1_
		.amdhsa_group_segment_fixed_size 0
		.amdhsa_private_segment_fixed_size 0
		.amdhsa_kernarg_size 112
		.amdhsa_user_sgpr_count 6
		.amdhsa_user_sgpr_private_segment_buffer 1
		.amdhsa_user_sgpr_dispatch_ptr 0
		.amdhsa_user_sgpr_queue_ptr 0
		.amdhsa_user_sgpr_kernarg_segment_ptr 1
		.amdhsa_user_sgpr_dispatch_id 0
		.amdhsa_user_sgpr_flat_scratch_init 0
		.amdhsa_user_sgpr_private_segment_size 0
		.amdhsa_wavefront_size32 1
		.amdhsa_uses_dynamic_stack 0
		.amdhsa_system_sgpr_private_segment_wavefront_offset 0
		.amdhsa_system_sgpr_workgroup_id_x 1
		.amdhsa_system_sgpr_workgroup_id_y 0
		.amdhsa_system_sgpr_workgroup_id_z 0
		.amdhsa_system_sgpr_workgroup_info 0
		.amdhsa_system_vgpr_workitem_id 0
		.amdhsa_next_free_vgpr 1
		.amdhsa_next_free_sgpr 1
		.amdhsa_reserve_vcc 0
		.amdhsa_reserve_flat_scratch 0
		.amdhsa_float_round_mode_32 0
		.amdhsa_float_round_mode_16_64 0
		.amdhsa_float_denorm_mode_32 3
		.amdhsa_float_denorm_mode_16_64 3
		.amdhsa_dx10_clamp 1
		.amdhsa_ieee_mode 1
		.amdhsa_fp16_overflow 0
		.amdhsa_workgroup_processor_mode 1
		.amdhsa_memory_ordered 1
		.amdhsa_forward_progress 1
		.amdhsa_shared_vgpr_count 0
		.amdhsa_exception_fp_ieee_invalid_op 0
		.amdhsa_exception_fp_denorm_src 0
		.amdhsa_exception_fp_ieee_div_zero 0
		.amdhsa_exception_fp_ieee_overflow 0
		.amdhsa_exception_fp_ieee_underflow 0
		.amdhsa_exception_fp_ieee_inexact 0
		.amdhsa_exception_int_div_zero 0
	.end_amdhsa_kernel
	.section	.text._ZN7rocprim17ROCPRIM_400000_NS6detail17trampoline_kernelINS0_14default_configENS1_27scan_by_key_config_selectorIiiEEZZNS1_16scan_by_key_implILNS1_25lookback_scan_determinismE0ELb0ES3_N6thrust23THRUST_200600_302600_NS16reverse_iteratorIPKiEESD_NSA_IPiEEiN6hipcub16HIPCUB_304000_NS3MaxENSH_8EqualityEiEE10hipError_tPvRmT2_T3_T4_T5_mT6_T7_P12ihipStream_tbENKUlT_T0_E_clISt17integral_constantIbLb1EES10_EEDaSV_SW_EUlSV_E_NS1_11comp_targetILNS1_3genE9ELNS1_11target_archE1100ELNS1_3gpuE3ELNS1_3repE0EEENS1_30default_config_static_selectorELNS0_4arch9wavefront6targetE0EEEvT1_,"axG",@progbits,_ZN7rocprim17ROCPRIM_400000_NS6detail17trampoline_kernelINS0_14default_configENS1_27scan_by_key_config_selectorIiiEEZZNS1_16scan_by_key_implILNS1_25lookback_scan_determinismE0ELb0ES3_N6thrust23THRUST_200600_302600_NS16reverse_iteratorIPKiEESD_NSA_IPiEEiN6hipcub16HIPCUB_304000_NS3MaxENSH_8EqualityEiEE10hipError_tPvRmT2_T3_T4_T5_mT6_T7_P12ihipStream_tbENKUlT_T0_E_clISt17integral_constantIbLb1EES10_EEDaSV_SW_EUlSV_E_NS1_11comp_targetILNS1_3genE9ELNS1_11target_archE1100ELNS1_3gpuE3ELNS1_3repE0EEENS1_30default_config_static_selectorELNS0_4arch9wavefront6targetE0EEEvT1_,comdat
.Lfunc_end70:
	.size	_ZN7rocprim17ROCPRIM_400000_NS6detail17trampoline_kernelINS0_14default_configENS1_27scan_by_key_config_selectorIiiEEZZNS1_16scan_by_key_implILNS1_25lookback_scan_determinismE0ELb0ES3_N6thrust23THRUST_200600_302600_NS16reverse_iteratorIPKiEESD_NSA_IPiEEiN6hipcub16HIPCUB_304000_NS3MaxENSH_8EqualityEiEE10hipError_tPvRmT2_T3_T4_T5_mT6_T7_P12ihipStream_tbENKUlT_T0_E_clISt17integral_constantIbLb1EES10_EEDaSV_SW_EUlSV_E_NS1_11comp_targetILNS1_3genE9ELNS1_11target_archE1100ELNS1_3gpuE3ELNS1_3repE0EEENS1_30default_config_static_selectorELNS0_4arch9wavefront6targetE0EEEvT1_, .Lfunc_end70-_ZN7rocprim17ROCPRIM_400000_NS6detail17trampoline_kernelINS0_14default_configENS1_27scan_by_key_config_selectorIiiEEZZNS1_16scan_by_key_implILNS1_25lookback_scan_determinismE0ELb0ES3_N6thrust23THRUST_200600_302600_NS16reverse_iteratorIPKiEESD_NSA_IPiEEiN6hipcub16HIPCUB_304000_NS3MaxENSH_8EqualityEiEE10hipError_tPvRmT2_T3_T4_T5_mT6_T7_P12ihipStream_tbENKUlT_T0_E_clISt17integral_constantIbLb1EES10_EEDaSV_SW_EUlSV_E_NS1_11comp_targetILNS1_3genE9ELNS1_11target_archE1100ELNS1_3gpuE3ELNS1_3repE0EEENS1_30default_config_static_selectorELNS0_4arch9wavefront6targetE0EEEvT1_
                                        ; -- End function
	.set _ZN7rocprim17ROCPRIM_400000_NS6detail17trampoline_kernelINS0_14default_configENS1_27scan_by_key_config_selectorIiiEEZZNS1_16scan_by_key_implILNS1_25lookback_scan_determinismE0ELb0ES3_N6thrust23THRUST_200600_302600_NS16reverse_iteratorIPKiEESD_NSA_IPiEEiN6hipcub16HIPCUB_304000_NS3MaxENSH_8EqualityEiEE10hipError_tPvRmT2_T3_T4_T5_mT6_T7_P12ihipStream_tbENKUlT_T0_E_clISt17integral_constantIbLb1EES10_EEDaSV_SW_EUlSV_E_NS1_11comp_targetILNS1_3genE9ELNS1_11target_archE1100ELNS1_3gpuE3ELNS1_3repE0EEENS1_30default_config_static_selectorELNS0_4arch9wavefront6targetE0EEEvT1_.num_vgpr, 0
	.set _ZN7rocprim17ROCPRIM_400000_NS6detail17trampoline_kernelINS0_14default_configENS1_27scan_by_key_config_selectorIiiEEZZNS1_16scan_by_key_implILNS1_25lookback_scan_determinismE0ELb0ES3_N6thrust23THRUST_200600_302600_NS16reverse_iteratorIPKiEESD_NSA_IPiEEiN6hipcub16HIPCUB_304000_NS3MaxENSH_8EqualityEiEE10hipError_tPvRmT2_T3_T4_T5_mT6_T7_P12ihipStream_tbENKUlT_T0_E_clISt17integral_constantIbLb1EES10_EEDaSV_SW_EUlSV_E_NS1_11comp_targetILNS1_3genE9ELNS1_11target_archE1100ELNS1_3gpuE3ELNS1_3repE0EEENS1_30default_config_static_selectorELNS0_4arch9wavefront6targetE0EEEvT1_.num_agpr, 0
	.set _ZN7rocprim17ROCPRIM_400000_NS6detail17trampoline_kernelINS0_14default_configENS1_27scan_by_key_config_selectorIiiEEZZNS1_16scan_by_key_implILNS1_25lookback_scan_determinismE0ELb0ES3_N6thrust23THRUST_200600_302600_NS16reverse_iteratorIPKiEESD_NSA_IPiEEiN6hipcub16HIPCUB_304000_NS3MaxENSH_8EqualityEiEE10hipError_tPvRmT2_T3_T4_T5_mT6_T7_P12ihipStream_tbENKUlT_T0_E_clISt17integral_constantIbLb1EES10_EEDaSV_SW_EUlSV_E_NS1_11comp_targetILNS1_3genE9ELNS1_11target_archE1100ELNS1_3gpuE3ELNS1_3repE0EEENS1_30default_config_static_selectorELNS0_4arch9wavefront6targetE0EEEvT1_.numbered_sgpr, 0
	.set _ZN7rocprim17ROCPRIM_400000_NS6detail17trampoline_kernelINS0_14default_configENS1_27scan_by_key_config_selectorIiiEEZZNS1_16scan_by_key_implILNS1_25lookback_scan_determinismE0ELb0ES3_N6thrust23THRUST_200600_302600_NS16reverse_iteratorIPKiEESD_NSA_IPiEEiN6hipcub16HIPCUB_304000_NS3MaxENSH_8EqualityEiEE10hipError_tPvRmT2_T3_T4_T5_mT6_T7_P12ihipStream_tbENKUlT_T0_E_clISt17integral_constantIbLb1EES10_EEDaSV_SW_EUlSV_E_NS1_11comp_targetILNS1_3genE9ELNS1_11target_archE1100ELNS1_3gpuE3ELNS1_3repE0EEENS1_30default_config_static_selectorELNS0_4arch9wavefront6targetE0EEEvT1_.num_named_barrier, 0
	.set _ZN7rocprim17ROCPRIM_400000_NS6detail17trampoline_kernelINS0_14default_configENS1_27scan_by_key_config_selectorIiiEEZZNS1_16scan_by_key_implILNS1_25lookback_scan_determinismE0ELb0ES3_N6thrust23THRUST_200600_302600_NS16reverse_iteratorIPKiEESD_NSA_IPiEEiN6hipcub16HIPCUB_304000_NS3MaxENSH_8EqualityEiEE10hipError_tPvRmT2_T3_T4_T5_mT6_T7_P12ihipStream_tbENKUlT_T0_E_clISt17integral_constantIbLb1EES10_EEDaSV_SW_EUlSV_E_NS1_11comp_targetILNS1_3genE9ELNS1_11target_archE1100ELNS1_3gpuE3ELNS1_3repE0EEENS1_30default_config_static_selectorELNS0_4arch9wavefront6targetE0EEEvT1_.private_seg_size, 0
	.set _ZN7rocprim17ROCPRIM_400000_NS6detail17trampoline_kernelINS0_14default_configENS1_27scan_by_key_config_selectorIiiEEZZNS1_16scan_by_key_implILNS1_25lookback_scan_determinismE0ELb0ES3_N6thrust23THRUST_200600_302600_NS16reverse_iteratorIPKiEESD_NSA_IPiEEiN6hipcub16HIPCUB_304000_NS3MaxENSH_8EqualityEiEE10hipError_tPvRmT2_T3_T4_T5_mT6_T7_P12ihipStream_tbENKUlT_T0_E_clISt17integral_constantIbLb1EES10_EEDaSV_SW_EUlSV_E_NS1_11comp_targetILNS1_3genE9ELNS1_11target_archE1100ELNS1_3gpuE3ELNS1_3repE0EEENS1_30default_config_static_selectorELNS0_4arch9wavefront6targetE0EEEvT1_.uses_vcc, 0
	.set _ZN7rocprim17ROCPRIM_400000_NS6detail17trampoline_kernelINS0_14default_configENS1_27scan_by_key_config_selectorIiiEEZZNS1_16scan_by_key_implILNS1_25lookback_scan_determinismE0ELb0ES3_N6thrust23THRUST_200600_302600_NS16reverse_iteratorIPKiEESD_NSA_IPiEEiN6hipcub16HIPCUB_304000_NS3MaxENSH_8EqualityEiEE10hipError_tPvRmT2_T3_T4_T5_mT6_T7_P12ihipStream_tbENKUlT_T0_E_clISt17integral_constantIbLb1EES10_EEDaSV_SW_EUlSV_E_NS1_11comp_targetILNS1_3genE9ELNS1_11target_archE1100ELNS1_3gpuE3ELNS1_3repE0EEENS1_30default_config_static_selectorELNS0_4arch9wavefront6targetE0EEEvT1_.uses_flat_scratch, 0
	.set _ZN7rocprim17ROCPRIM_400000_NS6detail17trampoline_kernelINS0_14default_configENS1_27scan_by_key_config_selectorIiiEEZZNS1_16scan_by_key_implILNS1_25lookback_scan_determinismE0ELb0ES3_N6thrust23THRUST_200600_302600_NS16reverse_iteratorIPKiEESD_NSA_IPiEEiN6hipcub16HIPCUB_304000_NS3MaxENSH_8EqualityEiEE10hipError_tPvRmT2_T3_T4_T5_mT6_T7_P12ihipStream_tbENKUlT_T0_E_clISt17integral_constantIbLb1EES10_EEDaSV_SW_EUlSV_E_NS1_11comp_targetILNS1_3genE9ELNS1_11target_archE1100ELNS1_3gpuE3ELNS1_3repE0EEENS1_30default_config_static_selectorELNS0_4arch9wavefront6targetE0EEEvT1_.has_dyn_sized_stack, 0
	.set _ZN7rocprim17ROCPRIM_400000_NS6detail17trampoline_kernelINS0_14default_configENS1_27scan_by_key_config_selectorIiiEEZZNS1_16scan_by_key_implILNS1_25lookback_scan_determinismE0ELb0ES3_N6thrust23THRUST_200600_302600_NS16reverse_iteratorIPKiEESD_NSA_IPiEEiN6hipcub16HIPCUB_304000_NS3MaxENSH_8EqualityEiEE10hipError_tPvRmT2_T3_T4_T5_mT6_T7_P12ihipStream_tbENKUlT_T0_E_clISt17integral_constantIbLb1EES10_EEDaSV_SW_EUlSV_E_NS1_11comp_targetILNS1_3genE9ELNS1_11target_archE1100ELNS1_3gpuE3ELNS1_3repE0EEENS1_30default_config_static_selectorELNS0_4arch9wavefront6targetE0EEEvT1_.has_recursion, 0
	.set _ZN7rocprim17ROCPRIM_400000_NS6detail17trampoline_kernelINS0_14default_configENS1_27scan_by_key_config_selectorIiiEEZZNS1_16scan_by_key_implILNS1_25lookback_scan_determinismE0ELb0ES3_N6thrust23THRUST_200600_302600_NS16reverse_iteratorIPKiEESD_NSA_IPiEEiN6hipcub16HIPCUB_304000_NS3MaxENSH_8EqualityEiEE10hipError_tPvRmT2_T3_T4_T5_mT6_T7_P12ihipStream_tbENKUlT_T0_E_clISt17integral_constantIbLb1EES10_EEDaSV_SW_EUlSV_E_NS1_11comp_targetILNS1_3genE9ELNS1_11target_archE1100ELNS1_3gpuE3ELNS1_3repE0EEENS1_30default_config_static_selectorELNS0_4arch9wavefront6targetE0EEEvT1_.has_indirect_call, 0
	.section	.AMDGPU.csdata,"",@progbits
; Kernel info:
; codeLenInByte = 0
; TotalNumSgprs: 0
; NumVgprs: 0
; ScratchSize: 0
; MemoryBound: 0
; FloatMode: 240
; IeeeMode: 1
; LDSByteSize: 0 bytes/workgroup (compile time only)
; SGPRBlocks: 0
; VGPRBlocks: 0
; NumSGPRsForWavesPerEU: 1
; NumVGPRsForWavesPerEU: 1
; Occupancy: 16
; WaveLimiterHint : 0
; COMPUTE_PGM_RSRC2:SCRATCH_EN: 0
; COMPUTE_PGM_RSRC2:USER_SGPR: 6
; COMPUTE_PGM_RSRC2:TRAP_HANDLER: 0
; COMPUTE_PGM_RSRC2:TGID_X_EN: 1
; COMPUTE_PGM_RSRC2:TGID_Y_EN: 0
; COMPUTE_PGM_RSRC2:TGID_Z_EN: 0
; COMPUTE_PGM_RSRC2:TIDIG_COMP_CNT: 0
	.section	.text._ZN7rocprim17ROCPRIM_400000_NS6detail17trampoline_kernelINS0_14default_configENS1_27scan_by_key_config_selectorIiiEEZZNS1_16scan_by_key_implILNS1_25lookback_scan_determinismE0ELb0ES3_N6thrust23THRUST_200600_302600_NS16reverse_iteratorIPKiEESD_NSA_IPiEEiN6hipcub16HIPCUB_304000_NS3MaxENSH_8EqualityEiEE10hipError_tPvRmT2_T3_T4_T5_mT6_T7_P12ihipStream_tbENKUlT_T0_E_clISt17integral_constantIbLb1EES10_EEDaSV_SW_EUlSV_E_NS1_11comp_targetILNS1_3genE8ELNS1_11target_archE1030ELNS1_3gpuE2ELNS1_3repE0EEENS1_30default_config_static_selectorELNS0_4arch9wavefront6targetE0EEEvT1_,"axG",@progbits,_ZN7rocprim17ROCPRIM_400000_NS6detail17trampoline_kernelINS0_14default_configENS1_27scan_by_key_config_selectorIiiEEZZNS1_16scan_by_key_implILNS1_25lookback_scan_determinismE0ELb0ES3_N6thrust23THRUST_200600_302600_NS16reverse_iteratorIPKiEESD_NSA_IPiEEiN6hipcub16HIPCUB_304000_NS3MaxENSH_8EqualityEiEE10hipError_tPvRmT2_T3_T4_T5_mT6_T7_P12ihipStream_tbENKUlT_T0_E_clISt17integral_constantIbLb1EES10_EEDaSV_SW_EUlSV_E_NS1_11comp_targetILNS1_3genE8ELNS1_11target_archE1030ELNS1_3gpuE2ELNS1_3repE0EEENS1_30default_config_static_selectorELNS0_4arch9wavefront6targetE0EEEvT1_,comdat
	.protected	_ZN7rocprim17ROCPRIM_400000_NS6detail17trampoline_kernelINS0_14default_configENS1_27scan_by_key_config_selectorIiiEEZZNS1_16scan_by_key_implILNS1_25lookback_scan_determinismE0ELb0ES3_N6thrust23THRUST_200600_302600_NS16reverse_iteratorIPKiEESD_NSA_IPiEEiN6hipcub16HIPCUB_304000_NS3MaxENSH_8EqualityEiEE10hipError_tPvRmT2_T3_T4_T5_mT6_T7_P12ihipStream_tbENKUlT_T0_E_clISt17integral_constantIbLb1EES10_EEDaSV_SW_EUlSV_E_NS1_11comp_targetILNS1_3genE8ELNS1_11target_archE1030ELNS1_3gpuE2ELNS1_3repE0EEENS1_30default_config_static_selectorELNS0_4arch9wavefront6targetE0EEEvT1_ ; -- Begin function _ZN7rocprim17ROCPRIM_400000_NS6detail17trampoline_kernelINS0_14default_configENS1_27scan_by_key_config_selectorIiiEEZZNS1_16scan_by_key_implILNS1_25lookback_scan_determinismE0ELb0ES3_N6thrust23THRUST_200600_302600_NS16reverse_iteratorIPKiEESD_NSA_IPiEEiN6hipcub16HIPCUB_304000_NS3MaxENSH_8EqualityEiEE10hipError_tPvRmT2_T3_T4_T5_mT6_T7_P12ihipStream_tbENKUlT_T0_E_clISt17integral_constantIbLb1EES10_EEDaSV_SW_EUlSV_E_NS1_11comp_targetILNS1_3genE8ELNS1_11target_archE1030ELNS1_3gpuE2ELNS1_3repE0EEENS1_30default_config_static_selectorELNS0_4arch9wavefront6targetE0EEEvT1_
	.globl	_ZN7rocprim17ROCPRIM_400000_NS6detail17trampoline_kernelINS0_14default_configENS1_27scan_by_key_config_selectorIiiEEZZNS1_16scan_by_key_implILNS1_25lookback_scan_determinismE0ELb0ES3_N6thrust23THRUST_200600_302600_NS16reverse_iteratorIPKiEESD_NSA_IPiEEiN6hipcub16HIPCUB_304000_NS3MaxENSH_8EqualityEiEE10hipError_tPvRmT2_T3_T4_T5_mT6_T7_P12ihipStream_tbENKUlT_T0_E_clISt17integral_constantIbLb1EES10_EEDaSV_SW_EUlSV_E_NS1_11comp_targetILNS1_3genE8ELNS1_11target_archE1030ELNS1_3gpuE2ELNS1_3repE0EEENS1_30default_config_static_selectorELNS0_4arch9wavefront6targetE0EEEvT1_
	.p2align	8
	.type	_ZN7rocprim17ROCPRIM_400000_NS6detail17trampoline_kernelINS0_14default_configENS1_27scan_by_key_config_selectorIiiEEZZNS1_16scan_by_key_implILNS1_25lookback_scan_determinismE0ELb0ES3_N6thrust23THRUST_200600_302600_NS16reverse_iteratorIPKiEESD_NSA_IPiEEiN6hipcub16HIPCUB_304000_NS3MaxENSH_8EqualityEiEE10hipError_tPvRmT2_T3_T4_T5_mT6_T7_P12ihipStream_tbENKUlT_T0_E_clISt17integral_constantIbLb1EES10_EEDaSV_SW_EUlSV_E_NS1_11comp_targetILNS1_3genE8ELNS1_11target_archE1030ELNS1_3gpuE2ELNS1_3repE0EEENS1_30default_config_static_selectorELNS0_4arch9wavefront6targetE0EEEvT1_,@function
_ZN7rocprim17ROCPRIM_400000_NS6detail17trampoline_kernelINS0_14default_configENS1_27scan_by_key_config_selectorIiiEEZZNS1_16scan_by_key_implILNS1_25lookback_scan_determinismE0ELb0ES3_N6thrust23THRUST_200600_302600_NS16reverse_iteratorIPKiEESD_NSA_IPiEEiN6hipcub16HIPCUB_304000_NS3MaxENSH_8EqualityEiEE10hipError_tPvRmT2_T3_T4_T5_mT6_T7_P12ihipStream_tbENKUlT_T0_E_clISt17integral_constantIbLb1EES10_EEDaSV_SW_EUlSV_E_NS1_11comp_targetILNS1_3genE8ELNS1_11target_archE1030ELNS1_3gpuE2ELNS1_3repE0EEENS1_30default_config_static_selectorELNS0_4arch9wavefront6targetE0EEEvT1_: ; @_ZN7rocprim17ROCPRIM_400000_NS6detail17trampoline_kernelINS0_14default_configENS1_27scan_by_key_config_selectorIiiEEZZNS1_16scan_by_key_implILNS1_25lookback_scan_determinismE0ELb0ES3_N6thrust23THRUST_200600_302600_NS16reverse_iteratorIPKiEESD_NSA_IPiEEiN6hipcub16HIPCUB_304000_NS3MaxENSH_8EqualityEiEE10hipError_tPvRmT2_T3_T4_T5_mT6_T7_P12ihipStream_tbENKUlT_T0_E_clISt17integral_constantIbLb1EES10_EEDaSV_SW_EUlSV_E_NS1_11comp_targetILNS1_3genE8ELNS1_11target_archE1030ELNS1_3gpuE2ELNS1_3repE0EEENS1_30default_config_static_selectorELNS0_4arch9wavefront6targetE0EEEvT1_
; %bb.0:
	s_endpgm
	.section	.rodata,"a",@progbits
	.p2align	6, 0x0
	.amdhsa_kernel _ZN7rocprim17ROCPRIM_400000_NS6detail17trampoline_kernelINS0_14default_configENS1_27scan_by_key_config_selectorIiiEEZZNS1_16scan_by_key_implILNS1_25lookback_scan_determinismE0ELb0ES3_N6thrust23THRUST_200600_302600_NS16reverse_iteratorIPKiEESD_NSA_IPiEEiN6hipcub16HIPCUB_304000_NS3MaxENSH_8EqualityEiEE10hipError_tPvRmT2_T3_T4_T5_mT6_T7_P12ihipStream_tbENKUlT_T0_E_clISt17integral_constantIbLb1EES10_EEDaSV_SW_EUlSV_E_NS1_11comp_targetILNS1_3genE8ELNS1_11target_archE1030ELNS1_3gpuE2ELNS1_3repE0EEENS1_30default_config_static_selectorELNS0_4arch9wavefront6targetE0EEEvT1_
		.amdhsa_group_segment_fixed_size 0
		.amdhsa_private_segment_fixed_size 0
		.amdhsa_kernarg_size 112
		.amdhsa_user_sgpr_count 6
		.amdhsa_user_sgpr_private_segment_buffer 1
		.amdhsa_user_sgpr_dispatch_ptr 0
		.amdhsa_user_sgpr_queue_ptr 0
		.amdhsa_user_sgpr_kernarg_segment_ptr 1
		.amdhsa_user_sgpr_dispatch_id 0
		.amdhsa_user_sgpr_flat_scratch_init 0
		.amdhsa_user_sgpr_private_segment_size 0
		.amdhsa_wavefront_size32 1
		.amdhsa_uses_dynamic_stack 0
		.amdhsa_system_sgpr_private_segment_wavefront_offset 0
		.amdhsa_system_sgpr_workgroup_id_x 1
		.amdhsa_system_sgpr_workgroup_id_y 0
		.amdhsa_system_sgpr_workgroup_id_z 0
		.amdhsa_system_sgpr_workgroup_info 0
		.amdhsa_system_vgpr_workitem_id 0
		.amdhsa_next_free_vgpr 1
		.amdhsa_next_free_sgpr 1
		.amdhsa_reserve_vcc 0
		.amdhsa_reserve_flat_scratch 0
		.amdhsa_float_round_mode_32 0
		.amdhsa_float_round_mode_16_64 0
		.amdhsa_float_denorm_mode_32 3
		.amdhsa_float_denorm_mode_16_64 3
		.amdhsa_dx10_clamp 1
		.amdhsa_ieee_mode 1
		.amdhsa_fp16_overflow 0
		.amdhsa_workgroup_processor_mode 1
		.amdhsa_memory_ordered 1
		.amdhsa_forward_progress 1
		.amdhsa_shared_vgpr_count 0
		.amdhsa_exception_fp_ieee_invalid_op 0
		.amdhsa_exception_fp_denorm_src 0
		.amdhsa_exception_fp_ieee_div_zero 0
		.amdhsa_exception_fp_ieee_overflow 0
		.amdhsa_exception_fp_ieee_underflow 0
		.amdhsa_exception_fp_ieee_inexact 0
		.amdhsa_exception_int_div_zero 0
	.end_amdhsa_kernel
	.section	.text._ZN7rocprim17ROCPRIM_400000_NS6detail17trampoline_kernelINS0_14default_configENS1_27scan_by_key_config_selectorIiiEEZZNS1_16scan_by_key_implILNS1_25lookback_scan_determinismE0ELb0ES3_N6thrust23THRUST_200600_302600_NS16reverse_iteratorIPKiEESD_NSA_IPiEEiN6hipcub16HIPCUB_304000_NS3MaxENSH_8EqualityEiEE10hipError_tPvRmT2_T3_T4_T5_mT6_T7_P12ihipStream_tbENKUlT_T0_E_clISt17integral_constantIbLb1EES10_EEDaSV_SW_EUlSV_E_NS1_11comp_targetILNS1_3genE8ELNS1_11target_archE1030ELNS1_3gpuE2ELNS1_3repE0EEENS1_30default_config_static_selectorELNS0_4arch9wavefront6targetE0EEEvT1_,"axG",@progbits,_ZN7rocprim17ROCPRIM_400000_NS6detail17trampoline_kernelINS0_14default_configENS1_27scan_by_key_config_selectorIiiEEZZNS1_16scan_by_key_implILNS1_25lookback_scan_determinismE0ELb0ES3_N6thrust23THRUST_200600_302600_NS16reverse_iteratorIPKiEESD_NSA_IPiEEiN6hipcub16HIPCUB_304000_NS3MaxENSH_8EqualityEiEE10hipError_tPvRmT2_T3_T4_T5_mT6_T7_P12ihipStream_tbENKUlT_T0_E_clISt17integral_constantIbLb1EES10_EEDaSV_SW_EUlSV_E_NS1_11comp_targetILNS1_3genE8ELNS1_11target_archE1030ELNS1_3gpuE2ELNS1_3repE0EEENS1_30default_config_static_selectorELNS0_4arch9wavefront6targetE0EEEvT1_,comdat
.Lfunc_end71:
	.size	_ZN7rocprim17ROCPRIM_400000_NS6detail17trampoline_kernelINS0_14default_configENS1_27scan_by_key_config_selectorIiiEEZZNS1_16scan_by_key_implILNS1_25lookback_scan_determinismE0ELb0ES3_N6thrust23THRUST_200600_302600_NS16reverse_iteratorIPKiEESD_NSA_IPiEEiN6hipcub16HIPCUB_304000_NS3MaxENSH_8EqualityEiEE10hipError_tPvRmT2_T3_T4_T5_mT6_T7_P12ihipStream_tbENKUlT_T0_E_clISt17integral_constantIbLb1EES10_EEDaSV_SW_EUlSV_E_NS1_11comp_targetILNS1_3genE8ELNS1_11target_archE1030ELNS1_3gpuE2ELNS1_3repE0EEENS1_30default_config_static_selectorELNS0_4arch9wavefront6targetE0EEEvT1_, .Lfunc_end71-_ZN7rocprim17ROCPRIM_400000_NS6detail17trampoline_kernelINS0_14default_configENS1_27scan_by_key_config_selectorIiiEEZZNS1_16scan_by_key_implILNS1_25lookback_scan_determinismE0ELb0ES3_N6thrust23THRUST_200600_302600_NS16reverse_iteratorIPKiEESD_NSA_IPiEEiN6hipcub16HIPCUB_304000_NS3MaxENSH_8EqualityEiEE10hipError_tPvRmT2_T3_T4_T5_mT6_T7_P12ihipStream_tbENKUlT_T0_E_clISt17integral_constantIbLb1EES10_EEDaSV_SW_EUlSV_E_NS1_11comp_targetILNS1_3genE8ELNS1_11target_archE1030ELNS1_3gpuE2ELNS1_3repE0EEENS1_30default_config_static_selectorELNS0_4arch9wavefront6targetE0EEEvT1_
                                        ; -- End function
	.set _ZN7rocprim17ROCPRIM_400000_NS6detail17trampoline_kernelINS0_14default_configENS1_27scan_by_key_config_selectorIiiEEZZNS1_16scan_by_key_implILNS1_25lookback_scan_determinismE0ELb0ES3_N6thrust23THRUST_200600_302600_NS16reverse_iteratorIPKiEESD_NSA_IPiEEiN6hipcub16HIPCUB_304000_NS3MaxENSH_8EqualityEiEE10hipError_tPvRmT2_T3_T4_T5_mT6_T7_P12ihipStream_tbENKUlT_T0_E_clISt17integral_constantIbLb1EES10_EEDaSV_SW_EUlSV_E_NS1_11comp_targetILNS1_3genE8ELNS1_11target_archE1030ELNS1_3gpuE2ELNS1_3repE0EEENS1_30default_config_static_selectorELNS0_4arch9wavefront6targetE0EEEvT1_.num_vgpr, 0
	.set _ZN7rocprim17ROCPRIM_400000_NS6detail17trampoline_kernelINS0_14default_configENS1_27scan_by_key_config_selectorIiiEEZZNS1_16scan_by_key_implILNS1_25lookback_scan_determinismE0ELb0ES3_N6thrust23THRUST_200600_302600_NS16reverse_iteratorIPKiEESD_NSA_IPiEEiN6hipcub16HIPCUB_304000_NS3MaxENSH_8EqualityEiEE10hipError_tPvRmT2_T3_T4_T5_mT6_T7_P12ihipStream_tbENKUlT_T0_E_clISt17integral_constantIbLb1EES10_EEDaSV_SW_EUlSV_E_NS1_11comp_targetILNS1_3genE8ELNS1_11target_archE1030ELNS1_3gpuE2ELNS1_3repE0EEENS1_30default_config_static_selectorELNS0_4arch9wavefront6targetE0EEEvT1_.num_agpr, 0
	.set _ZN7rocprim17ROCPRIM_400000_NS6detail17trampoline_kernelINS0_14default_configENS1_27scan_by_key_config_selectorIiiEEZZNS1_16scan_by_key_implILNS1_25lookback_scan_determinismE0ELb0ES3_N6thrust23THRUST_200600_302600_NS16reverse_iteratorIPKiEESD_NSA_IPiEEiN6hipcub16HIPCUB_304000_NS3MaxENSH_8EqualityEiEE10hipError_tPvRmT2_T3_T4_T5_mT6_T7_P12ihipStream_tbENKUlT_T0_E_clISt17integral_constantIbLb1EES10_EEDaSV_SW_EUlSV_E_NS1_11comp_targetILNS1_3genE8ELNS1_11target_archE1030ELNS1_3gpuE2ELNS1_3repE0EEENS1_30default_config_static_selectorELNS0_4arch9wavefront6targetE0EEEvT1_.numbered_sgpr, 0
	.set _ZN7rocprim17ROCPRIM_400000_NS6detail17trampoline_kernelINS0_14default_configENS1_27scan_by_key_config_selectorIiiEEZZNS1_16scan_by_key_implILNS1_25lookback_scan_determinismE0ELb0ES3_N6thrust23THRUST_200600_302600_NS16reverse_iteratorIPKiEESD_NSA_IPiEEiN6hipcub16HIPCUB_304000_NS3MaxENSH_8EqualityEiEE10hipError_tPvRmT2_T3_T4_T5_mT6_T7_P12ihipStream_tbENKUlT_T0_E_clISt17integral_constantIbLb1EES10_EEDaSV_SW_EUlSV_E_NS1_11comp_targetILNS1_3genE8ELNS1_11target_archE1030ELNS1_3gpuE2ELNS1_3repE0EEENS1_30default_config_static_selectorELNS0_4arch9wavefront6targetE0EEEvT1_.num_named_barrier, 0
	.set _ZN7rocprim17ROCPRIM_400000_NS6detail17trampoline_kernelINS0_14default_configENS1_27scan_by_key_config_selectorIiiEEZZNS1_16scan_by_key_implILNS1_25lookback_scan_determinismE0ELb0ES3_N6thrust23THRUST_200600_302600_NS16reverse_iteratorIPKiEESD_NSA_IPiEEiN6hipcub16HIPCUB_304000_NS3MaxENSH_8EqualityEiEE10hipError_tPvRmT2_T3_T4_T5_mT6_T7_P12ihipStream_tbENKUlT_T0_E_clISt17integral_constantIbLb1EES10_EEDaSV_SW_EUlSV_E_NS1_11comp_targetILNS1_3genE8ELNS1_11target_archE1030ELNS1_3gpuE2ELNS1_3repE0EEENS1_30default_config_static_selectorELNS0_4arch9wavefront6targetE0EEEvT1_.private_seg_size, 0
	.set _ZN7rocprim17ROCPRIM_400000_NS6detail17trampoline_kernelINS0_14default_configENS1_27scan_by_key_config_selectorIiiEEZZNS1_16scan_by_key_implILNS1_25lookback_scan_determinismE0ELb0ES3_N6thrust23THRUST_200600_302600_NS16reverse_iteratorIPKiEESD_NSA_IPiEEiN6hipcub16HIPCUB_304000_NS3MaxENSH_8EqualityEiEE10hipError_tPvRmT2_T3_T4_T5_mT6_T7_P12ihipStream_tbENKUlT_T0_E_clISt17integral_constantIbLb1EES10_EEDaSV_SW_EUlSV_E_NS1_11comp_targetILNS1_3genE8ELNS1_11target_archE1030ELNS1_3gpuE2ELNS1_3repE0EEENS1_30default_config_static_selectorELNS0_4arch9wavefront6targetE0EEEvT1_.uses_vcc, 0
	.set _ZN7rocprim17ROCPRIM_400000_NS6detail17trampoline_kernelINS0_14default_configENS1_27scan_by_key_config_selectorIiiEEZZNS1_16scan_by_key_implILNS1_25lookback_scan_determinismE0ELb0ES3_N6thrust23THRUST_200600_302600_NS16reverse_iteratorIPKiEESD_NSA_IPiEEiN6hipcub16HIPCUB_304000_NS3MaxENSH_8EqualityEiEE10hipError_tPvRmT2_T3_T4_T5_mT6_T7_P12ihipStream_tbENKUlT_T0_E_clISt17integral_constantIbLb1EES10_EEDaSV_SW_EUlSV_E_NS1_11comp_targetILNS1_3genE8ELNS1_11target_archE1030ELNS1_3gpuE2ELNS1_3repE0EEENS1_30default_config_static_selectorELNS0_4arch9wavefront6targetE0EEEvT1_.uses_flat_scratch, 0
	.set _ZN7rocprim17ROCPRIM_400000_NS6detail17trampoline_kernelINS0_14default_configENS1_27scan_by_key_config_selectorIiiEEZZNS1_16scan_by_key_implILNS1_25lookback_scan_determinismE0ELb0ES3_N6thrust23THRUST_200600_302600_NS16reverse_iteratorIPKiEESD_NSA_IPiEEiN6hipcub16HIPCUB_304000_NS3MaxENSH_8EqualityEiEE10hipError_tPvRmT2_T3_T4_T5_mT6_T7_P12ihipStream_tbENKUlT_T0_E_clISt17integral_constantIbLb1EES10_EEDaSV_SW_EUlSV_E_NS1_11comp_targetILNS1_3genE8ELNS1_11target_archE1030ELNS1_3gpuE2ELNS1_3repE0EEENS1_30default_config_static_selectorELNS0_4arch9wavefront6targetE0EEEvT1_.has_dyn_sized_stack, 0
	.set _ZN7rocprim17ROCPRIM_400000_NS6detail17trampoline_kernelINS0_14default_configENS1_27scan_by_key_config_selectorIiiEEZZNS1_16scan_by_key_implILNS1_25lookback_scan_determinismE0ELb0ES3_N6thrust23THRUST_200600_302600_NS16reverse_iteratorIPKiEESD_NSA_IPiEEiN6hipcub16HIPCUB_304000_NS3MaxENSH_8EqualityEiEE10hipError_tPvRmT2_T3_T4_T5_mT6_T7_P12ihipStream_tbENKUlT_T0_E_clISt17integral_constantIbLb1EES10_EEDaSV_SW_EUlSV_E_NS1_11comp_targetILNS1_3genE8ELNS1_11target_archE1030ELNS1_3gpuE2ELNS1_3repE0EEENS1_30default_config_static_selectorELNS0_4arch9wavefront6targetE0EEEvT1_.has_recursion, 0
	.set _ZN7rocprim17ROCPRIM_400000_NS6detail17trampoline_kernelINS0_14default_configENS1_27scan_by_key_config_selectorIiiEEZZNS1_16scan_by_key_implILNS1_25lookback_scan_determinismE0ELb0ES3_N6thrust23THRUST_200600_302600_NS16reverse_iteratorIPKiEESD_NSA_IPiEEiN6hipcub16HIPCUB_304000_NS3MaxENSH_8EqualityEiEE10hipError_tPvRmT2_T3_T4_T5_mT6_T7_P12ihipStream_tbENKUlT_T0_E_clISt17integral_constantIbLb1EES10_EEDaSV_SW_EUlSV_E_NS1_11comp_targetILNS1_3genE8ELNS1_11target_archE1030ELNS1_3gpuE2ELNS1_3repE0EEENS1_30default_config_static_selectorELNS0_4arch9wavefront6targetE0EEEvT1_.has_indirect_call, 0
	.section	.AMDGPU.csdata,"",@progbits
; Kernel info:
; codeLenInByte = 4
; TotalNumSgprs: 0
; NumVgprs: 0
; ScratchSize: 0
; MemoryBound: 0
; FloatMode: 240
; IeeeMode: 1
; LDSByteSize: 0 bytes/workgroup (compile time only)
; SGPRBlocks: 0
; VGPRBlocks: 0
; NumSGPRsForWavesPerEU: 1
; NumVGPRsForWavesPerEU: 1
; Occupancy: 16
; WaveLimiterHint : 0
; COMPUTE_PGM_RSRC2:SCRATCH_EN: 0
; COMPUTE_PGM_RSRC2:USER_SGPR: 6
; COMPUTE_PGM_RSRC2:TRAP_HANDLER: 0
; COMPUTE_PGM_RSRC2:TGID_X_EN: 1
; COMPUTE_PGM_RSRC2:TGID_Y_EN: 0
; COMPUTE_PGM_RSRC2:TGID_Z_EN: 0
; COMPUTE_PGM_RSRC2:TIDIG_COMP_CNT: 0
	.section	.text._ZN7rocprim17ROCPRIM_400000_NS6detail30init_device_scan_by_key_kernelINS1_19lookback_scan_stateINS0_5tupleIJibEEELb1ELb1EEEN6thrust23THRUST_200600_302600_NS16reverse_iteratorIPKiEEjNS1_16block_id_wrapperIjLb0EEEEEvT_jjPNSF_10value_typeET0_PNSt15iterator_traitsISI_E10value_typeEmT1_T2_,"axG",@progbits,_ZN7rocprim17ROCPRIM_400000_NS6detail30init_device_scan_by_key_kernelINS1_19lookback_scan_stateINS0_5tupleIJibEEELb1ELb1EEEN6thrust23THRUST_200600_302600_NS16reverse_iteratorIPKiEEjNS1_16block_id_wrapperIjLb0EEEEEvT_jjPNSF_10value_typeET0_PNSt15iterator_traitsISI_E10value_typeEmT1_T2_,comdat
	.protected	_ZN7rocprim17ROCPRIM_400000_NS6detail30init_device_scan_by_key_kernelINS1_19lookback_scan_stateINS0_5tupleIJibEEELb1ELb1EEEN6thrust23THRUST_200600_302600_NS16reverse_iteratorIPKiEEjNS1_16block_id_wrapperIjLb0EEEEEvT_jjPNSF_10value_typeET0_PNSt15iterator_traitsISI_E10value_typeEmT1_T2_ ; -- Begin function _ZN7rocprim17ROCPRIM_400000_NS6detail30init_device_scan_by_key_kernelINS1_19lookback_scan_stateINS0_5tupleIJibEEELb1ELb1EEEN6thrust23THRUST_200600_302600_NS16reverse_iteratorIPKiEEjNS1_16block_id_wrapperIjLb0EEEEEvT_jjPNSF_10value_typeET0_PNSt15iterator_traitsISI_E10value_typeEmT1_T2_
	.globl	_ZN7rocprim17ROCPRIM_400000_NS6detail30init_device_scan_by_key_kernelINS1_19lookback_scan_stateINS0_5tupleIJibEEELb1ELb1EEEN6thrust23THRUST_200600_302600_NS16reverse_iteratorIPKiEEjNS1_16block_id_wrapperIjLb0EEEEEvT_jjPNSF_10value_typeET0_PNSt15iterator_traitsISI_E10value_typeEmT1_T2_
	.p2align	8
	.type	_ZN7rocprim17ROCPRIM_400000_NS6detail30init_device_scan_by_key_kernelINS1_19lookback_scan_stateINS0_5tupleIJibEEELb1ELb1EEEN6thrust23THRUST_200600_302600_NS16reverse_iteratorIPKiEEjNS1_16block_id_wrapperIjLb0EEEEEvT_jjPNSF_10value_typeET0_PNSt15iterator_traitsISI_E10value_typeEmT1_T2_,@function
_ZN7rocprim17ROCPRIM_400000_NS6detail30init_device_scan_by_key_kernelINS1_19lookback_scan_stateINS0_5tupleIJibEEELb1ELb1EEEN6thrust23THRUST_200600_302600_NS16reverse_iteratorIPKiEEjNS1_16block_id_wrapperIjLb0EEEEEvT_jjPNSF_10value_typeET0_PNSt15iterator_traitsISI_E10value_typeEmT1_T2_: ; @_ZN7rocprim17ROCPRIM_400000_NS6detail30init_device_scan_by_key_kernelINS1_19lookback_scan_stateINS0_5tupleIJibEEELb1ELb1EEEN6thrust23THRUST_200600_302600_NS16reverse_iteratorIPKiEEjNS1_16block_id_wrapperIjLb0EEEEEvT_jjPNSF_10value_typeET0_PNSt15iterator_traitsISI_E10value_typeEmT1_T2_
; %bb.0:
	s_clause 0x2
	s_load_dword s0, s[4:5], 0x44
	s_load_dwordx8 s[8:15], s[4:5], 0x0
	s_load_dword s7, s[4:5], 0x38
	s_waitcnt lgkmcnt(0)
	s_and_b32 s16, s0, 0xffff
	s_cmp_eq_u64 s[12:13], 0
	v_mad_u64_u32 v[4:5], null, s6, s16, v[0:1]
	s_cbranch_scc1 .LBB72_10
; %bb.1:
	s_cmp_lt_u32 s11, s10
	s_mov_b32 s1, 0
	s_cselect_b32 s0, s11, 0
	s_mov_b32 s2, exec_lo
	v_cmpx_eq_u32_e64 s0, v4
	s_cbranch_execz .LBB72_9
; %bb.2:
	s_add_i32 s0, s11, 32
	v_mov_b32_e32 v6, 0
	s_lshl_b64 s[0:1], s[0:1], 4
	s_mov_b32 s3, exec_lo
	s_add_u32 s0, s8, s0
	s_addc_u32 s1, s9, s1
	v_mov_b32_e32 v0, s0
	v_mov_b32_e32 v1, s1
	;;#ASMSTART
	global_load_dwordx4 v[0:3], v[0:1] off glc dlc	
s_waitcnt vmcnt(0)
	;;#ASMEND
	v_and_b32_e32 v5, 0xff, v2
	v_cmpx_eq_u64_e32 0, v[5:6]
	s_cbranch_execz .LBB72_8
; %bb.3:
	v_mov_b32_e32 v8, s1
	v_mov_b32_e32 v7, s0
	s_mov_b32 s1, 1
	s_mov_b32 s0, 0
	.p2align	6
.LBB72_4:                               ; =>This Loop Header: Depth=1
                                        ;     Child Loop BB72_5 Depth 2
	s_mov_b32 s6, s1
.LBB72_5:                               ;   Parent Loop BB72_4 Depth=1
                                        ; =>  This Inner Loop Header: Depth=2
	s_add_i32 s6, s6, -1
	s_sleep 1
	s_cmp_eq_u32 s6, 0
	s_cbranch_scc0 .LBB72_5
; %bb.6:                                ;   in Loop: Header=BB72_4 Depth=1
	;;#ASMSTART
	global_load_dwordx4 v[0:3], v[7:8] off glc dlc	
s_waitcnt vmcnt(0)
	;;#ASMEND
	v_and_b32_e32 v5, 0xff, v2
	s_cmp_lt_u32 s1, 32
	s_cselect_b32 s6, -1, 0
	v_cmp_ne_u64_e32 vcc_lo, 0, v[5:6]
	s_cmp_lg_u32 s6, 0
	s_addc_u32 s1, s1, 0
	s_or_b32 s0, vcc_lo, s0
	s_andn2_b32 exec_lo, exec_lo, s0
	s_cbranch_execnz .LBB72_4
; %bb.7:
	s_or_b32 exec_lo, exec_lo, s0
.LBB72_8:
	s_or_b32 exec_lo, exec_lo, s3
	v_mov_b32_e32 v2, 0
	global_store_dword v2, v0, s[12:13]
	global_store_byte v2, v1, s[12:13] offset:4
.LBB72_9:
	s_or_b32 exec_lo, exec_lo, s2
.LBB72_10:
	s_mov_b32 s0, exec_lo
	v_cmpx_gt_u32_e64 s10, v4
	s_cbranch_execz .LBB72_12
; %bb.11:
	v_add_nc_u32_e32 v0, 32, v4
	v_mov_b32_e32 v1, 0
	v_lshlrev_b64 v[5:6], 4, v[0:1]
	v_mov_b32_e32 v0, v1
	v_mov_b32_e32 v2, v1
	;; [unrolled: 1-line block ×3, first 2 shown]
	v_add_co_u32 v5, vcc_lo, s8, v5
	v_add_co_ci_u32_e64 v6, null, s9, v6, vcc_lo
	global_store_dwordx4 v[5:6], v[0:3], off
.LBB72_12:
	s_or_b32 exec_lo, exec_lo, s0
	v_mov_b32_e32 v5, 0
	s_mov_b32 s0, exec_lo
	v_cmpx_gt_u32_e32 32, v4
	s_cbranch_execz .LBB72_14
; %bb.13:
	v_lshlrev_b64 v[6:7], 4, v[4:5]
	v_mov_b32_e32 v2, 0xff
	v_mov_b32_e32 v0, v5
	v_mov_b32_e32 v1, v5
	v_mov_b32_e32 v3, v5
	v_add_co_u32 v6, vcc_lo, s8, v6
	v_add_co_ci_u32_e64 v7, null, s9, v7, vcc_lo
	global_store_dwordx4 v[6:7], v[0:3], off
.LBB72_14:
	s_or_b32 exec_lo, exec_lo, s0
	s_load_dwordx2 s[2:3], s[4:5], 0x28
	s_mov_b32 s0, exec_lo
	s_waitcnt lgkmcnt(0)
	v_cmpx_gt_u64_e64 s[2:3], v[4:5]
	s_cbranch_execz .LBB72_17
; %bb.15:
	s_clause 0x1
	s_load_dword s6, s[4:5], 0x30
	s_load_dwordx2 s[8:9], s[4:5], 0x20
	s_mov_b32 s1, 0
	v_lshlrev_b64 v[2:3], 2, v[4:5]
	s_mul_i32 s4, s7, s16
	s_mov_b32 s5, s1
	s_waitcnt lgkmcnt(0)
	s_add_i32 s0, s6, -1
	s_mul_hi_u32 s7, s6, s4
	v_mad_u64_u32 v[0:1], null, s6, v4, s[0:1]
	s_mul_i32 s6, s6, s4
	s_lshl_b64 s[6:7], s[6:7], 2
	v_not_b32_e32 v1, v1
	v_not_b32_e32 v0, v0
	v_lshlrev_b64 v[0:1], 2, v[0:1]
	v_add_co_u32 v0, vcc_lo, s14, v0
	v_add_co_ci_u32_e64 v1, null, s15, v1, vcc_lo
	v_add_co_u32 v2, vcc_lo, s8, v2
	v_add_co_ci_u32_e64 v3, null, s9, v3, vcc_lo
	s_sub_u32 s8, 0, s6
	s_subb_u32 s9, 0, s7
	s_lshl_b64 s[6:7], s[4:5], 2
	.p2align	6
.LBB72_16:                              ; =>This Inner Loop Header: Depth=1
	global_load_dword v6, v[0:1], off
	v_add_co_u32 v4, vcc_lo, v4, s4
	v_add_co_ci_u32_e64 v5, null, 0, v5, vcc_lo
	v_add_co_u32 v0, vcc_lo, v0, s8
	v_add_co_ci_u32_e64 v1, null, s9, v1, vcc_lo
	v_cmp_le_u64_e32 vcc_lo, s[2:3], v[4:5]
	s_or_b32 s1, vcc_lo, s1
	s_waitcnt vmcnt(0)
	global_store_dword v[2:3], v6, off
	v_add_co_u32 v2, s0, v2, s6
	v_add_co_ci_u32_e64 v3, null, s7, v3, s0
	s_andn2_b32 exec_lo, exec_lo, s1
	s_cbranch_execnz .LBB72_16
.LBB72_17:
	s_endpgm
	.section	.rodata,"a",@progbits
	.p2align	6, 0x0
	.amdhsa_kernel _ZN7rocprim17ROCPRIM_400000_NS6detail30init_device_scan_by_key_kernelINS1_19lookback_scan_stateINS0_5tupleIJibEEELb1ELb1EEEN6thrust23THRUST_200600_302600_NS16reverse_iteratorIPKiEEjNS1_16block_id_wrapperIjLb0EEEEEvT_jjPNSF_10value_typeET0_PNSt15iterator_traitsISI_E10value_typeEmT1_T2_
		.amdhsa_group_segment_fixed_size 0
		.amdhsa_private_segment_fixed_size 0
		.amdhsa_kernarg_size 312
		.amdhsa_user_sgpr_count 6
		.amdhsa_user_sgpr_private_segment_buffer 1
		.amdhsa_user_sgpr_dispatch_ptr 0
		.amdhsa_user_sgpr_queue_ptr 0
		.amdhsa_user_sgpr_kernarg_segment_ptr 1
		.amdhsa_user_sgpr_dispatch_id 0
		.amdhsa_user_sgpr_flat_scratch_init 0
		.amdhsa_user_sgpr_private_segment_size 0
		.amdhsa_wavefront_size32 1
		.amdhsa_uses_dynamic_stack 0
		.amdhsa_system_sgpr_private_segment_wavefront_offset 0
		.amdhsa_system_sgpr_workgroup_id_x 1
		.amdhsa_system_sgpr_workgroup_id_y 0
		.amdhsa_system_sgpr_workgroup_id_z 0
		.amdhsa_system_sgpr_workgroup_info 0
		.amdhsa_system_vgpr_workitem_id 0
		.amdhsa_next_free_vgpr 9
		.amdhsa_next_free_sgpr 17
		.amdhsa_reserve_vcc 1
		.amdhsa_reserve_flat_scratch 0
		.amdhsa_float_round_mode_32 0
		.amdhsa_float_round_mode_16_64 0
		.amdhsa_float_denorm_mode_32 3
		.amdhsa_float_denorm_mode_16_64 3
		.amdhsa_dx10_clamp 1
		.amdhsa_ieee_mode 1
		.amdhsa_fp16_overflow 0
		.amdhsa_workgroup_processor_mode 1
		.amdhsa_memory_ordered 1
		.amdhsa_forward_progress 1
		.amdhsa_shared_vgpr_count 0
		.amdhsa_exception_fp_ieee_invalid_op 0
		.amdhsa_exception_fp_denorm_src 0
		.amdhsa_exception_fp_ieee_div_zero 0
		.amdhsa_exception_fp_ieee_overflow 0
		.amdhsa_exception_fp_ieee_underflow 0
		.amdhsa_exception_fp_ieee_inexact 0
		.amdhsa_exception_int_div_zero 0
	.end_amdhsa_kernel
	.section	.text._ZN7rocprim17ROCPRIM_400000_NS6detail30init_device_scan_by_key_kernelINS1_19lookback_scan_stateINS0_5tupleIJibEEELb1ELb1EEEN6thrust23THRUST_200600_302600_NS16reverse_iteratorIPKiEEjNS1_16block_id_wrapperIjLb0EEEEEvT_jjPNSF_10value_typeET0_PNSt15iterator_traitsISI_E10value_typeEmT1_T2_,"axG",@progbits,_ZN7rocprim17ROCPRIM_400000_NS6detail30init_device_scan_by_key_kernelINS1_19lookback_scan_stateINS0_5tupleIJibEEELb1ELb1EEEN6thrust23THRUST_200600_302600_NS16reverse_iteratorIPKiEEjNS1_16block_id_wrapperIjLb0EEEEEvT_jjPNSF_10value_typeET0_PNSt15iterator_traitsISI_E10value_typeEmT1_T2_,comdat
.Lfunc_end72:
	.size	_ZN7rocprim17ROCPRIM_400000_NS6detail30init_device_scan_by_key_kernelINS1_19lookback_scan_stateINS0_5tupleIJibEEELb1ELb1EEEN6thrust23THRUST_200600_302600_NS16reverse_iteratorIPKiEEjNS1_16block_id_wrapperIjLb0EEEEEvT_jjPNSF_10value_typeET0_PNSt15iterator_traitsISI_E10value_typeEmT1_T2_, .Lfunc_end72-_ZN7rocprim17ROCPRIM_400000_NS6detail30init_device_scan_by_key_kernelINS1_19lookback_scan_stateINS0_5tupleIJibEEELb1ELb1EEEN6thrust23THRUST_200600_302600_NS16reverse_iteratorIPKiEEjNS1_16block_id_wrapperIjLb0EEEEEvT_jjPNSF_10value_typeET0_PNSt15iterator_traitsISI_E10value_typeEmT1_T2_
                                        ; -- End function
	.set _ZN7rocprim17ROCPRIM_400000_NS6detail30init_device_scan_by_key_kernelINS1_19lookback_scan_stateINS0_5tupleIJibEEELb1ELb1EEEN6thrust23THRUST_200600_302600_NS16reverse_iteratorIPKiEEjNS1_16block_id_wrapperIjLb0EEEEEvT_jjPNSF_10value_typeET0_PNSt15iterator_traitsISI_E10value_typeEmT1_T2_.num_vgpr, 9
	.set _ZN7rocprim17ROCPRIM_400000_NS6detail30init_device_scan_by_key_kernelINS1_19lookback_scan_stateINS0_5tupleIJibEEELb1ELb1EEEN6thrust23THRUST_200600_302600_NS16reverse_iteratorIPKiEEjNS1_16block_id_wrapperIjLb0EEEEEvT_jjPNSF_10value_typeET0_PNSt15iterator_traitsISI_E10value_typeEmT1_T2_.num_agpr, 0
	.set _ZN7rocprim17ROCPRIM_400000_NS6detail30init_device_scan_by_key_kernelINS1_19lookback_scan_stateINS0_5tupleIJibEEELb1ELb1EEEN6thrust23THRUST_200600_302600_NS16reverse_iteratorIPKiEEjNS1_16block_id_wrapperIjLb0EEEEEvT_jjPNSF_10value_typeET0_PNSt15iterator_traitsISI_E10value_typeEmT1_T2_.numbered_sgpr, 17
	.set _ZN7rocprim17ROCPRIM_400000_NS6detail30init_device_scan_by_key_kernelINS1_19lookback_scan_stateINS0_5tupleIJibEEELb1ELb1EEEN6thrust23THRUST_200600_302600_NS16reverse_iteratorIPKiEEjNS1_16block_id_wrapperIjLb0EEEEEvT_jjPNSF_10value_typeET0_PNSt15iterator_traitsISI_E10value_typeEmT1_T2_.num_named_barrier, 0
	.set _ZN7rocprim17ROCPRIM_400000_NS6detail30init_device_scan_by_key_kernelINS1_19lookback_scan_stateINS0_5tupleIJibEEELb1ELb1EEEN6thrust23THRUST_200600_302600_NS16reverse_iteratorIPKiEEjNS1_16block_id_wrapperIjLb0EEEEEvT_jjPNSF_10value_typeET0_PNSt15iterator_traitsISI_E10value_typeEmT1_T2_.private_seg_size, 0
	.set _ZN7rocprim17ROCPRIM_400000_NS6detail30init_device_scan_by_key_kernelINS1_19lookback_scan_stateINS0_5tupleIJibEEELb1ELb1EEEN6thrust23THRUST_200600_302600_NS16reverse_iteratorIPKiEEjNS1_16block_id_wrapperIjLb0EEEEEvT_jjPNSF_10value_typeET0_PNSt15iterator_traitsISI_E10value_typeEmT1_T2_.uses_vcc, 1
	.set _ZN7rocprim17ROCPRIM_400000_NS6detail30init_device_scan_by_key_kernelINS1_19lookback_scan_stateINS0_5tupleIJibEEELb1ELb1EEEN6thrust23THRUST_200600_302600_NS16reverse_iteratorIPKiEEjNS1_16block_id_wrapperIjLb0EEEEEvT_jjPNSF_10value_typeET0_PNSt15iterator_traitsISI_E10value_typeEmT1_T2_.uses_flat_scratch, 0
	.set _ZN7rocprim17ROCPRIM_400000_NS6detail30init_device_scan_by_key_kernelINS1_19lookback_scan_stateINS0_5tupleIJibEEELb1ELb1EEEN6thrust23THRUST_200600_302600_NS16reverse_iteratorIPKiEEjNS1_16block_id_wrapperIjLb0EEEEEvT_jjPNSF_10value_typeET0_PNSt15iterator_traitsISI_E10value_typeEmT1_T2_.has_dyn_sized_stack, 0
	.set _ZN7rocprim17ROCPRIM_400000_NS6detail30init_device_scan_by_key_kernelINS1_19lookback_scan_stateINS0_5tupleIJibEEELb1ELb1EEEN6thrust23THRUST_200600_302600_NS16reverse_iteratorIPKiEEjNS1_16block_id_wrapperIjLb0EEEEEvT_jjPNSF_10value_typeET0_PNSt15iterator_traitsISI_E10value_typeEmT1_T2_.has_recursion, 0
	.set _ZN7rocprim17ROCPRIM_400000_NS6detail30init_device_scan_by_key_kernelINS1_19lookback_scan_stateINS0_5tupleIJibEEELb1ELb1EEEN6thrust23THRUST_200600_302600_NS16reverse_iteratorIPKiEEjNS1_16block_id_wrapperIjLb0EEEEEvT_jjPNSF_10value_typeET0_PNSt15iterator_traitsISI_E10value_typeEmT1_T2_.has_indirect_call, 0
	.section	.AMDGPU.csdata,"",@progbits
; Kernel info:
; codeLenInByte = 728
; TotalNumSgprs: 19
; NumVgprs: 9
; ScratchSize: 0
; MemoryBound: 0
; FloatMode: 240
; IeeeMode: 1
; LDSByteSize: 0 bytes/workgroup (compile time only)
; SGPRBlocks: 0
; VGPRBlocks: 1
; NumSGPRsForWavesPerEU: 19
; NumVGPRsForWavesPerEU: 9
; Occupancy: 16
; WaveLimiterHint : 0
; COMPUTE_PGM_RSRC2:SCRATCH_EN: 0
; COMPUTE_PGM_RSRC2:USER_SGPR: 6
; COMPUTE_PGM_RSRC2:TRAP_HANDLER: 0
; COMPUTE_PGM_RSRC2:TGID_X_EN: 1
; COMPUTE_PGM_RSRC2:TGID_Y_EN: 0
; COMPUTE_PGM_RSRC2:TGID_Z_EN: 0
; COMPUTE_PGM_RSRC2:TIDIG_COMP_CNT: 0
	.section	.text._ZN7rocprim17ROCPRIM_400000_NS6detail17trampoline_kernelINS0_14default_configENS1_27scan_by_key_config_selectorIiiEEZZNS1_16scan_by_key_implILNS1_25lookback_scan_determinismE0ELb0ES3_N6thrust23THRUST_200600_302600_NS16reverse_iteratorIPKiEESD_NSA_IPiEEiN6hipcub16HIPCUB_304000_NS3MaxENSH_8EqualityEiEE10hipError_tPvRmT2_T3_T4_T5_mT6_T7_P12ihipStream_tbENKUlT_T0_E_clISt17integral_constantIbLb1EESZ_IbLb0EEEEDaSV_SW_EUlSV_E_NS1_11comp_targetILNS1_3genE0ELNS1_11target_archE4294967295ELNS1_3gpuE0ELNS1_3repE0EEENS1_30default_config_static_selectorELNS0_4arch9wavefront6targetE0EEEvT1_,"axG",@progbits,_ZN7rocprim17ROCPRIM_400000_NS6detail17trampoline_kernelINS0_14default_configENS1_27scan_by_key_config_selectorIiiEEZZNS1_16scan_by_key_implILNS1_25lookback_scan_determinismE0ELb0ES3_N6thrust23THRUST_200600_302600_NS16reverse_iteratorIPKiEESD_NSA_IPiEEiN6hipcub16HIPCUB_304000_NS3MaxENSH_8EqualityEiEE10hipError_tPvRmT2_T3_T4_T5_mT6_T7_P12ihipStream_tbENKUlT_T0_E_clISt17integral_constantIbLb1EESZ_IbLb0EEEEDaSV_SW_EUlSV_E_NS1_11comp_targetILNS1_3genE0ELNS1_11target_archE4294967295ELNS1_3gpuE0ELNS1_3repE0EEENS1_30default_config_static_selectorELNS0_4arch9wavefront6targetE0EEEvT1_,comdat
	.protected	_ZN7rocprim17ROCPRIM_400000_NS6detail17trampoline_kernelINS0_14default_configENS1_27scan_by_key_config_selectorIiiEEZZNS1_16scan_by_key_implILNS1_25lookback_scan_determinismE0ELb0ES3_N6thrust23THRUST_200600_302600_NS16reverse_iteratorIPKiEESD_NSA_IPiEEiN6hipcub16HIPCUB_304000_NS3MaxENSH_8EqualityEiEE10hipError_tPvRmT2_T3_T4_T5_mT6_T7_P12ihipStream_tbENKUlT_T0_E_clISt17integral_constantIbLb1EESZ_IbLb0EEEEDaSV_SW_EUlSV_E_NS1_11comp_targetILNS1_3genE0ELNS1_11target_archE4294967295ELNS1_3gpuE0ELNS1_3repE0EEENS1_30default_config_static_selectorELNS0_4arch9wavefront6targetE0EEEvT1_ ; -- Begin function _ZN7rocprim17ROCPRIM_400000_NS6detail17trampoline_kernelINS0_14default_configENS1_27scan_by_key_config_selectorIiiEEZZNS1_16scan_by_key_implILNS1_25lookback_scan_determinismE0ELb0ES3_N6thrust23THRUST_200600_302600_NS16reverse_iteratorIPKiEESD_NSA_IPiEEiN6hipcub16HIPCUB_304000_NS3MaxENSH_8EqualityEiEE10hipError_tPvRmT2_T3_T4_T5_mT6_T7_P12ihipStream_tbENKUlT_T0_E_clISt17integral_constantIbLb1EESZ_IbLb0EEEEDaSV_SW_EUlSV_E_NS1_11comp_targetILNS1_3genE0ELNS1_11target_archE4294967295ELNS1_3gpuE0ELNS1_3repE0EEENS1_30default_config_static_selectorELNS0_4arch9wavefront6targetE0EEEvT1_
	.globl	_ZN7rocprim17ROCPRIM_400000_NS6detail17trampoline_kernelINS0_14default_configENS1_27scan_by_key_config_selectorIiiEEZZNS1_16scan_by_key_implILNS1_25lookback_scan_determinismE0ELb0ES3_N6thrust23THRUST_200600_302600_NS16reverse_iteratorIPKiEESD_NSA_IPiEEiN6hipcub16HIPCUB_304000_NS3MaxENSH_8EqualityEiEE10hipError_tPvRmT2_T3_T4_T5_mT6_T7_P12ihipStream_tbENKUlT_T0_E_clISt17integral_constantIbLb1EESZ_IbLb0EEEEDaSV_SW_EUlSV_E_NS1_11comp_targetILNS1_3genE0ELNS1_11target_archE4294967295ELNS1_3gpuE0ELNS1_3repE0EEENS1_30default_config_static_selectorELNS0_4arch9wavefront6targetE0EEEvT1_
	.p2align	8
	.type	_ZN7rocprim17ROCPRIM_400000_NS6detail17trampoline_kernelINS0_14default_configENS1_27scan_by_key_config_selectorIiiEEZZNS1_16scan_by_key_implILNS1_25lookback_scan_determinismE0ELb0ES3_N6thrust23THRUST_200600_302600_NS16reverse_iteratorIPKiEESD_NSA_IPiEEiN6hipcub16HIPCUB_304000_NS3MaxENSH_8EqualityEiEE10hipError_tPvRmT2_T3_T4_T5_mT6_T7_P12ihipStream_tbENKUlT_T0_E_clISt17integral_constantIbLb1EESZ_IbLb0EEEEDaSV_SW_EUlSV_E_NS1_11comp_targetILNS1_3genE0ELNS1_11target_archE4294967295ELNS1_3gpuE0ELNS1_3repE0EEENS1_30default_config_static_selectorELNS0_4arch9wavefront6targetE0EEEvT1_,@function
_ZN7rocprim17ROCPRIM_400000_NS6detail17trampoline_kernelINS0_14default_configENS1_27scan_by_key_config_selectorIiiEEZZNS1_16scan_by_key_implILNS1_25lookback_scan_determinismE0ELb0ES3_N6thrust23THRUST_200600_302600_NS16reverse_iteratorIPKiEESD_NSA_IPiEEiN6hipcub16HIPCUB_304000_NS3MaxENSH_8EqualityEiEE10hipError_tPvRmT2_T3_T4_T5_mT6_T7_P12ihipStream_tbENKUlT_T0_E_clISt17integral_constantIbLb1EESZ_IbLb0EEEEDaSV_SW_EUlSV_E_NS1_11comp_targetILNS1_3genE0ELNS1_11target_archE4294967295ELNS1_3gpuE0ELNS1_3repE0EEENS1_30default_config_static_selectorELNS0_4arch9wavefront6targetE0EEEvT1_: ; @_ZN7rocprim17ROCPRIM_400000_NS6detail17trampoline_kernelINS0_14default_configENS1_27scan_by_key_config_selectorIiiEEZZNS1_16scan_by_key_implILNS1_25lookback_scan_determinismE0ELb0ES3_N6thrust23THRUST_200600_302600_NS16reverse_iteratorIPKiEESD_NSA_IPiEEiN6hipcub16HIPCUB_304000_NS3MaxENSH_8EqualityEiEE10hipError_tPvRmT2_T3_T4_T5_mT6_T7_P12ihipStream_tbENKUlT_T0_E_clISt17integral_constantIbLb1EESZ_IbLb0EEEEDaSV_SW_EUlSV_E_NS1_11comp_targetILNS1_3genE0ELNS1_11target_archE4294967295ELNS1_3gpuE0ELNS1_3repE0EEENS1_30default_config_static_selectorELNS0_4arch9wavefront6targetE0EEEvT1_
; %bb.0:
	.section	.rodata,"a",@progbits
	.p2align	6, 0x0
	.amdhsa_kernel _ZN7rocprim17ROCPRIM_400000_NS6detail17trampoline_kernelINS0_14default_configENS1_27scan_by_key_config_selectorIiiEEZZNS1_16scan_by_key_implILNS1_25lookback_scan_determinismE0ELb0ES3_N6thrust23THRUST_200600_302600_NS16reverse_iteratorIPKiEESD_NSA_IPiEEiN6hipcub16HIPCUB_304000_NS3MaxENSH_8EqualityEiEE10hipError_tPvRmT2_T3_T4_T5_mT6_T7_P12ihipStream_tbENKUlT_T0_E_clISt17integral_constantIbLb1EESZ_IbLb0EEEEDaSV_SW_EUlSV_E_NS1_11comp_targetILNS1_3genE0ELNS1_11target_archE4294967295ELNS1_3gpuE0ELNS1_3repE0EEENS1_30default_config_static_selectorELNS0_4arch9wavefront6targetE0EEEvT1_
		.amdhsa_group_segment_fixed_size 0
		.amdhsa_private_segment_fixed_size 0
		.amdhsa_kernarg_size 112
		.amdhsa_user_sgpr_count 6
		.amdhsa_user_sgpr_private_segment_buffer 1
		.amdhsa_user_sgpr_dispatch_ptr 0
		.amdhsa_user_sgpr_queue_ptr 0
		.amdhsa_user_sgpr_kernarg_segment_ptr 1
		.amdhsa_user_sgpr_dispatch_id 0
		.amdhsa_user_sgpr_flat_scratch_init 0
		.amdhsa_user_sgpr_private_segment_size 0
		.amdhsa_wavefront_size32 1
		.amdhsa_uses_dynamic_stack 0
		.amdhsa_system_sgpr_private_segment_wavefront_offset 0
		.amdhsa_system_sgpr_workgroup_id_x 1
		.amdhsa_system_sgpr_workgroup_id_y 0
		.amdhsa_system_sgpr_workgroup_id_z 0
		.amdhsa_system_sgpr_workgroup_info 0
		.amdhsa_system_vgpr_workitem_id 0
		.amdhsa_next_free_vgpr 1
		.amdhsa_next_free_sgpr 1
		.amdhsa_reserve_vcc 0
		.amdhsa_reserve_flat_scratch 0
		.amdhsa_float_round_mode_32 0
		.amdhsa_float_round_mode_16_64 0
		.amdhsa_float_denorm_mode_32 3
		.amdhsa_float_denorm_mode_16_64 3
		.amdhsa_dx10_clamp 1
		.amdhsa_ieee_mode 1
		.amdhsa_fp16_overflow 0
		.amdhsa_workgroup_processor_mode 1
		.amdhsa_memory_ordered 1
		.amdhsa_forward_progress 1
		.amdhsa_shared_vgpr_count 0
		.amdhsa_exception_fp_ieee_invalid_op 0
		.amdhsa_exception_fp_denorm_src 0
		.amdhsa_exception_fp_ieee_div_zero 0
		.amdhsa_exception_fp_ieee_overflow 0
		.amdhsa_exception_fp_ieee_underflow 0
		.amdhsa_exception_fp_ieee_inexact 0
		.amdhsa_exception_int_div_zero 0
	.end_amdhsa_kernel
	.section	.text._ZN7rocprim17ROCPRIM_400000_NS6detail17trampoline_kernelINS0_14default_configENS1_27scan_by_key_config_selectorIiiEEZZNS1_16scan_by_key_implILNS1_25lookback_scan_determinismE0ELb0ES3_N6thrust23THRUST_200600_302600_NS16reverse_iteratorIPKiEESD_NSA_IPiEEiN6hipcub16HIPCUB_304000_NS3MaxENSH_8EqualityEiEE10hipError_tPvRmT2_T3_T4_T5_mT6_T7_P12ihipStream_tbENKUlT_T0_E_clISt17integral_constantIbLb1EESZ_IbLb0EEEEDaSV_SW_EUlSV_E_NS1_11comp_targetILNS1_3genE0ELNS1_11target_archE4294967295ELNS1_3gpuE0ELNS1_3repE0EEENS1_30default_config_static_selectorELNS0_4arch9wavefront6targetE0EEEvT1_,"axG",@progbits,_ZN7rocprim17ROCPRIM_400000_NS6detail17trampoline_kernelINS0_14default_configENS1_27scan_by_key_config_selectorIiiEEZZNS1_16scan_by_key_implILNS1_25lookback_scan_determinismE0ELb0ES3_N6thrust23THRUST_200600_302600_NS16reverse_iteratorIPKiEESD_NSA_IPiEEiN6hipcub16HIPCUB_304000_NS3MaxENSH_8EqualityEiEE10hipError_tPvRmT2_T3_T4_T5_mT6_T7_P12ihipStream_tbENKUlT_T0_E_clISt17integral_constantIbLb1EESZ_IbLb0EEEEDaSV_SW_EUlSV_E_NS1_11comp_targetILNS1_3genE0ELNS1_11target_archE4294967295ELNS1_3gpuE0ELNS1_3repE0EEENS1_30default_config_static_selectorELNS0_4arch9wavefront6targetE0EEEvT1_,comdat
.Lfunc_end73:
	.size	_ZN7rocprim17ROCPRIM_400000_NS6detail17trampoline_kernelINS0_14default_configENS1_27scan_by_key_config_selectorIiiEEZZNS1_16scan_by_key_implILNS1_25lookback_scan_determinismE0ELb0ES3_N6thrust23THRUST_200600_302600_NS16reverse_iteratorIPKiEESD_NSA_IPiEEiN6hipcub16HIPCUB_304000_NS3MaxENSH_8EqualityEiEE10hipError_tPvRmT2_T3_T4_T5_mT6_T7_P12ihipStream_tbENKUlT_T0_E_clISt17integral_constantIbLb1EESZ_IbLb0EEEEDaSV_SW_EUlSV_E_NS1_11comp_targetILNS1_3genE0ELNS1_11target_archE4294967295ELNS1_3gpuE0ELNS1_3repE0EEENS1_30default_config_static_selectorELNS0_4arch9wavefront6targetE0EEEvT1_, .Lfunc_end73-_ZN7rocprim17ROCPRIM_400000_NS6detail17trampoline_kernelINS0_14default_configENS1_27scan_by_key_config_selectorIiiEEZZNS1_16scan_by_key_implILNS1_25lookback_scan_determinismE0ELb0ES3_N6thrust23THRUST_200600_302600_NS16reverse_iteratorIPKiEESD_NSA_IPiEEiN6hipcub16HIPCUB_304000_NS3MaxENSH_8EqualityEiEE10hipError_tPvRmT2_T3_T4_T5_mT6_T7_P12ihipStream_tbENKUlT_T0_E_clISt17integral_constantIbLb1EESZ_IbLb0EEEEDaSV_SW_EUlSV_E_NS1_11comp_targetILNS1_3genE0ELNS1_11target_archE4294967295ELNS1_3gpuE0ELNS1_3repE0EEENS1_30default_config_static_selectorELNS0_4arch9wavefront6targetE0EEEvT1_
                                        ; -- End function
	.set _ZN7rocprim17ROCPRIM_400000_NS6detail17trampoline_kernelINS0_14default_configENS1_27scan_by_key_config_selectorIiiEEZZNS1_16scan_by_key_implILNS1_25lookback_scan_determinismE0ELb0ES3_N6thrust23THRUST_200600_302600_NS16reverse_iteratorIPKiEESD_NSA_IPiEEiN6hipcub16HIPCUB_304000_NS3MaxENSH_8EqualityEiEE10hipError_tPvRmT2_T3_T4_T5_mT6_T7_P12ihipStream_tbENKUlT_T0_E_clISt17integral_constantIbLb1EESZ_IbLb0EEEEDaSV_SW_EUlSV_E_NS1_11comp_targetILNS1_3genE0ELNS1_11target_archE4294967295ELNS1_3gpuE0ELNS1_3repE0EEENS1_30default_config_static_selectorELNS0_4arch9wavefront6targetE0EEEvT1_.num_vgpr, 0
	.set _ZN7rocprim17ROCPRIM_400000_NS6detail17trampoline_kernelINS0_14default_configENS1_27scan_by_key_config_selectorIiiEEZZNS1_16scan_by_key_implILNS1_25lookback_scan_determinismE0ELb0ES3_N6thrust23THRUST_200600_302600_NS16reverse_iteratorIPKiEESD_NSA_IPiEEiN6hipcub16HIPCUB_304000_NS3MaxENSH_8EqualityEiEE10hipError_tPvRmT2_T3_T4_T5_mT6_T7_P12ihipStream_tbENKUlT_T0_E_clISt17integral_constantIbLb1EESZ_IbLb0EEEEDaSV_SW_EUlSV_E_NS1_11comp_targetILNS1_3genE0ELNS1_11target_archE4294967295ELNS1_3gpuE0ELNS1_3repE0EEENS1_30default_config_static_selectorELNS0_4arch9wavefront6targetE0EEEvT1_.num_agpr, 0
	.set _ZN7rocprim17ROCPRIM_400000_NS6detail17trampoline_kernelINS0_14default_configENS1_27scan_by_key_config_selectorIiiEEZZNS1_16scan_by_key_implILNS1_25lookback_scan_determinismE0ELb0ES3_N6thrust23THRUST_200600_302600_NS16reverse_iteratorIPKiEESD_NSA_IPiEEiN6hipcub16HIPCUB_304000_NS3MaxENSH_8EqualityEiEE10hipError_tPvRmT2_T3_T4_T5_mT6_T7_P12ihipStream_tbENKUlT_T0_E_clISt17integral_constantIbLb1EESZ_IbLb0EEEEDaSV_SW_EUlSV_E_NS1_11comp_targetILNS1_3genE0ELNS1_11target_archE4294967295ELNS1_3gpuE0ELNS1_3repE0EEENS1_30default_config_static_selectorELNS0_4arch9wavefront6targetE0EEEvT1_.numbered_sgpr, 0
	.set _ZN7rocprim17ROCPRIM_400000_NS6detail17trampoline_kernelINS0_14default_configENS1_27scan_by_key_config_selectorIiiEEZZNS1_16scan_by_key_implILNS1_25lookback_scan_determinismE0ELb0ES3_N6thrust23THRUST_200600_302600_NS16reverse_iteratorIPKiEESD_NSA_IPiEEiN6hipcub16HIPCUB_304000_NS3MaxENSH_8EqualityEiEE10hipError_tPvRmT2_T3_T4_T5_mT6_T7_P12ihipStream_tbENKUlT_T0_E_clISt17integral_constantIbLb1EESZ_IbLb0EEEEDaSV_SW_EUlSV_E_NS1_11comp_targetILNS1_3genE0ELNS1_11target_archE4294967295ELNS1_3gpuE0ELNS1_3repE0EEENS1_30default_config_static_selectorELNS0_4arch9wavefront6targetE0EEEvT1_.num_named_barrier, 0
	.set _ZN7rocprim17ROCPRIM_400000_NS6detail17trampoline_kernelINS0_14default_configENS1_27scan_by_key_config_selectorIiiEEZZNS1_16scan_by_key_implILNS1_25lookback_scan_determinismE0ELb0ES3_N6thrust23THRUST_200600_302600_NS16reverse_iteratorIPKiEESD_NSA_IPiEEiN6hipcub16HIPCUB_304000_NS3MaxENSH_8EqualityEiEE10hipError_tPvRmT2_T3_T4_T5_mT6_T7_P12ihipStream_tbENKUlT_T0_E_clISt17integral_constantIbLb1EESZ_IbLb0EEEEDaSV_SW_EUlSV_E_NS1_11comp_targetILNS1_3genE0ELNS1_11target_archE4294967295ELNS1_3gpuE0ELNS1_3repE0EEENS1_30default_config_static_selectorELNS0_4arch9wavefront6targetE0EEEvT1_.private_seg_size, 0
	.set _ZN7rocprim17ROCPRIM_400000_NS6detail17trampoline_kernelINS0_14default_configENS1_27scan_by_key_config_selectorIiiEEZZNS1_16scan_by_key_implILNS1_25lookback_scan_determinismE0ELb0ES3_N6thrust23THRUST_200600_302600_NS16reverse_iteratorIPKiEESD_NSA_IPiEEiN6hipcub16HIPCUB_304000_NS3MaxENSH_8EqualityEiEE10hipError_tPvRmT2_T3_T4_T5_mT6_T7_P12ihipStream_tbENKUlT_T0_E_clISt17integral_constantIbLb1EESZ_IbLb0EEEEDaSV_SW_EUlSV_E_NS1_11comp_targetILNS1_3genE0ELNS1_11target_archE4294967295ELNS1_3gpuE0ELNS1_3repE0EEENS1_30default_config_static_selectorELNS0_4arch9wavefront6targetE0EEEvT1_.uses_vcc, 0
	.set _ZN7rocprim17ROCPRIM_400000_NS6detail17trampoline_kernelINS0_14default_configENS1_27scan_by_key_config_selectorIiiEEZZNS1_16scan_by_key_implILNS1_25lookback_scan_determinismE0ELb0ES3_N6thrust23THRUST_200600_302600_NS16reverse_iteratorIPKiEESD_NSA_IPiEEiN6hipcub16HIPCUB_304000_NS3MaxENSH_8EqualityEiEE10hipError_tPvRmT2_T3_T4_T5_mT6_T7_P12ihipStream_tbENKUlT_T0_E_clISt17integral_constantIbLb1EESZ_IbLb0EEEEDaSV_SW_EUlSV_E_NS1_11comp_targetILNS1_3genE0ELNS1_11target_archE4294967295ELNS1_3gpuE0ELNS1_3repE0EEENS1_30default_config_static_selectorELNS0_4arch9wavefront6targetE0EEEvT1_.uses_flat_scratch, 0
	.set _ZN7rocprim17ROCPRIM_400000_NS6detail17trampoline_kernelINS0_14default_configENS1_27scan_by_key_config_selectorIiiEEZZNS1_16scan_by_key_implILNS1_25lookback_scan_determinismE0ELb0ES3_N6thrust23THRUST_200600_302600_NS16reverse_iteratorIPKiEESD_NSA_IPiEEiN6hipcub16HIPCUB_304000_NS3MaxENSH_8EqualityEiEE10hipError_tPvRmT2_T3_T4_T5_mT6_T7_P12ihipStream_tbENKUlT_T0_E_clISt17integral_constantIbLb1EESZ_IbLb0EEEEDaSV_SW_EUlSV_E_NS1_11comp_targetILNS1_3genE0ELNS1_11target_archE4294967295ELNS1_3gpuE0ELNS1_3repE0EEENS1_30default_config_static_selectorELNS0_4arch9wavefront6targetE0EEEvT1_.has_dyn_sized_stack, 0
	.set _ZN7rocprim17ROCPRIM_400000_NS6detail17trampoline_kernelINS0_14default_configENS1_27scan_by_key_config_selectorIiiEEZZNS1_16scan_by_key_implILNS1_25lookback_scan_determinismE0ELb0ES3_N6thrust23THRUST_200600_302600_NS16reverse_iteratorIPKiEESD_NSA_IPiEEiN6hipcub16HIPCUB_304000_NS3MaxENSH_8EqualityEiEE10hipError_tPvRmT2_T3_T4_T5_mT6_T7_P12ihipStream_tbENKUlT_T0_E_clISt17integral_constantIbLb1EESZ_IbLb0EEEEDaSV_SW_EUlSV_E_NS1_11comp_targetILNS1_3genE0ELNS1_11target_archE4294967295ELNS1_3gpuE0ELNS1_3repE0EEENS1_30default_config_static_selectorELNS0_4arch9wavefront6targetE0EEEvT1_.has_recursion, 0
	.set _ZN7rocprim17ROCPRIM_400000_NS6detail17trampoline_kernelINS0_14default_configENS1_27scan_by_key_config_selectorIiiEEZZNS1_16scan_by_key_implILNS1_25lookback_scan_determinismE0ELb0ES3_N6thrust23THRUST_200600_302600_NS16reverse_iteratorIPKiEESD_NSA_IPiEEiN6hipcub16HIPCUB_304000_NS3MaxENSH_8EqualityEiEE10hipError_tPvRmT2_T3_T4_T5_mT6_T7_P12ihipStream_tbENKUlT_T0_E_clISt17integral_constantIbLb1EESZ_IbLb0EEEEDaSV_SW_EUlSV_E_NS1_11comp_targetILNS1_3genE0ELNS1_11target_archE4294967295ELNS1_3gpuE0ELNS1_3repE0EEENS1_30default_config_static_selectorELNS0_4arch9wavefront6targetE0EEEvT1_.has_indirect_call, 0
	.section	.AMDGPU.csdata,"",@progbits
; Kernel info:
; codeLenInByte = 0
; TotalNumSgprs: 0
; NumVgprs: 0
; ScratchSize: 0
; MemoryBound: 0
; FloatMode: 240
; IeeeMode: 1
; LDSByteSize: 0 bytes/workgroup (compile time only)
; SGPRBlocks: 0
; VGPRBlocks: 0
; NumSGPRsForWavesPerEU: 1
; NumVGPRsForWavesPerEU: 1
; Occupancy: 16
; WaveLimiterHint : 0
; COMPUTE_PGM_RSRC2:SCRATCH_EN: 0
; COMPUTE_PGM_RSRC2:USER_SGPR: 6
; COMPUTE_PGM_RSRC2:TRAP_HANDLER: 0
; COMPUTE_PGM_RSRC2:TGID_X_EN: 1
; COMPUTE_PGM_RSRC2:TGID_Y_EN: 0
; COMPUTE_PGM_RSRC2:TGID_Z_EN: 0
; COMPUTE_PGM_RSRC2:TIDIG_COMP_CNT: 0
	.section	.text._ZN7rocprim17ROCPRIM_400000_NS6detail17trampoline_kernelINS0_14default_configENS1_27scan_by_key_config_selectorIiiEEZZNS1_16scan_by_key_implILNS1_25lookback_scan_determinismE0ELb0ES3_N6thrust23THRUST_200600_302600_NS16reverse_iteratorIPKiEESD_NSA_IPiEEiN6hipcub16HIPCUB_304000_NS3MaxENSH_8EqualityEiEE10hipError_tPvRmT2_T3_T4_T5_mT6_T7_P12ihipStream_tbENKUlT_T0_E_clISt17integral_constantIbLb1EESZ_IbLb0EEEEDaSV_SW_EUlSV_E_NS1_11comp_targetILNS1_3genE10ELNS1_11target_archE1201ELNS1_3gpuE5ELNS1_3repE0EEENS1_30default_config_static_selectorELNS0_4arch9wavefront6targetE0EEEvT1_,"axG",@progbits,_ZN7rocprim17ROCPRIM_400000_NS6detail17trampoline_kernelINS0_14default_configENS1_27scan_by_key_config_selectorIiiEEZZNS1_16scan_by_key_implILNS1_25lookback_scan_determinismE0ELb0ES3_N6thrust23THRUST_200600_302600_NS16reverse_iteratorIPKiEESD_NSA_IPiEEiN6hipcub16HIPCUB_304000_NS3MaxENSH_8EqualityEiEE10hipError_tPvRmT2_T3_T4_T5_mT6_T7_P12ihipStream_tbENKUlT_T0_E_clISt17integral_constantIbLb1EESZ_IbLb0EEEEDaSV_SW_EUlSV_E_NS1_11comp_targetILNS1_3genE10ELNS1_11target_archE1201ELNS1_3gpuE5ELNS1_3repE0EEENS1_30default_config_static_selectorELNS0_4arch9wavefront6targetE0EEEvT1_,comdat
	.protected	_ZN7rocprim17ROCPRIM_400000_NS6detail17trampoline_kernelINS0_14default_configENS1_27scan_by_key_config_selectorIiiEEZZNS1_16scan_by_key_implILNS1_25lookback_scan_determinismE0ELb0ES3_N6thrust23THRUST_200600_302600_NS16reverse_iteratorIPKiEESD_NSA_IPiEEiN6hipcub16HIPCUB_304000_NS3MaxENSH_8EqualityEiEE10hipError_tPvRmT2_T3_T4_T5_mT6_T7_P12ihipStream_tbENKUlT_T0_E_clISt17integral_constantIbLb1EESZ_IbLb0EEEEDaSV_SW_EUlSV_E_NS1_11comp_targetILNS1_3genE10ELNS1_11target_archE1201ELNS1_3gpuE5ELNS1_3repE0EEENS1_30default_config_static_selectorELNS0_4arch9wavefront6targetE0EEEvT1_ ; -- Begin function _ZN7rocprim17ROCPRIM_400000_NS6detail17trampoline_kernelINS0_14default_configENS1_27scan_by_key_config_selectorIiiEEZZNS1_16scan_by_key_implILNS1_25lookback_scan_determinismE0ELb0ES3_N6thrust23THRUST_200600_302600_NS16reverse_iteratorIPKiEESD_NSA_IPiEEiN6hipcub16HIPCUB_304000_NS3MaxENSH_8EqualityEiEE10hipError_tPvRmT2_T3_T4_T5_mT6_T7_P12ihipStream_tbENKUlT_T0_E_clISt17integral_constantIbLb1EESZ_IbLb0EEEEDaSV_SW_EUlSV_E_NS1_11comp_targetILNS1_3genE10ELNS1_11target_archE1201ELNS1_3gpuE5ELNS1_3repE0EEENS1_30default_config_static_selectorELNS0_4arch9wavefront6targetE0EEEvT1_
	.globl	_ZN7rocprim17ROCPRIM_400000_NS6detail17trampoline_kernelINS0_14default_configENS1_27scan_by_key_config_selectorIiiEEZZNS1_16scan_by_key_implILNS1_25lookback_scan_determinismE0ELb0ES3_N6thrust23THRUST_200600_302600_NS16reverse_iteratorIPKiEESD_NSA_IPiEEiN6hipcub16HIPCUB_304000_NS3MaxENSH_8EqualityEiEE10hipError_tPvRmT2_T3_T4_T5_mT6_T7_P12ihipStream_tbENKUlT_T0_E_clISt17integral_constantIbLb1EESZ_IbLb0EEEEDaSV_SW_EUlSV_E_NS1_11comp_targetILNS1_3genE10ELNS1_11target_archE1201ELNS1_3gpuE5ELNS1_3repE0EEENS1_30default_config_static_selectorELNS0_4arch9wavefront6targetE0EEEvT1_
	.p2align	8
	.type	_ZN7rocprim17ROCPRIM_400000_NS6detail17trampoline_kernelINS0_14default_configENS1_27scan_by_key_config_selectorIiiEEZZNS1_16scan_by_key_implILNS1_25lookback_scan_determinismE0ELb0ES3_N6thrust23THRUST_200600_302600_NS16reverse_iteratorIPKiEESD_NSA_IPiEEiN6hipcub16HIPCUB_304000_NS3MaxENSH_8EqualityEiEE10hipError_tPvRmT2_T3_T4_T5_mT6_T7_P12ihipStream_tbENKUlT_T0_E_clISt17integral_constantIbLb1EESZ_IbLb0EEEEDaSV_SW_EUlSV_E_NS1_11comp_targetILNS1_3genE10ELNS1_11target_archE1201ELNS1_3gpuE5ELNS1_3repE0EEENS1_30default_config_static_selectorELNS0_4arch9wavefront6targetE0EEEvT1_,@function
_ZN7rocprim17ROCPRIM_400000_NS6detail17trampoline_kernelINS0_14default_configENS1_27scan_by_key_config_selectorIiiEEZZNS1_16scan_by_key_implILNS1_25lookback_scan_determinismE0ELb0ES3_N6thrust23THRUST_200600_302600_NS16reverse_iteratorIPKiEESD_NSA_IPiEEiN6hipcub16HIPCUB_304000_NS3MaxENSH_8EqualityEiEE10hipError_tPvRmT2_T3_T4_T5_mT6_T7_P12ihipStream_tbENKUlT_T0_E_clISt17integral_constantIbLb1EESZ_IbLb0EEEEDaSV_SW_EUlSV_E_NS1_11comp_targetILNS1_3genE10ELNS1_11target_archE1201ELNS1_3gpuE5ELNS1_3repE0EEENS1_30default_config_static_selectorELNS0_4arch9wavefront6targetE0EEEvT1_: ; @_ZN7rocprim17ROCPRIM_400000_NS6detail17trampoline_kernelINS0_14default_configENS1_27scan_by_key_config_selectorIiiEEZZNS1_16scan_by_key_implILNS1_25lookback_scan_determinismE0ELb0ES3_N6thrust23THRUST_200600_302600_NS16reverse_iteratorIPKiEESD_NSA_IPiEEiN6hipcub16HIPCUB_304000_NS3MaxENSH_8EqualityEiEE10hipError_tPvRmT2_T3_T4_T5_mT6_T7_P12ihipStream_tbENKUlT_T0_E_clISt17integral_constantIbLb1EESZ_IbLb0EEEEDaSV_SW_EUlSV_E_NS1_11comp_targetILNS1_3genE10ELNS1_11target_archE1201ELNS1_3gpuE5ELNS1_3repE0EEENS1_30default_config_static_selectorELNS0_4arch9wavefront6targetE0EEEvT1_
; %bb.0:
	.section	.rodata,"a",@progbits
	.p2align	6, 0x0
	.amdhsa_kernel _ZN7rocprim17ROCPRIM_400000_NS6detail17trampoline_kernelINS0_14default_configENS1_27scan_by_key_config_selectorIiiEEZZNS1_16scan_by_key_implILNS1_25lookback_scan_determinismE0ELb0ES3_N6thrust23THRUST_200600_302600_NS16reverse_iteratorIPKiEESD_NSA_IPiEEiN6hipcub16HIPCUB_304000_NS3MaxENSH_8EqualityEiEE10hipError_tPvRmT2_T3_T4_T5_mT6_T7_P12ihipStream_tbENKUlT_T0_E_clISt17integral_constantIbLb1EESZ_IbLb0EEEEDaSV_SW_EUlSV_E_NS1_11comp_targetILNS1_3genE10ELNS1_11target_archE1201ELNS1_3gpuE5ELNS1_3repE0EEENS1_30default_config_static_selectorELNS0_4arch9wavefront6targetE0EEEvT1_
		.amdhsa_group_segment_fixed_size 0
		.amdhsa_private_segment_fixed_size 0
		.amdhsa_kernarg_size 112
		.amdhsa_user_sgpr_count 6
		.amdhsa_user_sgpr_private_segment_buffer 1
		.amdhsa_user_sgpr_dispatch_ptr 0
		.amdhsa_user_sgpr_queue_ptr 0
		.amdhsa_user_sgpr_kernarg_segment_ptr 1
		.amdhsa_user_sgpr_dispatch_id 0
		.amdhsa_user_sgpr_flat_scratch_init 0
		.amdhsa_user_sgpr_private_segment_size 0
		.amdhsa_wavefront_size32 1
		.amdhsa_uses_dynamic_stack 0
		.amdhsa_system_sgpr_private_segment_wavefront_offset 0
		.amdhsa_system_sgpr_workgroup_id_x 1
		.amdhsa_system_sgpr_workgroup_id_y 0
		.amdhsa_system_sgpr_workgroup_id_z 0
		.amdhsa_system_sgpr_workgroup_info 0
		.amdhsa_system_vgpr_workitem_id 0
		.amdhsa_next_free_vgpr 1
		.amdhsa_next_free_sgpr 1
		.amdhsa_reserve_vcc 0
		.amdhsa_reserve_flat_scratch 0
		.amdhsa_float_round_mode_32 0
		.amdhsa_float_round_mode_16_64 0
		.amdhsa_float_denorm_mode_32 3
		.amdhsa_float_denorm_mode_16_64 3
		.amdhsa_dx10_clamp 1
		.amdhsa_ieee_mode 1
		.amdhsa_fp16_overflow 0
		.amdhsa_workgroup_processor_mode 1
		.amdhsa_memory_ordered 1
		.amdhsa_forward_progress 1
		.amdhsa_shared_vgpr_count 0
		.amdhsa_exception_fp_ieee_invalid_op 0
		.amdhsa_exception_fp_denorm_src 0
		.amdhsa_exception_fp_ieee_div_zero 0
		.amdhsa_exception_fp_ieee_overflow 0
		.amdhsa_exception_fp_ieee_underflow 0
		.amdhsa_exception_fp_ieee_inexact 0
		.amdhsa_exception_int_div_zero 0
	.end_amdhsa_kernel
	.section	.text._ZN7rocprim17ROCPRIM_400000_NS6detail17trampoline_kernelINS0_14default_configENS1_27scan_by_key_config_selectorIiiEEZZNS1_16scan_by_key_implILNS1_25lookback_scan_determinismE0ELb0ES3_N6thrust23THRUST_200600_302600_NS16reverse_iteratorIPKiEESD_NSA_IPiEEiN6hipcub16HIPCUB_304000_NS3MaxENSH_8EqualityEiEE10hipError_tPvRmT2_T3_T4_T5_mT6_T7_P12ihipStream_tbENKUlT_T0_E_clISt17integral_constantIbLb1EESZ_IbLb0EEEEDaSV_SW_EUlSV_E_NS1_11comp_targetILNS1_3genE10ELNS1_11target_archE1201ELNS1_3gpuE5ELNS1_3repE0EEENS1_30default_config_static_selectorELNS0_4arch9wavefront6targetE0EEEvT1_,"axG",@progbits,_ZN7rocprim17ROCPRIM_400000_NS6detail17trampoline_kernelINS0_14default_configENS1_27scan_by_key_config_selectorIiiEEZZNS1_16scan_by_key_implILNS1_25lookback_scan_determinismE0ELb0ES3_N6thrust23THRUST_200600_302600_NS16reverse_iteratorIPKiEESD_NSA_IPiEEiN6hipcub16HIPCUB_304000_NS3MaxENSH_8EqualityEiEE10hipError_tPvRmT2_T3_T4_T5_mT6_T7_P12ihipStream_tbENKUlT_T0_E_clISt17integral_constantIbLb1EESZ_IbLb0EEEEDaSV_SW_EUlSV_E_NS1_11comp_targetILNS1_3genE10ELNS1_11target_archE1201ELNS1_3gpuE5ELNS1_3repE0EEENS1_30default_config_static_selectorELNS0_4arch9wavefront6targetE0EEEvT1_,comdat
.Lfunc_end74:
	.size	_ZN7rocprim17ROCPRIM_400000_NS6detail17trampoline_kernelINS0_14default_configENS1_27scan_by_key_config_selectorIiiEEZZNS1_16scan_by_key_implILNS1_25lookback_scan_determinismE0ELb0ES3_N6thrust23THRUST_200600_302600_NS16reverse_iteratorIPKiEESD_NSA_IPiEEiN6hipcub16HIPCUB_304000_NS3MaxENSH_8EqualityEiEE10hipError_tPvRmT2_T3_T4_T5_mT6_T7_P12ihipStream_tbENKUlT_T0_E_clISt17integral_constantIbLb1EESZ_IbLb0EEEEDaSV_SW_EUlSV_E_NS1_11comp_targetILNS1_3genE10ELNS1_11target_archE1201ELNS1_3gpuE5ELNS1_3repE0EEENS1_30default_config_static_selectorELNS0_4arch9wavefront6targetE0EEEvT1_, .Lfunc_end74-_ZN7rocprim17ROCPRIM_400000_NS6detail17trampoline_kernelINS0_14default_configENS1_27scan_by_key_config_selectorIiiEEZZNS1_16scan_by_key_implILNS1_25lookback_scan_determinismE0ELb0ES3_N6thrust23THRUST_200600_302600_NS16reverse_iteratorIPKiEESD_NSA_IPiEEiN6hipcub16HIPCUB_304000_NS3MaxENSH_8EqualityEiEE10hipError_tPvRmT2_T3_T4_T5_mT6_T7_P12ihipStream_tbENKUlT_T0_E_clISt17integral_constantIbLb1EESZ_IbLb0EEEEDaSV_SW_EUlSV_E_NS1_11comp_targetILNS1_3genE10ELNS1_11target_archE1201ELNS1_3gpuE5ELNS1_3repE0EEENS1_30default_config_static_selectorELNS0_4arch9wavefront6targetE0EEEvT1_
                                        ; -- End function
	.set _ZN7rocprim17ROCPRIM_400000_NS6detail17trampoline_kernelINS0_14default_configENS1_27scan_by_key_config_selectorIiiEEZZNS1_16scan_by_key_implILNS1_25lookback_scan_determinismE0ELb0ES3_N6thrust23THRUST_200600_302600_NS16reverse_iteratorIPKiEESD_NSA_IPiEEiN6hipcub16HIPCUB_304000_NS3MaxENSH_8EqualityEiEE10hipError_tPvRmT2_T3_T4_T5_mT6_T7_P12ihipStream_tbENKUlT_T0_E_clISt17integral_constantIbLb1EESZ_IbLb0EEEEDaSV_SW_EUlSV_E_NS1_11comp_targetILNS1_3genE10ELNS1_11target_archE1201ELNS1_3gpuE5ELNS1_3repE0EEENS1_30default_config_static_selectorELNS0_4arch9wavefront6targetE0EEEvT1_.num_vgpr, 0
	.set _ZN7rocprim17ROCPRIM_400000_NS6detail17trampoline_kernelINS0_14default_configENS1_27scan_by_key_config_selectorIiiEEZZNS1_16scan_by_key_implILNS1_25lookback_scan_determinismE0ELb0ES3_N6thrust23THRUST_200600_302600_NS16reverse_iteratorIPKiEESD_NSA_IPiEEiN6hipcub16HIPCUB_304000_NS3MaxENSH_8EqualityEiEE10hipError_tPvRmT2_T3_T4_T5_mT6_T7_P12ihipStream_tbENKUlT_T0_E_clISt17integral_constantIbLb1EESZ_IbLb0EEEEDaSV_SW_EUlSV_E_NS1_11comp_targetILNS1_3genE10ELNS1_11target_archE1201ELNS1_3gpuE5ELNS1_3repE0EEENS1_30default_config_static_selectorELNS0_4arch9wavefront6targetE0EEEvT1_.num_agpr, 0
	.set _ZN7rocprim17ROCPRIM_400000_NS6detail17trampoline_kernelINS0_14default_configENS1_27scan_by_key_config_selectorIiiEEZZNS1_16scan_by_key_implILNS1_25lookback_scan_determinismE0ELb0ES3_N6thrust23THRUST_200600_302600_NS16reverse_iteratorIPKiEESD_NSA_IPiEEiN6hipcub16HIPCUB_304000_NS3MaxENSH_8EqualityEiEE10hipError_tPvRmT2_T3_T4_T5_mT6_T7_P12ihipStream_tbENKUlT_T0_E_clISt17integral_constantIbLb1EESZ_IbLb0EEEEDaSV_SW_EUlSV_E_NS1_11comp_targetILNS1_3genE10ELNS1_11target_archE1201ELNS1_3gpuE5ELNS1_3repE0EEENS1_30default_config_static_selectorELNS0_4arch9wavefront6targetE0EEEvT1_.numbered_sgpr, 0
	.set _ZN7rocprim17ROCPRIM_400000_NS6detail17trampoline_kernelINS0_14default_configENS1_27scan_by_key_config_selectorIiiEEZZNS1_16scan_by_key_implILNS1_25lookback_scan_determinismE0ELb0ES3_N6thrust23THRUST_200600_302600_NS16reverse_iteratorIPKiEESD_NSA_IPiEEiN6hipcub16HIPCUB_304000_NS3MaxENSH_8EqualityEiEE10hipError_tPvRmT2_T3_T4_T5_mT6_T7_P12ihipStream_tbENKUlT_T0_E_clISt17integral_constantIbLb1EESZ_IbLb0EEEEDaSV_SW_EUlSV_E_NS1_11comp_targetILNS1_3genE10ELNS1_11target_archE1201ELNS1_3gpuE5ELNS1_3repE0EEENS1_30default_config_static_selectorELNS0_4arch9wavefront6targetE0EEEvT1_.num_named_barrier, 0
	.set _ZN7rocprim17ROCPRIM_400000_NS6detail17trampoline_kernelINS0_14default_configENS1_27scan_by_key_config_selectorIiiEEZZNS1_16scan_by_key_implILNS1_25lookback_scan_determinismE0ELb0ES3_N6thrust23THRUST_200600_302600_NS16reverse_iteratorIPKiEESD_NSA_IPiEEiN6hipcub16HIPCUB_304000_NS3MaxENSH_8EqualityEiEE10hipError_tPvRmT2_T3_T4_T5_mT6_T7_P12ihipStream_tbENKUlT_T0_E_clISt17integral_constantIbLb1EESZ_IbLb0EEEEDaSV_SW_EUlSV_E_NS1_11comp_targetILNS1_3genE10ELNS1_11target_archE1201ELNS1_3gpuE5ELNS1_3repE0EEENS1_30default_config_static_selectorELNS0_4arch9wavefront6targetE0EEEvT1_.private_seg_size, 0
	.set _ZN7rocprim17ROCPRIM_400000_NS6detail17trampoline_kernelINS0_14default_configENS1_27scan_by_key_config_selectorIiiEEZZNS1_16scan_by_key_implILNS1_25lookback_scan_determinismE0ELb0ES3_N6thrust23THRUST_200600_302600_NS16reverse_iteratorIPKiEESD_NSA_IPiEEiN6hipcub16HIPCUB_304000_NS3MaxENSH_8EqualityEiEE10hipError_tPvRmT2_T3_T4_T5_mT6_T7_P12ihipStream_tbENKUlT_T0_E_clISt17integral_constantIbLb1EESZ_IbLb0EEEEDaSV_SW_EUlSV_E_NS1_11comp_targetILNS1_3genE10ELNS1_11target_archE1201ELNS1_3gpuE5ELNS1_3repE0EEENS1_30default_config_static_selectorELNS0_4arch9wavefront6targetE0EEEvT1_.uses_vcc, 0
	.set _ZN7rocprim17ROCPRIM_400000_NS6detail17trampoline_kernelINS0_14default_configENS1_27scan_by_key_config_selectorIiiEEZZNS1_16scan_by_key_implILNS1_25lookback_scan_determinismE0ELb0ES3_N6thrust23THRUST_200600_302600_NS16reverse_iteratorIPKiEESD_NSA_IPiEEiN6hipcub16HIPCUB_304000_NS3MaxENSH_8EqualityEiEE10hipError_tPvRmT2_T3_T4_T5_mT6_T7_P12ihipStream_tbENKUlT_T0_E_clISt17integral_constantIbLb1EESZ_IbLb0EEEEDaSV_SW_EUlSV_E_NS1_11comp_targetILNS1_3genE10ELNS1_11target_archE1201ELNS1_3gpuE5ELNS1_3repE0EEENS1_30default_config_static_selectorELNS0_4arch9wavefront6targetE0EEEvT1_.uses_flat_scratch, 0
	.set _ZN7rocprim17ROCPRIM_400000_NS6detail17trampoline_kernelINS0_14default_configENS1_27scan_by_key_config_selectorIiiEEZZNS1_16scan_by_key_implILNS1_25lookback_scan_determinismE0ELb0ES3_N6thrust23THRUST_200600_302600_NS16reverse_iteratorIPKiEESD_NSA_IPiEEiN6hipcub16HIPCUB_304000_NS3MaxENSH_8EqualityEiEE10hipError_tPvRmT2_T3_T4_T5_mT6_T7_P12ihipStream_tbENKUlT_T0_E_clISt17integral_constantIbLb1EESZ_IbLb0EEEEDaSV_SW_EUlSV_E_NS1_11comp_targetILNS1_3genE10ELNS1_11target_archE1201ELNS1_3gpuE5ELNS1_3repE0EEENS1_30default_config_static_selectorELNS0_4arch9wavefront6targetE0EEEvT1_.has_dyn_sized_stack, 0
	.set _ZN7rocprim17ROCPRIM_400000_NS6detail17trampoline_kernelINS0_14default_configENS1_27scan_by_key_config_selectorIiiEEZZNS1_16scan_by_key_implILNS1_25lookback_scan_determinismE0ELb0ES3_N6thrust23THRUST_200600_302600_NS16reverse_iteratorIPKiEESD_NSA_IPiEEiN6hipcub16HIPCUB_304000_NS3MaxENSH_8EqualityEiEE10hipError_tPvRmT2_T3_T4_T5_mT6_T7_P12ihipStream_tbENKUlT_T0_E_clISt17integral_constantIbLb1EESZ_IbLb0EEEEDaSV_SW_EUlSV_E_NS1_11comp_targetILNS1_3genE10ELNS1_11target_archE1201ELNS1_3gpuE5ELNS1_3repE0EEENS1_30default_config_static_selectorELNS0_4arch9wavefront6targetE0EEEvT1_.has_recursion, 0
	.set _ZN7rocprim17ROCPRIM_400000_NS6detail17trampoline_kernelINS0_14default_configENS1_27scan_by_key_config_selectorIiiEEZZNS1_16scan_by_key_implILNS1_25lookback_scan_determinismE0ELb0ES3_N6thrust23THRUST_200600_302600_NS16reverse_iteratorIPKiEESD_NSA_IPiEEiN6hipcub16HIPCUB_304000_NS3MaxENSH_8EqualityEiEE10hipError_tPvRmT2_T3_T4_T5_mT6_T7_P12ihipStream_tbENKUlT_T0_E_clISt17integral_constantIbLb1EESZ_IbLb0EEEEDaSV_SW_EUlSV_E_NS1_11comp_targetILNS1_3genE10ELNS1_11target_archE1201ELNS1_3gpuE5ELNS1_3repE0EEENS1_30default_config_static_selectorELNS0_4arch9wavefront6targetE0EEEvT1_.has_indirect_call, 0
	.section	.AMDGPU.csdata,"",@progbits
; Kernel info:
; codeLenInByte = 0
; TotalNumSgprs: 0
; NumVgprs: 0
; ScratchSize: 0
; MemoryBound: 0
; FloatMode: 240
; IeeeMode: 1
; LDSByteSize: 0 bytes/workgroup (compile time only)
; SGPRBlocks: 0
; VGPRBlocks: 0
; NumSGPRsForWavesPerEU: 1
; NumVGPRsForWavesPerEU: 1
; Occupancy: 16
; WaveLimiterHint : 0
; COMPUTE_PGM_RSRC2:SCRATCH_EN: 0
; COMPUTE_PGM_RSRC2:USER_SGPR: 6
; COMPUTE_PGM_RSRC2:TRAP_HANDLER: 0
; COMPUTE_PGM_RSRC2:TGID_X_EN: 1
; COMPUTE_PGM_RSRC2:TGID_Y_EN: 0
; COMPUTE_PGM_RSRC2:TGID_Z_EN: 0
; COMPUTE_PGM_RSRC2:TIDIG_COMP_CNT: 0
	.section	.text._ZN7rocprim17ROCPRIM_400000_NS6detail17trampoline_kernelINS0_14default_configENS1_27scan_by_key_config_selectorIiiEEZZNS1_16scan_by_key_implILNS1_25lookback_scan_determinismE0ELb0ES3_N6thrust23THRUST_200600_302600_NS16reverse_iteratorIPKiEESD_NSA_IPiEEiN6hipcub16HIPCUB_304000_NS3MaxENSH_8EqualityEiEE10hipError_tPvRmT2_T3_T4_T5_mT6_T7_P12ihipStream_tbENKUlT_T0_E_clISt17integral_constantIbLb1EESZ_IbLb0EEEEDaSV_SW_EUlSV_E_NS1_11comp_targetILNS1_3genE5ELNS1_11target_archE942ELNS1_3gpuE9ELNS1_3repE0EEENS1_30default_config_static_selectorELNS0_4arch9wavefront6targetE0EEEvT1_,"axG",@progbits,_ZN7rocprim17ROCPRIM_400000_NS6detail17trampoline_kernelINS0_14default_configENS1_27scan_by_key_config_selectorIiiEEZZNS1_16scan_by_key_implILNS1_25lookback_scan_determinismE0ELb0ES3_N6thrust23THRUST_200600_302600_NS16reverse_iteratorIPKiEESD_NSA_IPiEEiN6hipcub16HIPCUB_304000_NS3MaxENSH_8EqualityEiEE10hipError_tPvRmT2_T3_T4_T5_mT6_T7_P12ihipStream_tbENKUlT_T0_E_clISt17integral_constantIbLb1EESZ_IbLb0EEEEDaSV_SW_EUlSV_E_NS1_11comp_targetILNS1_3genE5ELNS1_11target_archE942ELNS1_3gpuE9ELNS1_3repE0EEENS1_30default_config_static_selectorELNS0_4arch9wavefront6targetE0EEEvT1_,comdat
	.protected	_ZN7rocprim17ROCPRIM_400000_NS6detail17trampoline_kernelINS0_14default_configENS1_27scan_by_key_config_selectorIiiEEZZNS1_16scan_by_key_implILNS1_25lookback_scan_determinismE0ELb0ES3_N6thrust23THRUST_200600_302600_NS16reverse_iteratorIPKiEESD_NSA_IPiEEiN6hipcub16HIPCUB_304000_NS3MaxENSH_8EqualityEiEE10hipError_tPvRmT2_T3_T4_T5_mT6_T7_P12ihipStream_tbENKUlT_T0_E_clISt17integral_constantIbLb1EESZ_IbLb0EEEEDaSV_SW_EUlSV_E_NS1_11comp_targetILNS1_3genE5ELNS1_11target_archE942ELNS1_3gpuE9ELNS1_3repE0EEENS1_30default_config_static_selectorELNS0_4arch9wavefront6targetE0EEEvT1_ ; -- Begin function _ZN7rocprim17ROCPRIM_400000_NS6detail17trampoline_kernelINS0_14default_configENS1_27scan_by_key_config_selectorIiiEEZZNS1_16scan_by_key_implILNS1_25lookback_scan_determinismE0ELb0ES3_N6thrust23THRUST_200600_302600_NS16reverse_iteratorIPKiEESD_NSA_IPiEEiN6hipcub16HIPCUB_304000_NS3MaxENSH_8EqualityEiEE10hipError_tPvRmT2_T3_T4_T5_mT6_T7_P12ihipStream_tbENKUlT_T0_E_clISt17integral_constantIbLb1EESZ_IbLb0EEEEDaSV_SW_EUlSV_E_NS1_11comp_targetILNS1_3genE5ELNS1_11target_archE942ELNS1_3gpuE9ELNS1_3repE0EEENS1_30default_config_static_selectorELNS0_4arch9wavefront6targetE0EEEvT1_
	.globl	_ZN7rocprim17ROCPRIM_400000_NS6detail17trampoline_kernelINS0_14default_configENS1_27scan_by_key_config_selectorIiiEEZZNS1_16scan_by_key_implILNS1_25lookback_scan_determinismE0ELb0ES3_N6thrust23THRUST_200600_302600_NS16reverse_iteratorIPKiEESD_NSA_IPiEEiN6hipcub16HIPCUB_304000_NS3MaxENSH_8EqualityEiEE10hipError_tPvRmT2_T3_T4_T5_mT6_T7_P12ihipStream_tbENKUlT_T0_E_clISt17integral_constantIbLb1EESZ_IbLb0EEEEDaSV_SW_EUlSV_E_NS1_11comp_targetILNS1_3genE5ELNS1_11target_archE942ELNS1_3gpuE9ELNS1_3repE0EEENS1_30default_config_static_selectorELNS0_4arch9wavefront6targetE0EEEvT1_
	.p2align	8
	.type	_ZN7rocprim17ROCPRIM_400000_NS6detail17trampoline_kernelINS0_14default_configENS1_27scan_by_key_config_selectorIiiEEZZNS1_16scan_by_key_implILNS1_25lookback_scan_determinismE0ELb0ES3_N6thrust23THRUST_200600_302600_NS16reverse_iteratorIPKiEESD_NSA_IPiEEiN6hipcub16HIPCUB_304000_NS3MaxENSH_8EqualityEiEE10hipError_tPvRmT2_T3_T4_T5_mT6_T7_P12ihipStream_tbENKUlT_T0_E_clISt17integral_constantIbLb1EESZ_IbLb0EEEEDaSV_SW_EUlSV_E_NS1_11comp_targetILNS1_3genE5ELNS1_11target_archE942ELNS1_3gpuE9ELNS1_3repE0EEENS1_30default_config_static_selectorELNS0_4arch9wavefront6targetE0EEEvT1_,@function
_ZN7rocprim17ROCPRIM_400000_NS6detail17trampoline_kernelINS0_14default_configENS1_27scan_by_key_config_selectorIiiEEZZNS1_16scan_by_key_implILNS1_25lookback_scan_determinismE0ELb0ES3_N6thrust23THRUST_200600_302600_NS16reverse_iteratorIPKiEESD_NSA_IPiEEiN6hipcub16HIPCUB_304000_NS3MaxENSH_8EqualityEiEE10hipError_tPvRmT2_T3_T4_T5_mT6_T7_P12ihipStream_tbENKUlT_T0_E_clISt17integral_constantIbLb1EESZ_IbLb0EEEEDaSV_SW_EUlSV_E_NS1_11comp_targetILNS1_3genE5ELNS1_11target_archE942ELNS1_3gpuE9ELNS1_3repE0EEENS1_30default_config_static_selectorELNS0_4arch9wavefront6targetE0EEEvT1_: ; @_ZN7rocprim17ROCPRIM_400000_NS6detail17trampoline_kernelINS0_14default_configENS1_27scan_by_key_config_selectorIiiEEZZNS1_16scan_by_key_implILNS1_25lookback_scan_determinismE0ELb0ES3_N6thrust23THRUST_200600_302600_NS16reverse_iteratorIPKiEESD_NSA_IPiEEiN6hipcub16HIPCUB_304000_NS3MaxENSH_8EqualityEiEE10hipError_tPvRmT2_T3_T4_T5_mT6_T7_P12ihipStream_tbENKUlT_T0_E_clISt17integral_constantIbLb1EESZ_IbLb0EEEEDaSV_SW_EUlSV_E_NS1_11comp_targetILNS1_3genE5ELNS1_11target_archE942ELNS1_3gpuE9ELNS1_3repE0EEENS1_30default_config_static_selectorELNS0_4arch9wavefront6targetE0EEEvT1_
; %bb.0:
	.section	.rodata,"a",@progbits
	.p2align	6, 0x0
	.amdhsa_kernel _ZN7rocprim17ROCPRIM_400000_NS6detail17trampoline_kernelINS0_14default_configENS1_27scan_by_key_config_selectorIiiEEZZNS1_16scan_by_key_implILNS1_25lookback_scan_determinismE0ELb0ES3_N6thrust23THRUST_200600_302600_NS16reverse_iteratorIPKiEESD_NSA_IPiEEiN6hipcub16HIPCUB_304000_NS3MaxENSH_8EqualityEiEE10hipError_tPvRmT2_T3_T4_T5_mT6_T7_P12ihipStream_tbENKUlT_T0_E_clISt17integral_constantIbLb1EESZ_IbLb0EEEEDaSV_SW_EUlSV_E_NS1_11comp_targetILNS1_3genE5ELNS1_11target_archE942ELNS1_3gpuE9ELNS1_3repE0EEENS1_30default_config_static_selectorELNS0_4arch9wavefront6targetE0EEEvT1_
		.amdhsa_group_segment_fixed_size 0
		.amdhsa_private_segment_fixed_size 0
		.amdhsa_kernarg_size 112
		.amdhsa_user_sgpr_count 6
		.amdhsa_user_sgpr_private_segment_buffer 1
		.amdhsa_user_sgpr_dispatch_ptr 0
		.amdhsa_user_sgpr_queue_ptr 0
		.amdhsa_user_sgpr_kernarg_segment_ptr 1
		.amdhsa_user_sgpr_dispatch_id 0
		.amdhsa_user_sgpr_flat_scratch_init 0
		.amdhsa_user_sgpr_private_segment_size 0
		.amdhsa_wavefront_size32 1
		.amdhsa_uses_dynamic_stack 0
		.amdhsa_system_sgpr_private_segment_wavefront_offset 0
		.amdhsa_system_sgpr_workgroup_id_x 1
		.amdhsa_system_sgpr_workgroup_id_y 0
		.amdhsa_system_sgpr_workgroup_id_z 0
		.amdhsa_system_sgpr_workgroup_info 0
		.amdhsa_system_vgpr_workitem_id 0
		.amdhsa_next_free_vgpr 1
		.amdhsa_next_free_sgpr 1
		.amdhsa_reserve_vcc 0
		.amdhsa_reserve_flat_scratch 0
		.amdhsa_float_round_mode_32 0
		.amdhsa_float_round_mode_16_64 0
		.amdhsa_float_denorm_mode_32 3
		.amdhsa_float_denorm_mode_16_64 3
		.amdhsa_dx10_clamp 1
		.amdhsa_ieee_mode 1
		.amdhsa_fp16_overflow 0
		.amdhsa_workgroup_processor_mode 1
		.amdhsa_memory_ordered 1
		.amdhsa_forward_progress 1
		.amdhsa_shared_vgpr_count 0
		.amdhsa_exception_fp_ieee_invalid_op 0
		.amdhsa_exception_fp_denorm_src 0
		.amdhsa_exception_fp_ieee_div_zero 0
		.amdhsa_exception_fp_ieee_overflow 0
		.amdhsa_exception_fp_ieee_underflow 0
		.amdhsa_exception_fp_ieee_inexact 0
		.amdhsa_exception_int_div_zero 0
	.end_amdhsa_kernel
	.section	.text._ZN7rocprim17ROCPRIM_400000_NS6detail17trampoline_kernelINS0_14default_configENS1_27scan_by_key_config_selectorIiiEEZZNS1_16scan_by_key_implILNS1_25lookback_scan_determinismE0ELb0ES3_N6thrust23THRUST_200600_302600_NS16reverse_iteratorIPKiEESD_NSA_IPiEEiN6hipcub16HIPCUB_304000_NS3MaxENSH_8EqualityEiEE10hipError_tPvRmT2_T3_T4_T5_mT6_T7_P12ihipStream_tbENKUlT_T0_E_clISt17integral_constantIbLb1EESZ_IbLb0EEEEDaSV_SW_EUlSV_E_NS1_11comp_targetILNS1_3genE5ELNS1_11target_archE942ELNS1_3gpuE9ELNS1_3repE0EEENS1_30default_config_static_selectorELNS0_4arch9wavefront6targetE0EEEvT1_,"axG",@progbits,_ZN7rocprim17ROCPRIM_400000_NS6detail17trampoline_kernelINS0_14default_configENS1_27scan_by_key_config_selectorIiiEEZZNS1_16scan_by_key_implILNS1_25lookback_scan_determinismE0ELb0ES3_N6thrust23THRUST_200600_302600_NS16reverse_iteratorIPKiEESD_NSA_IPiEEiN6hipcub16HIPCUB_304000_NS3MaxENSH_8EqualityEiEE10hipError_tPvRmT2_T3_T4_T5_mT6_T7_P12ihipStream_tbENKUlT_T0_E_clISt17integral_constantIbLb1EESZ_IbLb0EEEEDaSV_SW_EUlSV_E_NS1_11comp_targetILNS1_3genE5ELNS1_11target_archE942ELNS1_3gpuE9ELNS1_3repE0EEENS1_30default_config_static_selectorELNS0_4arch9wavefront6targetE0EEEvT1_,comdat
.Lfunc_end75:
	.size	_ZN7rocprim17ROCPRIM_400000_NS6detail17trampoline_kernelINS0_14default_configENS1_27scan_by_key_config_selectorIiiEEZZNS1_16scan_by_key_implILNS1_25lookback_scan_determinismE0ELb0ES3_N6thrust23THRUST_200600_302600_NS16reverse_iteratorIPKiEESD_NSA_IPiEEiN6hipcub16HIPCUB_304000_NS3MaxENSH_8EqualityEiEE10hipError_tPvRmT2_T3_T4_T5_mT6_T7_P12ihipStream_tbENKUlT_T0_E_clISt17integral_constantIbLb1EESZ_IbLb0EEEEDaSV_SW_EUlSV_E_NS1_11comp_targetILNS1_3genE5ELNS1_11target_archE942ELNS1_3gpuE9ELNS1_3repE0EEENS1_30default_config_static_selectorELNS0_4arch9wavefront6targetE0EEEvT1_, .Lfunc_end75-_ZN7rocprim17ROCPRIM_400000_NS6detail17trampoline_kernelINS0_14default_configENS1_27scan_by_key_config_selectorIiiEEZZNS1_16scan_by_key_implILNS1_25lookback_scan_determinismE0ELb0ES3_N6thrust23THRUST_200600_302600_NS16reverse_iteratorIPKiEESD_NSA_IPiEEiN6hipcub16HIPCUB_304000_NS3MaxENSH_8EqualityEiEE10hipError_tPvRmT2_T3_T4_T5_mT6_T7_P12ihipStream_tbENKUlT_T0_E_clISt17integral_constantIbLb1EESZ_IbLb0EEEEDaSV_SW_EUlSV_E_NS1_11comp_targetILNS1_3genE5ELNS1_11target_archE942ELNS1_3gpuE9ELNS1_3repE0EEENS1_30default_config_static_selectorELNS0_4arch9wavefront6targetE0EEEvT1_
                                        ; -- End function
	.set _ZN7rocprim17ROCPRIM_400000_NS6detail17trampoline_kernelINS0_14default_configENS1_27scan_by_key_config_selectorIiiEEZZNS1_16scan_by_key_implILNS1_25lookback_scan_determinismE0ELb0ES3_N6thrust23THRUST_200600_302600_NS16reverse_iteratorIPKiEESD_NSA_IPiEEiN6hipcub16HIPCUB_304000_NS3MaxENSH_8EqualityEiEE10hipError_tPvRmT2_T3_T4_T5_mT6_T7_P12ihipStream_tbENKUlT_T0_E_clISt17integral_constantIbLb1EESZ_IbLb0EEEEDaSV_SW_EUlSV_E_NS1_11comp_targetILNS1_3genE5ELNS1_11target_archE942ELNS1_3gpuE9ELNS1_3repE0EEENS1_30default_config_static_selectorELNS0_4arch9wavefront6targetE0EEEvT1_.num_vgpr, 0
	.set _ZN7rocprim17ROCPRIM_400000_NS6detail17trampoline_kernelINS0_14default_configENS1_27scan_by_key_config_selectorIiiEEZZNS1_16scan_by_key_implILNS1_25lookback_scan_determinismE0ELb0ES3_N6thrust23THRUST_200600_302600_NS16reverse_iteratorIPKiEESD_NSA_IPiEEiN6hipcub16HIPCUB_304000_NS3MaxENSH_8EqualityEiEE10hipError_tPvRmT2_T3_T4_T5_mT6_T7_P12ihipStream_tbENKUlT_T0_E_clISt17integral_constantIbLb1EESZ_IbLb0EEEEDaSV_SW_EUlSV_E_NS1_11comp_targetILNS1_3genE5ELNS1_11target_archE942ELNS1_3gpuE9ELNS1_3repE0EEENS1_30default_config_static_selectorELNS0_4arch9wavefront6targetE0EEEvT1_.num_agpr, 0
	.set _ZN7rocprim17ROCPRIM_400000_NS6detail17trampoline_kernelINS0_14default_configENS1_27scan_by_key_config_selectorIiiEEZZNS1_16scan_by_key_implILNS1_25lookback_scan_determinismE0ELb0ES3_N6thrust23THRUST_200600_302600_NS16reverse_iteratorIPKiEESD_NSA_IPiEEiN6hipcub16HIPCUB_304000_NS3MaxENSH_8EqualityEiEE10hipError_tPvRmT2_T3_T4_T5_mT6_T7_P12ihipStream_tbENKUlT_T0_E_clISt17integral_constantIbLb1EESZ_IbLb0EEEEDaSV_SW_EUlSV_E_NS1_11comp_targetILNS1_3genE5ELNS1_11target_archE942ELNS1_3gpuE9ELNS1_3repE0EEENS1_30default_config_static_selectorELNS0_4arch9wavefront6targetE0EEEvT1_.numbered_sgpr, 0
	.set _ZN7rocprim17ROCPRIM_400000_NS6detail17trampoline_kernelINS0_14default_configENS1_27scan_by_key_config_selectorIiiEEZZNS1_16scan_by_key_implILNS1_25lookback_scan_determinismE0ELb0ES3_N6thrust23THRUST_200600_302600_NS16reverse_iteratorIPKiEESD_NSA_IPiEEiN6hipcub16HIPCUB_304000_NS3MaxENSH_8EqualityEiEE10hipError_tPvRmT2_T3_T4_T5_mT6_T7_P12ihipStream_tbENKUlT_T0_E_clISt17integral_constantIbLb1EESZ_IbLb0EEEEDaSV_SW_EUlSV_E_NS1_11comp_targetILNS1_3genE5ELNS1_11target_archE942ELNS1_3gpuE9ELNS1_3repE0EEENS1_30default_config_static_selectorELNS0_4arch9wavefront6targetE0EEEvT1_.num_named_barrier, 0
	.set _ZN7rocprim17ROCPRIM_400000_NS6detail17trampoline_kernelINS0_14default_configENS1_27scan_by_key_config_selectorIiiEEZZNS1_16scan_by_key_implILNS1_25lookback_scan_determinismE0ELb0ES3_N6thrust23THRUST_200600_302600_NS16reverse_iteratorIPKiEESD_NSA_IPiEEiN6hipcub16HIPCUB_304000_NS3MaxENSH_8EqualityEiEE10hipError_tPvRmT2_T3_T4_T5_mT6_T7_P12ihipStream_tbENKUlT_T0_E_clISt17integral_constantIbLb1EESZ_IbLb0EEEEDaSV_SW_EUlSV_E_NS1_11comp_targetILNS1_3genE5ELNS1_11target_archE942ELNS1_3gpuE9ELNS1_3repE0EEENS1_30default_config_static_selectorELNS0_4arch9wavefront6targetE0EEEvT1_.private_seg_size, 0
	.set _ZN7rocprim17ROCPRIM_400000_NS6detail17trampoline_kernelINS0_14default_configENS1_27scan_by_key_config_selectorIiiEEZZNS1_16scan_by_key_implILNS1_25lookback_scan_determinismE0ELb0ES3_N6thrust23THRUST_200600_302600_NS16reverse_iteratorIPKiEESD_NSA_IPiEEiN6hipcub16HIPCUB_304000_NS3MaxENSH_8EqualityEiEE10hipError_tPvRmT2_T3_T4_T5_mT6_T7_P12ihipStream_tbENKUlT_T0_E_clISt17integral_constantIbLb1EESZ_IbLb0EEEEDaSV_SW_EUlSV_E_NS1_11comp_targetILNS1_3genE5ELNS1_11target_archE942ELNS1_3gpuE9ELNS1_3repE0EEENS1_30default_config_static_selectorELNS0_4arch9wavefront6targetE0EEEvT1_.uses_vcc, 0
	.set _ZN7rocprim17ROCPRIM_400000_NS6detail17trampoline_kernelINS0_14default_configENS1_27scan_by_key_config_selectorIiiEEZZNS1_16scan_by_key_implILNS1_25lookback_scan_determinismE0ELb0ES3_N6thrust23THRUST_200600_302600_NS16reverse_iteratorIPKiEESD_NSA_IPiEEiN6hipcub16HIPCUB_304000_NS3MaxENSH_8EqualityEiEE10hipError_tPvRmT2_T3_T4_T5_mT6_T7_P12ihipStream_tbENKUlT_T0_E_clISt17integral_constantIbLb1EESZ_IbLb0EEEEDaSV_SW_EUlSV_E_NS1_11comp_targetILNS1_3genE5ELNS1_11target_archE942ELNS1_3gpuE9ELNS1_3repE0EEENS1_30default_config_static_selectorELNS0_4arch9wavefront6targetE0EEEvT1_.uses_flat_scratch, 0
	.set _ZN7rocprim17ROCPRIM_400000_NS6detail17trampoline_kernelINS0_14default_configENS1_27scan_by_key_config_selectorIiiEEZZNS1_16scan_by_key_implILNS1_25lookback_scan_determinismE0ELb0ES3_N6thrust23THRUST_200600_302600_NS16reverse_iteratorIPKiEESD_NSA_IPiEEiN6hipcub16HIPCUB_304000_NS3MaxENSH_8EqualityEiEE10hipError_tPvRmT2_T3_T4_T5_mT6_T7_P12ihipStream_tbENKUlT_T0_E_clISt17integral_constantIbLb1EESZ_IbLb0EEEEDaSV_SW_EUlSV_E_NS1_11comp_targetILNS1_3genE5ELNS1_11target_archE942ELNS1_3gpuE9ELNS1_3repE0EEENS1_30default_config_static_selectorELNS0_4arch9wavefront6targetE0EEEvT1_.has_dyn_sized_stack, 0
	.set _ZN7rocprim17ROCPRIM_400000_NS6detail17trampoline_kernelINS0_14default_configENS1_27scan_by_key_config_selectorIiiEEZZNS1_16scan_by_key_implILNS1_25lookback_scan_determinismE0ELb0ES3_N6thrust23THRUST_200600_302600_NS16reverse_iteratorIPKiEESD_NSA_IPiEEiN6hipcub16HIPCUB_304000_NS3MaxENSH_8EqualityEiEE10hipError_tPvRmT2_T3_T4_T5_mT6_T7_P12ihipStream_tbENKUlT_T0_E_clISt17integral_constantIbLb1EESZ_IbLb0EEEEDaSV_SW_EUlSV_E_NS1_11comp_targetILNS1_3genE5ELNS1_11target_archE942ELNS1_3gpuE9ELNS1_3repE0EEENS1_30default_config_static_selectorELNS0_4arch9wavefront6targetE0EEEvT1_.has_recursion, 0
	.set _ZN7rocprim17ROCPRIM_400000_NS6detail17trampoline_kernelINS0_14default_configENS1_27scan_by_key_config_selectorIiiEEZZNS1_16scan_by_key_implILNS1_25lookback_scan_determinismE0ELb0ES3_N6thrust23THRUST_200600_302600_NS16reverse_iteratorIPKiEESD_NSA_IPiEEiN6hipcub16HIPCUB_304000_NS3MaxENSH_8EqualityEiEE10hipError_tPvRmT2_T3_T4_T5_mT6_T7_P12ihipStream_tbENKUlT_T0_E_clISt17integral_constantIbLb1EESZ_IbLb0EEEEDaSV_SW_EUlSV_E_NS1_11comp_targetILNS1_3genE5ELNS1_11target_archE942ELNS1_3gpuE9ELNS1_3repE0EEENS1_30default_config_static_selectorELNS0_4arch9wavefront6targetE0EEEvT1_.has_indirect_call, 0
	.section	.AMDGPU.csdata,"",@progbits
; Kernel info:
; codeLenInByte = 0
; TotalNumSgprs: 0
; NumVgprs: 0
; ScratchSize: 0
; MemoryBound: 0
; FloatMode: 240
; IeeeMode: 1
; LDSByteSize: 0 bytes/workgroup (compile time only)
; SGPRBlocks: 0
; VGPRBlocks: 0
; NumSGPRsForWavesPerEU: 1
; NumVGPRsForWavesPerEU: 1
; Occupancy: 16
; WaveLimiterHint : 0
; COMPUTE_PGM_RSRC2:SCRATCH_EN: 0
; COMPUTE_PGM_RSRC2:USER_SGPR: 6
; COMPUTE_PGM_RSRC2:TRAP_HANDLER: 0
; COMPUTE_PGM_RSRC2:TGID_X_EN: 1
; COMPUTE_PGM_RSRC2:TGID_Y_EN: 0
; COMPUTE_PGM_RSRC2:TGID_Z_EN: 0
; COMPUTE_PGM_RSRC2:TIDIG_COMP_CNT: 0
	.section	.text._ZN7rocprim17ROCPRIM_400000_NS6detail17trampoline_kernelINS0_14default_configENS1_27scan_by_key_config_selectorIiiEEZZNS1_16scan_by_key_implILNS1_25lookback_scan_determinismE0ELb0ES3_N6thrust23THRUST_200600_302600_NS16reverse_iteratorIPKiEESD_NSA_IPiEEiN6hipcub16HIPCUB_304000_NS3MaxENSH_8EqualityEiEE10hipError_tPvRmT2_T3_T4_T5_mT6_T7_P12ihipStream_tbENKUlT_T0_E_clISt17integral_constantIbLb1EESZ_IbLb0EEEEDaSV_SW_EUlSV_E_NS1_11comp_targetILNS1_3genE4ELNS1_11target_archE910ELNS1_3gpuE8ELNS1_3repE0EEENS1_30default_config_static_selectorELNS0_4arch9wavefront6targetE0EEEvT1_,"axG",@progbits,_ZN7rocprim17ROCPRIM_400000_NS6detail17trampoline_kernelINS0_14default_configENS1_27scan_by_key_config_selectorIiiEEZZNS1_16scan_by_key_implILNS1_25lookback_scan_determinismE0ELb0ES3_N6thrust23THRUST_200600_302600_NS16reverse_iteratorIPKiEESD_NSA_IPiEEiN6hipcub16HIPCUB_304000_NS3MaxENSH_8EqualityEiEE10hipError_tPvRmT2_T3_T4_T5_mT6_T7_P12ihipStream_tbENKUlT_T0_E_clISt17integral_constantIbLb1EESZ_IbLb0EEEEDaSV_SW_EUlSV_E_NS1_11comp_targetILNS1_3genE4ELNS1_11target_archE910ELNS1_3gpuE8ELNS1_3repE0EEENS1_30default_config_static_selectorELNS0_4arch9wavefront6targetE0EEEvT1_,comdat
	.protected	_ZN7rocprim17ROCPRIM_400000_NS6detail17trampoline_kernelINS0_14default_configENS1_27scan_by_key_config_selectorIiiEEZZNS1_16scan_by_key_implILNS1_25lookback_scan_determinismE0ELb0ES3_N6thrust23THRUST_200600_302600_NS16reverse_iteratorIPKiEESD_NSA_IPiEEiN6hipcub16HIPCUB_304000_NS3MaxENSH_8EqualityEiEE10hipError_tPvRmT2_T3_T4_T5_mT6_T7_P12ihipStream_tbENKUlT_T0_E_clISt17integral_constantIbLb1EESZ_IbLb0EEEEDaSV_SW_EUlSV_E_NS1_11comp_targetILNS1_3genE4ELNS1_11target_archE910ELNS1_3gpuE8ELNS1_3repE0EEENS1_30default_config_static_selectorELNS0_4arch9wavefront6targetE0EEEvT1_ ; -- Begin function _ZN7rocprim17ROCPRIM_400000_NS6detail17trampoline_kernelINS0_14default_configENS1_27scan_by_key_config_selectorIiiEEZZNS1_16scan_by_key_implILNS1_25lookback_scan_determinismE0ELb0ES3_N6thrust23THRUST_200600_302600_NS16reverse_iteratorIPKiEESD_NSA_IPiEEiN6hipcub16HIPCUB_304000_NS3MaxENSH_8EqualityEiEE10hipError_tPvRmT2_T3_T4_T5_mT6_T7_P12ihipStream_tbENKUlT_T0_E_clISt17integral_constantIbLb1EESZ_IbLb0EEEEDaSV_SW_EUlSV_E_NS1_11comp_targetILNS1_3genE4ELNS1_11target_archE910ELNS1_3gpuE8ELNS1_3repE0EEENS1_30default_config_static_selectorELNS0_4arch9wavefront6targetE0EEEvT1_
	.globl	_ZN7rocprim17ROCPRIM_400000_NS6detail17trampoline_kernelINS0_14default_configENS1_27scan_by_key_config_selectorIiiEEZZNS1_16scan_by_key_implILNS1_25lookback_scan_determinismE0ELb0ES3_N6thrust23THRUST_200600_302600_NS16reverse_iteratorIPKiEESD_NSA_IPiEEiN6hipcub16HIPCUB_304000_NS3MaxENSH_8EqualityEiEE10hipError_tPvRmT2_T3_T4_T5_mT6_T7_P12ihipStream_tbENKUlT_T0_E_clISt17integral_constantIbLb1EESZ_IbLb0EEEEDaSV_SW_EUlSV_E_NS1_11comp_targetILNS1_3genE4ELNS1_11target_archE910ELNS1_3gpuE8ELNS1_3repE0EEENS1_30default_config_static_selectorELNS0_4arch9wavefront6targetE0EEEvT1_
	.p2align	8
	.type	_ZN7rocprim17ROCPRIM_400000_NS6detail17trampoline_kernelINS0_14default_configENS1_27scan_by_key_config_selectorIiiEEZZNS1_16scan_by_key_implILNS1_25lookback_scan_determinismE0ELb0ES3_N6thrust23THRUST_200600_302600_NS16reverse_iteratorIPKiEESD_NSA_IPiEEiN6hipcub16HIPCUB_304000_NS3MaxENSH_8EqualityEiEE10hipError_tPvRmT2_T3_T4_T5_mT6_T7_P12ihipStream_tbENKUlT_T0_E_clISt17integral_constantIbLb1EESZ_IbLb0EEEEDaSV_SW_EUlSV_E_NS1_11comp_targetILNS1_3genE4ELNS1_11target_archE910ELNS1_3gpuE8ELNS1_3repE0EEENS1_30default_config_static_selectorELNS0_4arch9wavefront6targetE0EEEvT1_,@function
_ZN7rocprim17ROCPRIM_400000_NS6detail17trampoline_kernelINS0_14default_configENS1_27scan_by_key_config_selectorIiiEEZZNS1_16scan_by_key_implILNS1_25lookback_scan_determinismE0ELb0ES3_N6thrust23THRUST_200600_302600_NS16reverse_iteratorIPKiEESD_NSA_IPiEEiN6hipcub16HIPCUB_304000_NS3MaxENSH_8EqualityEiEE10hipError_tPvRmT2_T3_T4_T5_mT6_T7_P12ihipStream_tbENKUlT_T0_E_clISt17integral_constantIbLb1EESZ_IbLb0EEEEDaSV_SW_EUlSV_E_NS1_11comp_targetILNS1_3genE4ELNS1_11target_archE910ELNS1_3gpuE8ELNS1_3repE0EEENS1_30default_config_static_selectorELNS0_4arch9wavefront6targetE0EEEvT1_: ; @_ZN7rocprim17ROCPRIM_400000_NS6detail17trampoline_kernelINS0_14default_configENS1_27scan_by_key_config_selectorIiiEEZZNS1_16scan_by_key_implILNS1_25lookback_scan_determinismE0ELb0ES3_N6thrust23THRUST_200600_302600_NS16reverse_iteratorIPKiEESD_NSA_IPiEEiN6hipcub16HIPCUB_304000_NS3MaxENSH_8EqualityEiEE10hipError_tPvRmT2_T3_T4_T5_mT6_T7_P12ihipStream_tbENKUlT_T0_E_clISt17integral_constantIbLb1EESZ_IbLb0EEEEDaSV_SW_EUlSV_E_NS1_11comp_targetILNS1_3genE4ELNS1_11target_archE910ELNS1_3gpuE8ELNS1_3repE0EEENS1_30default_config_static_selectorELNS0_4arch9wavefront6targetE0EEEvT1_
; %bb.0:
	.section	.rodata,"a",@progbits
	.p2align	6, 0x0
	.amdhsa_kernel _ZN7rocprim17ROCPRIM_400000_NS6detail17trampoline_kernelINS0_14default_configENS1_27scan_by_key_config_selectorIiiEEZZNS1_16scan_by_key_implILNS1_25lookback_scan_determinismE0ELb0ES3_N6thrust23THRUST_200600_302600_NS16reverse_iteratorIPKiEESD_NSA_IPiEEiN6hipcub16HIPCUB_304000_NS3MaxENSH_8EqualityEiEE10hipError_tPvRmT2_T3_T4_T5_mT6_T7_P12ihipStream_tbENKUlT_T0_E_clISt17integral_constantIbLb1EESZ_IbLb0EEEEDaSV_SW_EUlSV_E_NS1_11comp_targetILNS1_3genE4ELNS1_11target_archE910ELNS1_3gpuE8ELNS1_3repE0EEENS1_30default_config_static_selectorELNS0_4arch9wavefront6targetE0EEEvT1_
		.amdhsa_group_segment_fixed_size 0
		.amdhsa_private_segment_fixed_size 0
		.amdhsa_kernarg_size 112
		.amdhsa_user_sgpr_count 6
		.amdhsa_user_sgpr_private_segment_buffer 1
		.amdhsa_user_sgpr_dispatch_ptr 0
		.amdhsa_user_sgpr_queue_ptr 0
		.amdhsa_user_sgpr_kernarg_segment_ptr 1
		.amdhsa_user_sgpr_dispatch_id 0
		.amdhsa_user_sgpr_flat_scratch_init 0
		.amdhsa_user_sgpr_private_segment_size 0
		.amdhsa_wavefront_size32 1
		.amdhsa_uses_dynamic_stack 0
		.amdhsa_system_sgpr_private_segment_wavefront_offset 0
		.amdhsa_system_sgpr_workgroup_id_x 1
		.amdhsa_system_sgpr_workgroup_id_y 0
		.amdhsa_system_sgpr_workgroup_id_z 0
		.amdhsa_system_sgpr_workgroup_info 0
		.amdhsa_system_vgpr_workitem_id 0
		.amdhsa_next_free_vgpr 1
		.amdhsa_next_free_sgpr 1
		.amdhsa_reserve_vcc 0
		.amdhsa_reserve_flat_scratch 0
		.amdhsa_float_round_mode_32 0
		.amdhsa_float_round_mode_16_64 0
		.amdhsa_float_denorm_mode_32 3
		.amdhsa_float_denorm_mode_16_64 3
		.amdhsa_dx10_clamp 1
		.amdhsa_ieee_mode 1
		.amdhsa_fp16_overflow 0
		.amdhsa_workgroup_processor_mode 1
		.amdhsa_memory_ordered 1
		.amdhsa_forward_progress 1
		.amdhsa_shared_vgpr_count 0
		.amdhsa_exception_fp_ieee_invalid_op 0
		.amdhsa_exception_fp_denorm_src 0
		.amdhsa_exception_fp_ieee_div_zero 0
		.amdhsa_exception_fp_ieee_overflow 0
		.amdhsa_exception_fp_ieee_underflow 0
		.amdhsa_exception_fp_ieee_inexact 0
		.amdhsa_exception_int_div_zero 0
	.end_amdhsa_kernel
	.section	.text._ZN7rocprim17ROCPRIM_400000_NS6detail17trampoline_kernelINS0_14default_configENS1_27scan_by_key_config_selectorIiiEEZZNS1_16scan_by_key_implILNS1_25lookback_scan_determinismE0ELb0ES3_N6thrust23THRUST_200600_302600_NS16reverse_iteratorIPKiEESD_NSA_IPiEEiN6hipcub16HIPCUB_304000_NS3MaxENSH_8EqualityEiEE10hipError_tPvRmT2_T3_T4_T5_mT6_T7_P12ihipStream_tbENKUlT_T0_E_clISt17integral_constantIbLb1EESZ_IbLb0EEEEDaSV_SW_EUlSV_E_NS1_11comp_targetILNS1_3genE4ELNS1_11target_archE910ELNS1_3gpuE8ELNS1_3repE0EEENS1_30default_config_static_selectorELNS0_4arch9wavefront6targetE0EEEvT1_,"axG",@progbits,_ZN7rocprim17ROCPRIM_400000_NS6detail17trampoline_kernelINS0_14default_configENS1_27scan_by_key_config_selectorIiiEEZZNS1_16scan_by_key_implILNS1_25lookback_scan_determinismE0ELb0ES3_N6thrust23THRUST_200600_302600_NS16reverse_iteratorIPKiEESD_NSA_IPiEEiN6hipcub16HIPCUB_304000_NS3MaxENSH_8EqualityEiEE10hipError_tPvRmT2_T3_T4_T5_mT6_T7_P12ihipStream_tbENKUlT_T0_E_clISt17integral_constantIbLb1EESZ_IbLb0EEEEDaSV_SW_EUlSV_E_NS1_11comp_targetILNS1_3genE4ELNS1_11target_archE910ELNS1_3gpuE8ELNS1_3repE0EEENS1_30default_config_static_selectorELNS0_4arch9wavefront6targetE0EEEvT1_,comdat
.Lfunc_end76:
	.size	_ZN7rocprim17ROCPRIM_400000_NS6detail17trampoline_kernelINS0_14default_configENS1_27scan_by_key_config_selectorIiiEEZZNS1_16scan_by_key_implILNS1_25lookback_scan_determinismE0ELb0ES3_N6thrust23THRUST_200600_302600_NS16reverse_iteratorIPKiEESD_NSA_IPiEEiN6hipcub16HIPCUB_304000_NS3MaxENSH_8EqualityEiEE10hipError_tPvRmT2_T3_T4_T5_mT6_T7_P12ihipStream_tbENKUlT_T0_E_clISt17integral_constantIbLb1EESZ_IbLb0EEEEDaSV_SW_EUlSV_E_NS1_11comp_targetILNS1_3genE4ELNS1_11target_archE910ELNS1_3gpuE8ELNS1_3repE0EEENS1_30default_config_static_selectorELNS0_4arch9wavefront6targetE0EEEvT1_, .Lfunc_end76-_ZN7rocprim17ROCPRIM_400000_NS6detail17trampoline_kernelINS0_14default_configENS1_27scan_by_key_config_selectorIiiEEZZNS1_16scan_by_key_implILNS1_25lookback_scan_determinismE0ELb0ES3_N6thrust23THRUST_200600_302600_NS16reverse_iteratorIPKiEESD_NSA_IPiEEiN6hipcub16HIPCUB_304000_NS3MaxENSH_8EqualityEiEE10hipError_tPvRmT2_T3_T4_T5_mT6_T7_P12ihipStream_tbENKUlT_T0_E_clISt17integral_constantIbLb1EESZ_IbLb0EEEEDaSV_SW_EUlSV_E_NS1_11comp_targetILNS1_3genE4ELNS1_11target_archE910ELNS1_3gpuE8ELNS1_3repE0EEENS1_30default_config_static_selectorELNS0_4arch9wavefront6targetE0EEEvT1_
                                        ; -- End function
	.set _ZN7rocprim17ROCPRIM_400000_NS6detail17trampoline_kernelINS0_14default_configENS1_27scan_by_key_config_selectorIiiEEZZNS1_16scan_by_key_implILNS1_25lookback_scan_determinismE0ELb0ES3_N6thrust23THRUST_200600_302600_NS16reverse_iteratorIPKiEESD_NSA_IPiEEiN6hipcub16HIPCUB_304000_NS3MaxENSH_8EqualityEiEE10hipError_tPvRmT2_T3_T4_T5_mT6_T7_P12ihipStream_tbENKUlT_T0_E_clISt17integral_constantIbLb1EESZ_IbLb0EEEEDaSV_SW_EUlSV_E_NS1_11comp_targetILNS1_3genE4ELNS1_11target_archE910ELNS1_3gpuE8ELNS1_3repE0EEENS1_30default_config_static_selectorELNS0_4arch9wavefront6targetE0EEEvT1_.num_vgpr, 0
	.set _ZN7rocprim17ROCPRIM_400000_NS6detail17trampoline_kernelINS0_14default_configENS1_27scan_by_key_config_selectorIiiEEZZNS1_16scan_by_key_implILNS1_25lookback_scan_determinismE0ELb0ES3_N6thrust23THRUST_200600_302600_NS16reverse_iteratorIPKiEESD_NSA_IPiEEiN6hipcub16HIPCUB_304000_NS3MaxENSH_8EqualityEiEE10hipError_tPvRmT2_T3_T4_T5_mT6_T7_P12ihipStream_tbENKUlT_T0_E_clISt17integral_constantIbLb1EESZ_IbLb0EEEEDaSV_SW_EUlSV_E_NS1_11comp_targetILNS1_3genE4ELNS1_11target_archE910ELNS1_3gpuE8ELNS1_3repE0EEENS1_30default_config_static_selectorELNS0_4arch9wavefront6targetE0EEEvT1_.num_agpr, 0
	.set _ZN7rocprim17ROCPRIM_400000_NS6detail17trampoline_kernelINS0_14default_configENS1_27scan_by_key_config_selectorIiiEEZZNS1_16scan_by_key_implILNS1_25lookback_scan_determinismE0ELb0ES3_N6thrust23THRUST_200600_302600_NS16reverse_iteratorIPKiEESD_NSA_IPiEEiN6hipcub16HIPCUB_304000_NS3MaxENSH_8EqualityEiEE10hipError_tPvRmT2_T3_T4_T5_mT6_T7_P12ihipStream_tbENKUlT_T0_E_clISt17integral_constantIbLb1EESZ_IbLb0EEEEDaSV_SW_EUlSV_E_NS1_11comp_targetILNS1_3genE4ELNS1_11target_archE910ELNS1_3gpuE8ELNS1_3repE0EEENS1_30default_config_static_selectorELNS0_4arch9wavefront6targetE0EEEvT1_.numbered_sgpr, 0
	.set _ZN7rocprim17ROCPRIM_400000_NS6detail17trampoline_kernelINS0_14default_configENS1_27scan_by_key_config_selectorIiiEEZZNS1_16scan_by_key_implILNS1_25lookback_scan_determinismE0ELb0ES3_N6thrust23THRUST_200600_302600_NS16reverse_iteratorIPKiEESD_NSA_IPiEEiN6hipcub16HIPCUB_304000_NS3MaxENSH_8EqualityEiEE10hipError_tPvRmT2_T3_T4_T5_mT6_T7_P12ihipStream_tbENKUlT_T0_E_clISt17integral_constantIbLb1EESZ_IbLb0EEEEDaSV_SW_EUlSV_E_NS1_11comp_targetILNS1_3genE4ELNS1_11target_archE910ELNS1_3gpuE8ELNS1_3repE0EEENS1_30default_config_static_selectorELNS0_4arch9wavefront6targetE0EEEvT1_.num_named_barrier, 0
	.set _ZN7rocprim17ROCPRIM_400000_NS6detail17trampoline_kernelINS0_14default_configENS1_27scan_by_key_config_selectorIiiEEZZNS1_16scan_by_key_implILNS1_25lookback_scan_determinismE0ELb0ES3_N6thrust23THRUST_200600_302600_NS16reverse_iteratorIPKiEESD_NSA_IPiEEiN6hipcub16HIPCUB_304000_NS3MaxENSH_8EqualityEiEE10hipError_tPvRmT2_T3_T4_T5_mT6_T7_P12ihipStream_tbENKUlT_T0_E_clISt17integral_constantIbLb1EESZ_IbLb0EEEEDaSV_SW_EUlSV_E_NS1_11comp_targetILNS1_3genE4ELNS1_11target_archE910ELNS1_3gpuE8ELNS1_3repE0EEENS1_30default_config_static_selectorELNS0_4arch9wavefront6targetE0EEEvT1_.private_seg_size, 0
	.set _ZN7rocprim17ROCPRIM_400000_NS6detail17trampoline_kernelINS0_14default_configENS1_27scan_by_key_config_selectorIiiEEZZNS1_16scan_by_key_implILNS1_25lookback_scan_determinismE0ELb0ES3_N6thrust23THRUST_200600_302600_NS16reverse_iteratorIPKiEESD_NSA_IPiEEiN6hipcub16HIPCUB_304000_NS3MaxENSH_8EqualityEiEE10hipError_tPvRmT2_T3_T4_T5_mT6_T7_P12ihipStream_tbENKUlT_T0_E_clISt17integral_constantIbLb1EESZ_IbLb0EEEEDaSV_SW_EUlSV_E_NS1_11comp_targetILNS1_3genE4ELNS1_11target_archE910ELNS1_3gpuE8ELNS1_3repE0EEENS1_30default_config_static_selectorELNS0_4arch9wavefront6targetE0EEEvT1_.uses_vcc, 0
	.set _ZN7rocprim17ROCPRIM_400000_NS6detail17trampoline_kernelINS0_14default_configENS1_27scan_by_key_config_selectorIiiEEZZNS1_16scan_by_key_implILNS1_25lookback_scan_determinismE0ELb0ES3_N6thrust23THRUST_200600_302600_NS16reverse_iteratorIPKiEESD_NSA_IPiEEiN6hipcub16HIPCUB_304000_NS3MaxENSH_8EqualityEiEE10hipError_tPvRmT2_T3_T4_T5_mT6_T7_P12ihipStream_tbENKUlT_T0_E_clISt17integral_constantIbLb1EESZ_IbLb0EEEEDaSV_SW_EUlSV_E_NS1_11comp_targetILNS1_3genE4ELNS1_11target_archE910ELNS1_3gpuE8ELNS1_3repE0EEENS1_30default_config_static_selectorELNS0_4arch9wavefront6targetE0EEEvT1_.uses_flat_scratch, 0
	.set _ZN7rocprim17ROCPRIM_400000_NS6detail17trampoline_kernelINS0_14default_configENS1_27scan_by_key_config_selectorIiiEEZZNS1_16scan_by_key_implILNS1_25lookback_scan_determinismE0ELb0ES3_N6thrust23THRUST_200600_302600_NS16reverse_iteratorIPKiEESD_NSA_IPiEEiN6hipcub16HIPCUB_304000_NS3MaxENSH_8EqualityEiEE10hipError_tPvRmT2_T3_T4_T5_mT6_T7_P12ihipStream_tbENKUlT_T0_E_clISt17integral_constantIbLb1EESZ_IbLb0EEEEDaSV_SW_EUlSV_E_NS1_11comp_targetILNS1_3genE4ELNS1_11target_archE910ELNS1_3gpuE8ELNS1_3repE0EEENS1_30default_config_static_selectorELNS0_4arch9wavefront6targetE0EEEvT1_.has_dyn_sized_stack, 0
	.set _ZN7rocprim17ROCPRIM_400000_NS6detail17trampoline_kernelINS0_14default_configENS1_27scan_by_key_config_selectorIiiEEZZNS1_16scan_by_key_implILNS1_25lookback_scan_determinismE0ELb0ES3_N6thrust23THRUST_200600_302600_NS16reverse_iteratorIPKiEESD_NSA_IPiEEiN6hipcub16HIPCUB_304000_NS3MaxENSH_8EqualityEiEE10hipError_tPvRmT2_T3_T4_T5_mT6_T7_P12ihipStream_tbENKUlT_T0_E_clISt17integral_constantIbLb1EESZ_IbLb0EEEEDaSV_SW_EUlSV_E_NS1_11comp_targetILNS1_3genE4ELNS1_11target_archE910ELNS1_3gpuE8ELNS1_3repE0EEENS1_30default_config_static_selectorELNS0_4arch9wavefront6targetE0EEEvT1_.has_recursion, 0
	.set _ZN7rocprim17ROCPRIM_400000_NS6detail17trampoline_kernelINS0_14default_configENS1_27scan_by_key_config_selectorIiiEEZZNS1_16scan_by_key_implILNS1_25lookback_scan_determinismE0ELb0ES3_N6thrust23THRUST_200600_302600_NS16reverse_iteratorIPKiEESD_NSA_IPiEEiN6hipcub16HIPCUB_304000_NS3MaxENSH_8EqualityEiEE10hipError_tPvRmT2_T3_T4_T5_mT6_T7_P12ihipStream_tbENKUlT_T0_E_clISt17integral_constantIbLb1EESZ_IbLb0EEEEDaSV_SW_EUlSV_E_NS1_11comp_targetILNS1_3genE4ELNS1_11target_archE910ELNS1_3gpuE8ELNS1_3repE0EEENS1_30default_config_static_selectorELNS0_4arch9wavefront6targetE0EEEvT1_.has_indirect_call, 0
	.section	.AMDGPU.csdata,"",@progbits
; Kernel info:
; codeLenInByte = 0
; TotalNumSgprs: 0
; NumVgprs: 0
; ScratchSize: 0
; MemoryBound: 0
; FloatMode: 240
; IeeeMode: 1
; LDSByteSize: 0 bytes/workgroup (compile time only)
; SGPRBlocks: 0
; VGPRBlocks: 0
; NumSGPRsForWavesPerEU: 1
; NumVGPRsForWavesPerEU: 1
; Occupancy: 16
; WaveLimiterHint : 0
; COMPUTE_PGM_RSRC2:SCRATCH_EN: 0
; COMPUTE_PGM_RSRC2:USER_SGPR: 6
; COMPUTE_PGM_RSRC2:TRAP_HANDLER: 0
; COMPUTE_PGM_RSRC2:TGID_X_EN: 1
; COMPUTE_PGM_RSRC2:TGID_Y_EN: 0
; COMPUTE_PGM_RSRC2:TGID_Z_EN: 0
; COMPUTE_PGM_RSRC2:TIDIG_COMP_CNT: 0
	.section	.text._ZN7rocprim17ROCPRIM_400000_NS6detail17trampoline_kernelINS0_14default_configENS1_27scan_by_key_config_selectorIiiEEZZNS1_16scan_by_key_implILNS1_25lookback_scan_determinismE0ELb0ES3_N6thrust23THRUST_200600_302600_NS16reverse_iteratorIPKiEESD_NSA_IPiEEiN6hipcub16HIPCUB_304000_NS3MaxENSH_8EqualityEiEE10hipError_tPvRmT2_T3_T4_T5_mT6_T7_P12ihipStream_tbENKUlT_T0_E_clISt17integral_constantIbLb1EESZ_IbLb0EEEEDaSV_SW_EUlSV_E_NS1_11comp_targetILNS1_3genE3ELNS1_11target_archE908ELNS1_3gpuE7ELNS1_3repE0EEENS1_30default_config_static_selectorELNS0_4arch9wavefront6targetE0EEEvT1_,"axG",@progbits,_ZN7rocprim17ROCPRIM_400000_NS6detail17trampoline_kernelINS0_14default_configENS1_27scan_by_key_config_selectorIiiEEZZNS1_16scan_by_key_implILNS1_25lookback_scan_determinismE0ELb0ES3_N6thrust23THRUST_200600_302600_NS16reverse_iteratorIPKiEESD_NSA_IPiEEiN6hipcub16HIPCUB_304000_NS3MaxENSH_8EqualityEiEE10hipError_tPvRmT2_T3_T4_T5_mT6_T7_P12ihipStream_tbENKUlT_T0_E_clISt17integral_constantIbLb1EESZ_IbLb0EEEEDaSV_SW_EUlSV_E_NS1_11comp_targetILNS1_3genE3ELNS1_11target_archE908ELNS1_3gpuE7ELNS1_3repE0EEENS1_30default_config_static_selectorELNS0_4arch9wavefront6targetE0EEEvT1_,comdat
	.protected	_ZN7rocprim17ROCPRIM_400000_NS6detail17trampoline_kernelINS0_14default_configENS1_27scan_by_key_config_selectorIiiEEZZNS1_16scan_by_key_implILNS1_25lookback_scan_determinismE0ELb0ES3_N6thrust23THRUST_200600_302600_NS16reverse_iteratorIPKiEESD_NSA_IPiEEiN6hipcub16HIPCUB_304000_NS3MaxENSH_8EqualityEiEE10hipError_tPvRmT2_T3_T4_T5_mT6_T7_P12ihipStream_tbENKUlT_T0_E_clISt17integral_constantIbLb1EESZ_IbLb0EEEEDaSV_SW_EUlSV_E_NS1_11comp_targetILNS1_3genE3ELNS1_11target_archE908ELNS1_3gpuE7ELNS1_3repE0EEENS1_30default_config_static_selectorELNS0_4arch9wavefront6targetE0EEEvT1_ ; -- Begin function _ZN7rocprim17ROCPRIM_400000_NS6detail17trampoline_kernelINS0_14default_configENS1_27scan_by_key_config_selectorIiiEEZZNS1_16scan_by_key_implILNS1_25lookback_scan_determinismE0ELb0ES3_N6thrust23THRUST_200600_302600_NS16reverse_iteratorIPKiEESD_NSA_IPiEEiN6hipcub16HIPCUB_304000_NS3MaxENSH_8EqualityEiEE10hipError_tPvRmT2_T3_T4_T5_mT6_T7_P12ihipStream_tbENKUlT_T0_E_clISt17integral_constantIbLb1EESZ_IbLb0EEEEDaSV_SW_EUlSV_E_NS1_11comp_targetILNS1_3genE3ELNS1_11target_archE908ELNS1_3gpuE7ELNS1_3repE0EEENS1_30default_config_static_selectorELNS0_4arch9wavefront6targetE0EEEvT1_
	.globl	_ZN7rocprim17ROCPRIM_400000_NS6detail17trampoline_kernelINS0_14default_configENS1_27scan_by_key_config_selectorIiiEEZZNS1_16scan_by_key_implILNS1_25lookback_scan_determinismE0ELb0ES3_N6thrust23THRUST_200600_302600_NS16reverse_iteratorIPKiEESD_NSA_IPiEEiN6hipcub16HIPCUB_304000_NS3MaxENSH_8EqualityEiEE10hipError_tPvRmT2_T3_T4_T5_mT6_T7_P12ihipStream_tbENKUlT_T0_E_clISt17integral_constantIbLb1EESZ_IbLb0EEEEDaSV_SW_EUlSV_E_NS1_11comp_targetILNS1_3genE3ELNS1_11target_archE908ELNS1_3gpuE7ELNS1_3repE0EEENS1_30default_config_static_selectorELNS0_4arch9wavefront6targetE0EEEvT1_
	.p2align	8
	.type	_ZN7rocprim17ROCPRIM_400000_NS6detail17trampoline_kernelINS0_14default_configENS1_27scan_by_key_config_selectorIiiEEZZNS1_16scan_by_key_implILNS1_25lookback_scan_determinismE0ELb0ES3_N6thrust23THRUST_200600_302600_NS16reverse_iteratorIPKiEESD_NSA_IPiEEiN6hipcub16HIPCUB_304000_NS3MaxENSH_8EqualityEiEE10hipError_tPvRmT2_T3_T4_T5_mT6_T7_P12ihipStream_tbENKUlT_T0_E_clISt17integral_constantIbLb1EESZ_IbLb0EEEEDaSV_SW_EUlSV_E_NS1_11comp_targetILNS1_3genE3ELNS1_11target_archE908ELNS1_3gpuE7ELNS1_3repE0EEENS1_30default_config_static_selectorELNS0_4arch9wavefront6targetE0EEEvT1_,@function
_ZN7rocprim17ROCPRIM_400000_NS6detail17trampoline_kernelINS0_14default_configENS1_27scan_by_key_config_selectorIiiEEZZNS1_16scan_by_key_implILNS1_25lookback_scan_determinismE0ELb0ES3_N6thrust23THRUST_200600_302600_NS16reverse_iteratorIPKiEESD_NSA_IPiEEiN6hipcub16HIPCUB_304000_NS3MaxENSH_8EqualityEiEE10hipError_tPvRmT2_T3_T4_T5_mT6_T7_P12ihipStream_tbENKUlT_T0_E_clISt17integral_constantIbLb1EESZ_IbLb0EEEEDaSV_SW_EUlSV_E_NS1_11comp_targetILNS1_3genE3ELNS1_11target_archE908ELNS1_3gpuE7ELNS1_3repE0EEENS1_30default_config_static_selectorELNS0_4arch9wavefront6targetE0EEEvT1_: ; @_ZN7rocprim17ROCPRIM_400000_NS6detail17trampoline_kernelINS0_14default_configENS1_27scan_by_key_config_selectorIiiEEZZNS1_16scan_by_key_implILNS1_25lookback_scan_determinismE0ELb0ES3_N6thrust23THRUST_200600_302600_NS16reverse_iteratorIPKiEESD_NSA_IPiEEiN6hipcub16HIPCUB_304000_NS3MaxENSH_8EqualityEiEE10hipError_tPvRmT2_T3_T4_T5_mT6_T7_P12ihipStream_tbENKUlT_T0_E_clISt17integral_constantIbLb1EESZ_IbLb0EEEEDaSV_SW_EUlSV_E_NS1_11comp_targetILNS1_3genE3ELNS1_11target_archE908ELNS1_3gpuE7ELNS1_3repE0EEENS1_30default_config_static_selectorELNS0_4arch9wavefront6targetE0EEEvT1_
; %bb.0:
	.section	.rodata,"a",@progbits
	.p2align	6, 0x0
	.amdhsa_kernel _ZN7rocprim17ROCPRIM_400000_NS6detail17trampoline_kernelINS0_14default_configENS1_27scan_by_key_config_selectorIiiEEZZNS1_16scan_by_key_implILNS1_25lookback_scan_determinismE0ELb0ES3_N6thrust23THRUST_200600_302600_NS16reverse_iteratorIPKiEESD_NSA_IPiEEiN6hipcub16HIPCUB_304000_NS3MaxENSH_8EqualityEiEE10hipError_tPvRmT2_T3_T4_T5_mT6_T7_P12ihipStream_tbENKUlT_T0_E_clISt17integral_constantIbLb1EESZ_IbLb0EEEEDaSV_SW_EUlSV_E_NS1_11comp_targetILNS1_3genE3ELNS1_11target_archE908ELNS1_3gpuE7ELNS1_3repE0EEENS1_30default_config_static_selectorELNS0_4arch9wavefront6targetE0EEEvT1_
		.amdhsa_group_segment_fixed_size 0
		.amdhsa_private_segment_fixed_size 0
		.amdhsa_kernarg_size 112
		.amdhsa_user_sgpr_count 6
		.amdhsa_user_sgpr_private_segment_buffer 1
		.amdhsa_user_sgpr_dispatch_ptr 0
		.amdhsa_user_sgpr_queue_ptr 0
		.amdhsa_user_sgpr_kernarg_segment_ptr 1
		.amdhsa_user_sgpr_dispatch_id 0
		.amdhsa_user_sgpr_flat_scratch_init 0
		.amdhsa_user_sgpr_private_segment_size 0
		.amdhsa_wavefront_size32 1
		.amdhsa_uses_dynamic_stack 0
		.amdhsa_system_sgpr_private_segment_wavefront_offset 0
		.amdhsa_system_sgpr_workgroup_id_x 1
		.amdhsa_system_sgpr_workgroup_id_y 0
		.amdhsa_system_sgpr_workgroup_id_z 0
		.amdhsa_system_sgpr_workgroup_info 0
		.amdhsa_system_vgpr_workitem_id 0
		.amdhsa_next_free_vgpr 1
		.amdhsa_next_free_sgpr 1
		.amdhsa_reserve_vcc 0
		.amdhsa_reserve_flat_scratch 0
		.amdhsa_float_round_mode_32 0
		.amdhsa_float_round_mode_16_64 0
		.amdhsa_float_denorm_mode_32 3
		.amdhsa_float_denorm_mode_16_64 3
		.amdhsa_dx10_clamp 1
		.amdhsa_ieee_mode 1
		.amdhsa_fp16_overflow 0
		.amdhsa_workgroup_processor_mode 1
		.amdhsa_memory_ordered 1
		.amdhsa_forward_progress 1
		.amdhsa_shared_vgpr_count 0
		.amdhsa_exception_fp_ieee_invalid_op 0
		.amdhsa_exception_fp_denorm_src 0
		.amdhsa_exception_fp_ieee_div_zero 0
		.amdhsa_exception_fp_ieee_overflow 0
		.amdhsa_exception_fp_ieee_underflow 0
		.amdhsa_exception_fp_ieee_inexact 0
		.amdhsa_exception_int_div_zero 0
	.end_amdhsa_kernel
	.section	.text._ZN7rocprim17ROCPRIM_400000_NS6detail17trampoline_kernelINS0_14default_configENS1_27scan_by_key_config_selectorIiiEEZZNS1_16scan_by_key_implILNS1_25lookback_scan_determinismE0ELb0ES3_N6thrust23THRUST_200600_302600_NS16reverse_iteratorIPKiEESD_NSA_IPiEEiN6hipcub16HIPCUB_304000_NS3MaxENSH_8EqualityEiEE10hipError_tPvRmT2_T3_T4_T5_mT6_T7_P12ihipStream_tbENKUlT_T0_E_clISt17integral_constantIbLb1EESZ_IbLb0EEEEDaSV_SW_EUlSV_E_NS1_11comp_targetILNS1_3genE3ELNS1_11target_archE908ELNS1_3gpuE7ELNS1_3repE0EEENS1_30default_config_static_selectorELNS0_4arch9wavefront6targetE0EEEvT1_,"axG",@progbits,_ZN7rocprim17ROCPRIM_400000_NS6detail17trampoline_kernelINS0_14default_configENS1_27scan_by_key_config_selectorIiiEEZZNS1_16scan_by_key_implILNS1_25lookback_scan_determinismE0ELb0ES3_N6thrust23THRUST_200600_302600_NS16reverse_iteratorIPKiEESD_NSA_IPiEEiN6hipcub16HIPCUB_304000_NS3MaxENSH_8EqualityEiEE10hipError_tPvRmT2_T3_T4_T5_mT6_T7_P12ihipStream_tbENKUlT_T0_E_clISt17integral_constantIbLb1EESZ_IbLb0EEEEDaSV_SW_EUlSV_E_NS1_11comp_targetILNS1_3genE3ELNS1_11target_archE908ELNS1_3gpuE7ELNS1_3repE0EEENS1_30default_config_static_selectorELNS0_4arch9wavefront6targetE0EEEvT1_,comdat
.Lfunc_end77:
	.size	_ZN7rocprim17ROCPRIM_400000_NS6detail17trampoline_kernelINS0_14default_configENS1_27scan_by_key_config_selectorIiiEEZZNS1_16scan_by_key_implILNS1_25lookback_scan_determinismE0ELb0ES3_N6thrust23THRUST_200600_302600_NS16reverse_iteratorIPKiEESD_NSA_IPiEEiN6hipcub16HIPCUB_304000_NS3MaxENSH_8EqualityEiEE10hipError_tPvRmT2_T3_T4_T5_mT6_T7_P12ihipStream_tbENKUlT_T0_E_clISt17integral_constantIbLb1EESZ_IbLb0EEEEDaSV_SW_EUlSV_E_NS1_11comp_targetILNS1_3genE3ELNS1_11target_archE908ELNS1_3gpuE7ELNS1_3repE0EEENS1_30default_config_static_selectorELNS0_4arch9wavefront6targetE0EEEvT1_, .Lfunc_end77-_ZN7rocprim17ROCPRIM_400000_NS6detail17trampoline_kernelINS0_14default_configENS1_27scan_by_key_config_selectorIiiEEZZNS1_16scan_by_key_implILNS1_25lookback_scan_determinismE0ELb0ES3_N6thrust23THRUST_200600_302600_NS16reverse_iteratorIPKiEESD_NSA_IPiEEiN6hipcub16HIPCUB_304000_NS3MaxENSH_8EqualityEiEE10hipError_tPvRmT2_T3_T4_T5_mT6_T7_P12ihipStream_tbENKUlT_T0_E_clISt17integral_constantIbLb1EESZ_IbLb0EEEEDaSV_SW_EUlSV_E_NS1_11comp_targetILNS1_3genE3ELNS1_11target_archE908ELNS1_3gpuE7ELNS1_3repE0EEENS1_30default_config_static_selectorELNS0_4arch9wavefront6targetE0EEEvT1_
                                        ; -- End function
	.set _ZN7rocprim17ROCPRIM_400000_NS6detail17trampoline_kernelINS0_14default_configENS1_27scan_by_key_config_selectorIiiEEZZNS1_16scan_by_key_implILNS1_25lookback_scan_determinismE0ELb0ES3_N6thrust23THRUST_200600_302600_NS16reverse_iteratorIPKiEESD_NSA_IPiEEiN6hipcub16HIPCUB_304000_NS3MaxENSH_8EqualityEiEE10hipError_tPvRmT2_T3_T4_T5_mT6_T7_P12ihipStream_tbENKUlT_T0_E_clISt17integral_constantIbLb1EESZ_IbLb0EEEEDaSV_SW_EUlSV_E_NS1_11comp_targetILNS1_3genE3ELNS1_11target_archE908ELNS1_3gpuE7ELNS1_3repE0EEENS1_30default_config_static_selectorELNS0_4arch9wavefront6targetE0EEEvT1_.num_vgpr, 0
	.set _ZN7rocprim17ROCPRIM_400000_NS6detail17trampoline_kernelINS0_14default_configENS1_27scan_by_key_config_selectorIiiEEZZNS1_16scan_by_key_implILNS1_25lookback_scan_determinismE0ELb0ES3_N6thrust23THRUST_200600_302600_NS16reverse_iteratorIPKiEESD_NSA_IPiEEiN6hipcub16HIPCUB_304000_NS3MaxENSH_8EqualityEiEE10hipError_tPvRmT2_T3_T4_T5_mT6_T7_P12ihipStream_tbENKUlT_T0_E_clISt17integral_constantIbLb1EESZ_IbLb0EEEEDaSV_SW_EUlSV_E_NS1_11comp_targetILNS1_3genE3ELNS1_11target_archE908ELNS1_3gpuE7ELNS1_3repE0EEENS1_30default_config_static_selectorELNS0_4arch9wavefront6targetE0EEEvT1_.num_agpr, 0
	.set _ZN7rocprim17ROCPRIM_400000_NS6detail17trampoline_kernelINS0_14default_configENS1_27scan_by_key_config_selectorIiiEEZZNS1_16scan_by_key_implILNS1_25lookback_scan_determinismE0ELb0ES3_N6thrust23THRUST_200600_302600_NS16reverse_iteratorIPKiEESD_NSA_IPiEEiN6hipcub16HIPCUB_304000_NS3MaxENSH_8EqualityEiEE10hipError_tPvRmT2_T3_T4_T5_mT6_T7_P12ihipStream_tbENKUlT_T0_E_clISt17integral_constantIbLb1EESZ_IbLb0EEEEDaSV_SW_EUlSV_E_NS1_11comp_targetILNS1_3genE3ELNS1_11target_archE908ELNS1_3gpuE7ELNS1_3repE0EEENS1_30default_config_static_selectorELNS0_4arch9wavefront6targetE0EEEvT1_.numbered_sgpr, 0
	.set _ZN7rocprim17ROCPRIM_400000_NS6detail17trampoline_kernelINS0_14default_configENS1_27scan_by_key_config_selectorIiiEEZZNS1_16scan_by_key_implILNS1_25lookback_scan_determinismE0ELb0ES3_N6thrust23THRUST_200600_302600_NS16reverse_iteratorIPKiEESD_NSA_IPiEEiN6hipcub16HIPCUB_304000_NS3MaxENSH_8EqualityEiEE10hipError_tPvRmT2_T3_T4_T5_mT6_T7_P12ihipStream_tbENKUlT_T0_E_clISt17integral_constantIbLb1EESZ_IbLb0EEEEDaSV_SW_EUlSV_E_NS1_11comp_targetILNS1_3genE3ELNS1_11target_archE908ELNS1_3gpuE7ELNS1_3repE0EEENS1_30default_config_static_selectorELNS0_4arch9wavefront6targetE0EEEvT1_.num_named_barrier, 0
	.set _ZN7rocprim17ROCPRIM_400000_NS6detail17trampoline_kernelINS0_14default_configENS1_27scan_by_key_config_selectorIiiEEZZNS1_16scan_by_key_implILNS1_25lookback_scan_determinismE0ELb0ES3_N6thrust23THRUST_200600_302600_NS16reverse_iteratorIPKiEESD_NSA_IPiEEiN6hipcub16HIPCUB_304000_NS3MaxENSH_8EqualityEiEE10hipError_tPvRmT2_T3_T4_T5_mT6_T7_P12ihipStream_tbENKUlT_T0_E_clISt17integral_constantIbLb1EESZ_IbLb0EEEEDaSV_SW_EUlSV_E_NS1_11comp_targetILNS1_3genE3ELNS1_11target_archE908ELNS1_3gpuE7ELNS1_3repE0EEENS1_30default_config_static_selectorELNS0_4arch9wavefront6targetE0EEEvT1_.private_seg_size, 0
	.set _ZN7rocprim17ROCPRIM_400000_NS6detail17trampoline_kernelINS0_14default_configENS1_27scan_by_key_config_selectorIiiEEZZNS1_16scan_by_key_implILNS1_25lookback_scan_determinismE0ELb0ES3_N6thrust23THRUST_200600_302600_NS16reverse_iteratorIPKiEESD_NSA_IPiEEiN6hipcub16HIPCUB_304000_NS3MaxENSH_8EqualityEiEE10hipError_tPvRmT2_T3_T4_T5_mT6_T7_P12ihipStream_tbENKUlT_T0_E_clISt17integral_constantIbLb1EESZ_IbLb0EEEEDaSV_SW_EUlSV_E_NS1_11comp_targetILNS1_3genE3ELNS1_11target_archE908ELNS1_3gpuE7ELNS1_3repE0EEENS1_30default_config_static_selectorELNS0_4arch9wavefront6targetE0EEEvT1_.uses_vcc, 0
	.set _ZN7rocprim17ROCPRIM_400000_NS6detail17trampoline_kernelINS0_14default_configENS1_27scan_by_key_config_selectorIiiEEZZNS1_16scan_by_key_implILNS1_25lookback_scan_determinismE0ELb0ES3_N6thrust23THRUST_200600_302600_NS16reverse_iteratorIPKiEESD_NSA_IPiEEiN6hipcub16HIPCUB_304000_NS3MaxENSH_8EqualityEiEE10hipError_tPvRmT2_T3_T4_T5_mT6_T7_P12ihipStream_tbENKUlT_T0_E_clISt17integral_constantIbLb1EESZ_IbLb0EEEEDaSV_SW_EUlSV_E_NS1_11comp_targetILNS1_3genE3ELNS1_11target_archE908ELNS1_3gpuE7ELNS1_3repE0EEENS1_30default_config_static_selectorELNS0_4arch9wavefront6targetE0EEEvT1_.uses_flat_scratch, 0
	.set _ZN7rocprim17ROCPRIM_400000_NS6detail17trampoline_kernelINS0_14default_configENS1_27scan_by_key_config_selectorIiiEEZZNS1_16scan_by_key_implILNS1_25lookback_scan_determinismE0ELb0ES3_N6thrust23THRUST_200600_302600_NS16reverse_iteratorIPKiEESD_NSA_IPiEEiN6hipcub16HIPCUB_304000_NS3MaxENSH_8EqualityEiEE10hipError_tPvRmT2_T3_T4_T5_mT6_T7_P12ihipStream_tbENKUlT_T0_E_clISt17integral_constantIbLb1EESZ_IbLb0EEEEDaSV_SW_EUlSV_E_NS1_11comp_targetILNS1_3genE3ELNS1_11target_archE908ELNS1_3gpuE7ELNS1_3repE0EEENS1_30default_config_static_selectorELNS0_4arch9wavefront6targetE0EEEvT1_.has_dyn_sized_stack, 0
	.set _ZN7rocprim17ROCPRIM_400000_NS6detail17trampoline_kernelINS0_14default_configENS1_27scan_by_key_config_selectorIiiEEZZNS1_16scan_by_key_implILNS1_25lookback_scan_determinismE0ELb0ES3_N6thrust23THRUST_200600_302600_NS16reverse_iteratorIPKiEESD_NSA_IPiEEiN6hipcub16HIPCUB_304000_NS3MaxENSH_8EqualityEiEE10hipError_tPvRmT2_T3_T4_T5_mT6_T7_P12ihipStream_tbENKUlT_T0_E_clISt17integral_constantIbLb1EESZ_IbLb0EEEEDaSV_SW_EUlSV_E_NS1_11comp_targetILNS1_3genE3ELNS1_11target_archE908ELNS1_3gpuE7ELNS1_3repE0EEENS1_30default_config_static_selectorELNS0_4arch9wavefront6targetE0EEEvT1_.has_recursion, 0
	.set _ZN7rocprim17ROCPRIM_400000_NS6detail17trampoline_kernelINS0_14default_configENS1_27scan_by_key_config_selectorIiiEEZZNS1_16scan_by_key_implILNS1_25lookback_scan_determinismE0ELb0ES3_N6thrust23THRUST_200600_302600_NS16reverse_iteratorIPKiEESD_NSA_IPiEEiN6hipcub16HIPCUB_304000_NS3MaxENSH_8EqualityEiEE10hipError_tPvRmT2_T3_T4_T5_mT6_T7_P12ihipStream_tbENKUlT_T0_E_clISt17integral_constantIbLb1EESZ_IbLb0EEEEDaSV_SW_EUlSV_E_NS1_11comp_targetILNS1_3genE3ELNS1_11target_archE908ELNS1_3gpuE7ELNS1_3repE0EEENS1_30default_config_static_selectorELNS0_4arch9wavefront6targetE0EEEvT1_.has_indirect_call, 0
	.section	.AMDGPU.csdata,"",@progbits
; Kernel info:
; codeLenInByte = 0
; TotalNumSgprs: 0
; NumVgprs: 0
; ScratchSize: 0
; MemoryBound: 0
; FloatMode: 240
; IeeeMode: 1
; LDSByteSize: 0 bytes/workgroup (compile time only)
; SGPRBlocks: 0
; VGPRBlocks: 0
; NumSGPRsForWavesPerEU: 1
; NumVGPRsForWavesPerEU: 1
; Occupancy: 16
; WaveLimiterHint : 0
; COMPUTE_PGM_RSRC2:SCRATCH_EN: 0
; COMPUTE_PGM_RSRC2:USER_SGPR: 6
; COMPUTE_PGM_RSRC2:TRAP_HANDLER: 0
; COMPUTE_PGM_RSRC2:TGID_X_EN: 1
; COMPUTE_PGM_RSRC2:TGID_Y_EN: 0
; COMPUTE_PGM_RSRC2:TGID_Z_EN: 0
; COMPUTE_PGM_RSRC2:TIDIG_COMP_CNT: 0
	.section	.text._ZN7rocprim17ROCPRIM_400000_NS6detail17trampoline_kernelINS0_14default_configENS1_27scan_by_key_config_selectorIiiEEZZNS1_16scan_by_key_implILNS1_25lookback_scan_determinismE0ELb0ES3_N6thrust23THRUST_200600_302600_NS16reverse_iteratorIPKiEESD_NSA_IPiEEiN6hipcub16HIPCUB_304000_NS3MaxENSH_8EqualityEiEE10hipError_tPvRmT2_T3_T4_T5_mT6_T7_P12ihipStream_tbENKUlT_T0_E_clISt17integral_constantIbLb1EESZ_IbLb0EEEEDaSV_SW_EUlSV_E_NS1_11comp_targetILNS1_3genE2ELNS1_11target_archE906ELNS1_3gpuE6ELNS1_3repE0EEENS1_30default_config_static_selectorELNS0_4arch9wavefront6targetE0EEEvT1_,"axG",@progbits,_ZN7rocprim17ROCPRIM_400000_NS6detail17trampoline_kernelINS0_14default_configENS1_27scan_by_key_config_selectorIiiEEZZNS1_16scan_by_key_implILNS1_25lookback_scan_determinismE0ELb0ES3_N6thrust23THRUST_200600_302600_NS16reverse_iteratorIPKiEESD_NSA_IPiEEiN6hipcub16HIPCUB_304000_NS3MaxENSH_8EqualityEiEE10hipError_tPvRmT2_T3_T4_T5_mT6_T7_P12ihipStream_tbENKUlT_T0_E_clISt17integral_constantIbLb1EESZ_IbLb0EEEEDaSV_SW_EUlSV_E_NS1_11comp_targetILNS1_3genE2ELNS1_11target_archE906ELNS1_3gpuE6ELNS1_3repE0EEENS1_30default_config_static_selectorELNS0_4arch9wavefront6targetE0EEEvT1_,comdat
	.protected	_ZN7rocprim17ROCPRIM_400000_NS6detail17trampoline_kernelINS0_14default_configENS1_27scan_by_key_config_selectorIiiEEZZNS1_16scan_by_key_implILNS1_25lookback_scan_determinismE0ELb0ES3_N6thrust23THRUST_200600_302600_NS16reverse_iteratorIPKiEESD_NSA_IPiEEiN6hipcub16HIPCUB_304000_NS3MaxENSH_8EqualityEiEE10hipError_tPvRmT2_T3_T4_T5_mT6_T7_P12ihipStream_tbENKUlT_T0_E_clISt17integral_constantIbLb1EESZ_IbLb0EEEEDaSV_SW_EUlSV_E_NS1_11comp_targetILNS1_3genE2ELNS1_11target_archE906ELNS1_3gpuE6ELNS1_3repE0EEENS1_30default_config_static_selectorELNS0_4arch9wavefront6targetE0EEEvT1_ ; -- Begin function _ZN7rocprim17ROCPRIM_400000_NS6detail17trampoline_kernelINS0_14default_configENS1_27scan_by_key_config_selectorIiiEEZZNS1_16scan_by_key_implILNS1_25lookback_scan_determinismE0ELb0ES3_N6thrust23THRUST_200600_302600_NS16reverse_iteratorIPKiEESD_NSA_IPiEEiN6hipcub16HIPCUB_304000_NS3MaxENSH_8EqualityEiEE10hipError_tPvRmT2_T3_T4_T5_mT6_T7_P12ihipStream_tbENKUlT_T0_E_clISt17integral_constantIbLb1EESZ_IbLb0EEEEDaSV_SW_EUlSV_E_NS1_11comp_targetILNS1_3genE2ELNS1_11target_archE906ELNS1_3gpuE6ELNS1_3repE0EEENS1_30default_config_static_selectorELNS0_4arch9wavefront6targetE0EEEvT1_
	.globl	_ZN7rocprim17ROCPRIM_400000_NS6detail17trampoline_kernelINS0_14default_configENS1_27scan_by_key_config_selectorIiiEEZZNS1_16scan_by_key_implILNS1_25lookback_scan_determinismE0ELb0ES3_N6thrust23THRUST_200600_302600_NS16reverse_iteratorIPKiEESD_NSA_IPiEEiN6hipcub16HIPCUB_304000_NS3MaxENSH_8EqualityEiEE10hipError_tPvRmT2_T3_T4_T5_mT6_T7_P12ihipStream_tbENKUlT_T0_E_clISt17integral_constantIbLb1EESZ_IbLb0EEEEDaSV_SW_EUlSV_E_NS1_11comp_targetILNS1_3genE2ELNS1_11target_archE906ELNS1_3gpuE6ELNS1_3repE0EEENS1_30default_config_static_selectorELNS0_4arch9wavefront6targetE0EEEvT1_
	.p2align	8
	.type	_ZN7rocprim17ROCPRIM_400000_NS6detail17trampoline_kernelINS0_14default_configENS1_27scan_by_key_config_selectorIiiEEZZNS1_16scan_by_key_implILNS1_25lookback_scan_determinismE0ELb0ES3_N6thrust23THRUST_200600_302600_NS16reverse_iteratorIPKiEESD_NSA_IPiEEiN6hipcub16HIPCUB_304000_NS3MaxENSH_8EqualityEiEE10hipError_tPvRmT2_T3_T4_T5_mT6_T7_P12ihipStream_tbENKUlT_T0_E_clISt17integral_constantIbLb1EESZ_IbLb0EEEEDaSV_SW_EUlSV_E_NS1_11comp_targetILNS1_3genE2ELNS1_11target_archE906ELNS1_3gpuE6ELNS1_3repE0EEENS1_30default_config_static_selectorELNS0_4arch9wavefront6targetE0EEEvT1_,@function
_ZN7rocprim17ROCPRIM_400000_NS6detail17trampoline_kernelINS0_14default_configENS1_27scan_by_key_config_selectorIiiEEZZNS1_16scan_by_key_implILNS1_25lookback_scan_determinismE0ELb0ES3_N6thrust23THRUST_200600_302600_NS16reverse_iteratorIPKiEESD_NSA_IPiEEiN6hipcub16HIPCUB_304000_NS3MaxENSH_8EqualityEiEE10hipError_tPvRmT2_T3_T4_T5_mT6_T7_P12ihipStream_tbENKUlT_T0_E_clISt17integral_constantIbLb1EESZ_IbLb0EEEEDaSV_SW_EUlSV_E_NS1_11comp_targetILNS1_3genE2ELNS1_11target_archE906ELNS1_3gpuE6ELNS1_3repE0EEENS1_30default_config_static_selectorELNS0_4arch9wavefront6targetE0EEEvT1_: ; @_ZN7rocprim17ROCPRIM_400000_NS6detail17trampoline_kernelINS0_14default_configENS1_27scan_by_key_config_selectorIiiEEZZNS1_16scan_by_key_implILNS1_25lookback_scan_determinismE0ELb0ES3_N6thrust23THRUST_200600_302600_NS16reverse_iteratorIPKiEESD_NSA_IPiEEiN6hipcub16HIPCUB_304000_NS3MaxENSH_8EqualityEiEE10hipError_tPvRmT2_T3_T4_T5_mT6_T7_P12ihipStream_tbENKUlT_T0_E_clISt17integral_constantIbLb1EESZ_IbLb0EEEEDaSV_SW_EUlSV_E_NS1_11comp_targetILNS1_3genE2ELNS1_11target_archE906ELNS1_3gpuE6ELNS1_3repE0EEENS1_30default_config_static_selectorELNS0_4arch9wavefront6targetE0EEEvT1_
; %bb.0:
	.section	.rodata,"a",@progbits
	.p2align	6, 0x0
	.amdhsa_kernel _ZN7rocprim17ROCPRIM_400000_NS6detail17trampoline_kernelINS0_14default_configENS1_27scan_by_key_config_selectorIiiEEZZNS1_16scan_by_key_implILNS1_25lookback_scan_determinismE0ELb0ES3_N6thrust23THRUST_200600_302600_NS16reverse_iteratorIPKiEESD_NSA_IPiEEiN6hipcub16HIPCUB_304000_NS3MaxENSH_8EqualityEiEE10hipError_tPvRmT2_T3_T4_T5_mT6_T7_P12ihipStream_tbENKUlT_T0_E_clISt17integral_constantIbLb1EESZ_IbLb0EEEEDaSV_SW_EUlSV_E_NS1_11comp_targetILNS1_3genE2ELNS1_11target_archE906ELNS1_3gpuE6ELNS1_3repE0EEENS1_30default_config_static_selectorELNS0_4arch9wavefront6targetE0EEEvT1_
		.amdhsa_group_segment_fixed_size 0
		.amdhsa_private_segment_fixed_size 0
		.amdhsa_kernarg_size 112
		.amdhsa_user_sgpr_count 6
		.amdhsa_user_sgpr_private_segment_buffer 1
		.amdhsa_user_sgpr_dispatch_ptr 0
		.amdhsa_user_sgpr_queue_ptr 0
		.amdhsa_user_sgpr_kernarg_segment_ptr 1
		.amdhsa_user_sgpr_dispatch_id 0
		.amdhsa_user_sgpr_flat_scratch_init 0
		.amdhsa_user_sgpr_private_segment_size 0
		.amdhsa_wavefront_size32 1
		.amdhsa_uses_dynamic_stack 0
		.amdhsa_system_sgpr_private_segment_wavefront_offset 0
		.amdhsa_system_sgpr_workgroup_id_x 1
		.amdhsa_system_sgpr_workgroup_id_y 0
		.amdhsa_system_sgpr_workgroup_id_z 0
		.amdhsa_system_sgpr_workgroup_info 0
		.amdhsa_system_vgpr_workitem_id 0
		.amdhsa_next_free_vgpr 1
		.amdhsa_next_free_sgpr 1
		.amdhsa_reserve_vcc 0
		.amdhsa_reserve_flat_scratch 0
		.amdhsa_float_round_mode_32 0
		.amdhsa_float_round_mode_16_64 0
		.amdhsa_float_denorm_mode_32 3
		.amdhsa_float_denorm_mode_16_64 3
		.amdhsa_dx10_clamp 1
		.amdhsa_ieee_mode 1
		.amdhsa_fp16_overflow 0
		.amdhsa_workgroup_processor_mode 1
		.amdhsa_memory_ordered 1
		.amdhsa_forward_progress 1
		.amdhsa_shared_vgpr_count 0
		.amdhsa_exception_fp_ieee_invalid_op 0
		.amdhsa_exception_fp_denorm_src 0
		.amdhsa_exception_fp_ieee_div_zero 0
		.amdhsa_exception_fp_ieee_overflow 0
		.amdhsa_exception_fp_ieee_underflow 0
		.amdhsa_exception_fp_ieee_inexact 0
		.amdhsa_exception_int_div_zero 0
	.end_amdhsa_kernel
	.section	.text._ZN7rocprim17ROCPRIM_400000_NS6detail17trampoline_kernelINS0_14default_configENS1_27scan_by_key_config_selectorIiiEEZZNS1_16scan_by_key_implILNS1_25lookback_scan_determinismE0ELb0ES3_N6thrust23THRUST_200600_302600_NS16reverse_iteratorIPKiEESD_NSA_IPiEEiN6hipcub16HIPCUB_304000_NS3MaxENSH_8EqualityEiEE10hipError_tPvRmT2_T3_T4_T5_mT6_T7_P12ihipStream_tbENKUlT_T0_E_clISt17integral_constantIbLb1EESZ_IbLb0EEEEDaSV_SW_EUlSV_E_NS1_11comp_targetILNS1_3genE2ELNS1_11target_archE906ELNS1_3gpuE6ELNS1_3repE0EEENS1_30default_config_static_selectorELNS0_4arch9wavefront6targetE0EEEvT1_,"axG",@progbits,_ZN7rocprim17ROCPRIM_400000_NS6detail17trampoline_kernelINS0_14default_configENS1_27scan_by_key_config_selectorIiiEEZZNS1_16scan_by_key_implILNS1_25lookback_scan_determinismE0ELb0ES3_N6thrust23THRUST_200600_302600_NS16reverse_iteratorIPKiEESD_NSA_IPiEEiN6hipcub16HIPCUB_304000_NS3MaxENSH_8EqualityEiEE10hipError_tPvRmT2_T3_T4_T5_mT6_T7_P12ihipStream_tbENKUlT_T0_E_clISt17integral_constantIbLb1EESZ_IbLb0EEEEDaSV_SW_EUlSV_E_NS1_11comp_targetILNS1_3genE2ELNS1_11target_archE906ELNS1_3gpuE6ELNS1_3repE0EEENS1_30default_config_static_selectorELNS0_4arch9wavefront6targetE0EEEvT1_,comdat
.Lfunc_end78:
	.size	_ZN7rocprim17ROCPRIM_400000_NS6detail17trampoline_kernelINS0_14default_configENS1_27scan_by_key_config_selectorIiiEEZZNS1_16scan_by_key_implILNS1_25lookback_scan_determinismE0ELb0ES3_N6thrust23THRUST_200600_302600_NS16reverse_iteratorIPKiEESD_NSA_IPiEEiN6hipcub16HIPCUB_304000_NS3MaxENSH_8EqualityEiEE10hipError_tPvRmT2_T3_T4_T5_mT6_T7_P12ihipStream_tbENKUlT_T0_E_clISt17integral_constantIbLb1EESZ_IbLb0EEEEDaSV_SW_EUlSV_E_NS1_11comp_targetILNS1_3genE2ELNS1_11target_archE906ELNS1_3gpuE6ELNS1_3repE0EEENS1_30default_config_static_selectorELNS0_4arch9wavefront6targetE0EEEvT1_, .Lfunc_end78-_ZN7rocprim17ROCPRIM_400000_NS6detail17trampoline_kernelINS0_14default_configENS1_27scan_by_key_config_selectorIiiEEZZNS1_16scan_by_key_implILNS1_25lookback_scan_determinismE0ELb0ES3_N6thrust23THRUST_200600_302600_NS16reverse_iteratorIPKiEESD_NSA_IPiEEiN6hipcub16HIPCUB_304000_NS3MaxENSH_8EqualityEiEE10hipError_tPvRmT2_T3_T4_T5_mT6_T7_P12ihipStream_tbENKUlT_T0_E_clISt17integral_constantIbLb1EESZ_IbLb0EEEEDaSV_SW_EUlSV_E_NS1_11comp_targetILNS1_3genE2ELNS1_11target_archE906ELNS1_3gpuE6ELNS1_3repE0EEENS1_30default_config_static_selectorELNS0_4arch9wavefront6targetE0EEEvT1_
                                        ; -- End function
	.set _ZN7rocprim17ROCPRIM_400000_NS6detail17trampoline_kernelINS0_14default_configENS1_27scan_by_key_config_selectorIiiEEZZNS1_16scan_by_key_implILNS1_25lookback_scan_determinismE0ELb0ES3_N6thrust23THRUST_200600_302600_NS16reverse_iteratorIPKiEESD_NSA_IPiEEiN6hipcub16HIPCUB_304000_NS3MaxENSH_8EqualityEiEE10hipError_tPvRmT2_T3_T4_T5_mT6_T7_P12ihipStream_tbENKUlT_T0_E_clISt17integral_constantIbLb1EESZ_IbLb0EEEEDaSV_SW_EUlSV_E_NS1_11comp_targetILNS1_3genE2ELNS1_11target_archE906ELNS1_3gpuE6ELNS1_3repE0EEENS1_30default_config_static_selectorELNS0_4arch9wavefront6targetE0EEEvT1_.num_vgpr, 0
	.set _ZN7rocprim17ROCPRIM_400000_NS6detail17trampoline_kernelINS0_14default_configENS1_27scan_by_key_config_selectorIiiEEZZNS1_16scan_by_key_implILNS1_25lookback_scan_determinismE0ELb0ES3_N6thrust23THRUST_200600_302600_NS16reverse_iteratorIPKiEESD_NSA_IPiEEiN6hipcub16HIPCUB_304000_NS3MaxENSH_8EqualityEiEE10hipError_tPvRmT2_T3_T4_T5_mT6_T7_P12ihipStream_tbENKUlT_T0_E_clISt17integral_constantIbLb1EESZ_IbLb0EEEEDaSV_SW_EUlSV_E_NS1_11comp_targetILNS1_3genE2ELNS1_11target_archE906ELNS1_3gpuE6ELNS1_3repE0EEENS1_30default_config_static_selectorELNS0_4arch9wavefront6targetE0EEEvT1_.num_agpr, 0
	.set _ZN7rocprim17ROCPRIM_400000_NS6detail17trampoline_kernelINS0_14default_configENS1_27scan_by_key_config_selectorIiiEEZZNS1_16scan_by_key_implILNS1_25lookback_scan_determinismE0ELb0ES3_N6thrust23THRUST_200600_302600_NS16reverse_iteratorIPKiEESD_NSA_IPiEEiN6hipcub16HIPCUB_304000_NS3MaxENSH_8EqualityEiEE10hipError_tPvRmT2_T3_T4_T5_mT6_T7_P12ihipStream_tbENKUlT_T0_E_clISt17integral_constantIbLb1EESZ_IbLb0EEEEDaSV_SW_EUlSV_E_NS1_11comp_targetILNS1_3genE2ELNS1_11target_archE906ELNS1_3gpuE6ELNS1_3repE0EEENS1_30default_config_static_selectorELNS0_4arch9wavefront6targetE0EEEvT1_.numbered_sgpr, 0
	.set _ZN7rocprim17ROCPRIM_400000_NS6detail17trampoline_kernelINS0_14default_configENS1_27scan_by_key_config_selectorIiiEEZZNS1_16scan_by_key_implILNS1_25lookback_scan_determinismE0ELb0ES3_N6thrust23THRUST_200600_302600_NS16reverse_iteratorIPKiEESD_NSA_IPiEEiN6hipcub16HIPCUB_304000_NS3MaxENSH_8EqualityEiEE10hipError_tPvRmT2_T3_T4_T5_mT6_T7_P12ihipStream_tbENKUlT_T0_E_clISt17integral_constantIbLb1EESZ_IbLb0EEEEDaSV_SW_EUlSV_E_NS1_11comp_targetILNS1_3genE2ELNS1_11target_archE906ELNS1_3gpuE6ELNS1_3repE0EEENS1_30default_config_static_selectorELNS0_4arch9wavefront6targetE0EEEvT1_.num_named_barrier, 0
	.set _ZN7rocprim17ROCPRIM_400000_NS6detail17trampoline_kernelINS0_14default_configENS1_27scan_by_key_config_selectorIiiEEZZNS1_16scan_by_key_implILNS1_25lookback_scan_determinismE0ELb0ES3_N6thrust23THRUST_200600_302600_NS16reverse_iteratorIPKiEESD_NSA_IPiEEiN6hipcub16HIPCUB_304000_NS3MaxENSH_8EqualityEiEE10hipError_tPvRmT2_T3_T4_T5_mT6_T7_P12ihipStream_tbENKUlT_T0_E_clISt17integral_constantIbLb1EESZ_IbLb0EEEEDaSV_SW_EUlSV_E_NS1_11comp_targetILNS1_3genE2ELNS1_11target_archE906ELNS1_3gpuE6ELNS1_3repE0EEENS1_30default_config_static_selectorELNS0_4arch9wavefront6targetE0EEEvT1_.private_seg_size, 0
	.set _ZN7rocprim17ROCPRIM_400000_NS6detail17trampoline_kernelINS0_14default_configENS1_27scan_by_key_config_selectorIiiEEZZNS1_16scan_by_key_implILNS1_25lookback_scan_determinismE0ELb0ES3_N6thrust23THRUST_200600_302600_NS16reverse_iteratorIPKiEESD_NSA_IPiEEiN6hipcub16HIPCUB_304000_NS3MaxENSH_8EqualityEiEE10hipError_tPvRmT2_T3_T4_T5_mT6_T7_P12ihipStream_tbENKUlT_T0_E_clISt17integral_constantIbLb1EESZ_IbLb0EEEEDaSV_SW_EUlSV_E_NS1_11comp_targetILNS1_3genE2ELNS1_11target_archE906ELNS1_3gpuE6ELNS1_3repE0EEENS1_30default_config_static_selectorELNS0_4arch9wavefront6targetE0EEEvT1_.uses_vcc, 0
	.set _ZN7rocprim17ROCPRIM_400000_NS6detail17trampoline_kernelINS0_14default_configENS1_27scan_by_key_config_selectorIiiEEZZNS1_16scan_by_key_implILNS1_25lookback_scan_determinismE0ELb0ES3_N6thrust23THRUST_200600_302600_NS16reverse_iteratorIPKiEESD_NSA_IPiEEiN6hipcub16HIPCUB_304000_NS3MaxENSH_8EqualityEiEE10hipError_tPvRmT2_T3_T4_T5_mT6_T7_P12ihipStream_tbENKUlT_T0_E_clISt17integral_constantIbLb1EESZ_IbLb0EEEEDaSV_SW_EUlSV_E_NS1_11comp_targetILNS1_3genE2ELNS1_11target_archE906ELNS1_3gpuE6ELNS1_3repE0EEENS1_30default_config_static_selectorELNS0_4arch9wavefront6targetE0EEEvT1_.uses_flat_scratch, 0
	.set _ZN7rocprim17ROCPRIM_400000_NS6detail17trampoline_kernelINS0_14default_configENS1_27scan_by_key_config_selectorIiiEEZZNS1_16scan_by_key_implILNS1_25lookback_scan_determinismE0ELb0ES3_N6thrust23THRUST_200600_302600_NS16reverse_iteratorIPKiEESD_NSA_IPiEEiN6hipcub16HIPCUB_304000_NS3MaxENSH_8EqualityEiEE10hipError_tPvRmT2_T3_T4_T5_mT6_T7_P12ihipStream_tbENKUlT_T0_E_clISt17integral_constantIbLb1EESZ_IbLb0EEEEDaSV_SW_EUlSV_E_NS1_11comp_targetILNS1_3genE2ELNS1_11target_archE906ELNS1_3gpuE6ELNS1_3repE0EEENS1_30default_config_static_selectorELNS0_4arch9wavefront6targetE0EEEvT1_.has_dyn_sized_stack, 0
	.set _ZN7rocprim17ROCPRIM_400000_NS6detail17trampoline_kernelINS0_14default_configENS1_27scan_by_key_config_selectorIiiEEZZNS1_16scan_by_key_implILNS1_25lookback_scan_determinismE0ELb0ES3_N6thrust23THRUST_200600_302600_NS16reverse_iteratorIPKiEESD_NSA_IPiEEiN6hipcub16HIPCUB_304000_NS3MaxENSH_8EqualityEiEE10hipError_tPvRmT2_T3_T4_T5_mT6_T7_P12ihipStream_tbENKUlT_T0_E_clISt17integral_constantIbLb1EESZ_IbLb0EEEEDaSV_SW_EUlSV_E_NS1_11comp_targetILNS1_3genE2ELNS1_11target_archE906ELNS1_3gpuE6ELNS1_3repE0EEENS1_30default_config_static_selectorELNS0_4arch9wavefront6targetE0EEEvT1_.has_recursion, 0
	.set _ZN7rocprim17ROCPRIM_400000_NS6detail17trampoline_kernelINS0_14default_configENS1_27scan_by_key_config_selectorIiiEEZZNS1_16scan_by_key_implILNS1_25lookback_scan_determinismE0ELb0ES3_N6thrust23THRUST_200600_302600_NS16reverse_iteratorIPKiEESD_NSA_IPiEEiN6hipcub16HIPCUB_304000_NS3MaxENSH_8EqualityEiEE10hipError_tPvRmT2_T3_T4_T5_mT6_T7_P12ihipStream_tbENKUlT_T0_E_clISt17integral_constantIbLb1EESZ_IbLb0EEEEDaSV_SW_EUlSV_E_NS1_11comp_targetILNS1_3genE2ELNS1_11target_archE906ELNS1_3gpuE6ELNS1_3repE0EEENS1_30default_config_static_selectorELNS0_4arch9wavefront6targetE0EEEvT1_.has_indirect_call, 0
	.section	.AMDGPU.csdata,"",@progbits
; Kernel info:
; codeLenInByte = 0
; TotalNumSgprs: 0
; NumVgprs: 0
; ScratchSize: 0
; MemoryBound: 0
; FloatMode: 240
; IeeeMode: 1
; LDSByteSize: 0 bytes/workgroup (compile time only)
; SGPRBlocks: 0
; VGPRBlocks: 0
; NumSGPRsForWavesPerEU: 1
; NumVGPRsForWavesPerEU: 1
; Occupancy: 16
; WaveLimiterHint : 0
; COMPUTE_PGM_RSRC2:SCRATCH_EN: 0
; COMPUTE_PGM_RSRC2:USER_SGPR: 6
; COMPUTE_PGM_RSRC2:TRAP_HANDLER: 0
; COMPUTE_PGM_RSRC2:TGID_X_EN: 1
; COMPUTE_PGM_RSRC2:TGID_Y_EN: 0
; COMPUTE_PGM_RSRC2:TGID_Z_EN: 0
; COMPUTE_PGM_RSRC2:TIDIG_COMP_CNT: 0
	.section	.text._ZN7rocprim17ROCPRIM_400000_NS6detail17trampoline_kernelINS0_14default_configENS1_27scan_by_key_config_selectorIiiEEZZNS1_16scan_by_key_implILNS1_25lookback_scan_determinismE0ELb0ES3_N6thrust23THRUST_200600_302600_NS16reverse_iteratorIPKiEESD_NSA_IPiEEiN6hipcub16HIPCUB_304000_NS3MaxENSH_8EqualityEiEE10hipError_tPvRmT2_T3_T4_T5_mT6_T7_P12ihipStream_tbENKUlT_T0_E_clISt17integral_constantIbLb1EESZ_IbLb0EEEEDaSV_SW_EUlSV_E_NS1_11comp_targetILNS1_3genE10ELNS1_11target_archE1200ELNS1_3gpuE4ELNS1_3repE0EEENS1_30default_config_static_selectorELNS0_4arch9wavefront6targetE0EEEvT1_,"axG",@progbits,_ZN7rocprim17ROCPRIM_400000_NS6detail17trampoline_kernelINS0_14default_configENS1_27scan_by_key_config_selectorIiiEEZZNS1_16scan_by_key_implILNS1_25lookback_scan_determinismE0ELb0ES3_N6thrust23THRUST_200600_302600_NS16reverse_iteratorIPKiEESD_NSA_IPiEEiN6hipcub16HIPCUB_304000_NS3MaxENSH_8EqualityEiEE10hipError_tPvRmT2_T3_T4_T5_mT6_T7_P12ihipStream_tbENKUlT_T0_E_clISt17integral_constantIbLb1EESZ_IbLb0EEEEDaSV_SW_EUlSV_E_NS1_11comp_targetILNS1_3genE10ELNS1_11target_archE1200ELNS1_3gpuE4ELNS1_3repE0EEENS1_30default_config_static_selectorELNS0_4arch9wavefront6targetE0EEEvT1_,comdat
	.protected	_ZN7rocprim17ROCPRIM_400000_NS6detail17trampoline_kernelINS0_14default_configENS1_27scan_by_key_config_selectorIiiEEZZNS1_16scan_by_key_implILNS1_25lookback_scan_determinismE0ELb0ES3_N6thrust23THRUST_200600_302600_NS16reverse_iteratorIPKiEESD_NSA_IPiEEiN6hipcub16HIPCUB_304000_NS3MaxENSH_8EqualityEiEE10hipError_tPvRmT2_T3_T4_T5_mT6_T7_P12ihipStream_tbENKUlT_T0_E_clISt17integral_constantIbLb1EESZ_IbLb0EEEEDaSV_SW_EUlSV_E_NS1_11comp_targetILNS1_3genE10ELNS1_11target_archE1200ELNS1_3gpuE4ELNS1_3repE0EEENS1_30default_config_static_selectorELNS0_4arch9wavefront6targetE0EEEvT1_ ; -- Begin function _ZN7rocprim17ROCPRIM_400000_NS6detail17trampoline_kernelINS0_14default_configENS1_27scan_by_key_config_selectorIiiEEZZNS1_16scan_by_key_implILNS1_25lookback_scan_determinismE0ELb0ES3_N6thrust23THRUST_200600_302600_NS16reverse_iteratorIPKiEESD_NSA_IPiEEiN6hipcub16HIPCUB_304000_NS3MaxENSH_8EqualityEiEE10hipError_tPvRmT2_T3_T4_T5_mT6_T7_P12ihipStream_tbENKUlT_T0_E_clISt17integral_constantIbLb1EESZ_IbLb0EEEEDaSV_SW_EUlSV_E_NS1_11comp_targetILNS1_3genE10ELNS1_11target_archE1200ELNS1_3gpuE4ELNS1_3repE0EEENS1_30default_config_static_selectorELNS0_4arch9wavefront6targetE0EEEvT1_
	.globl	_ZN7rocprim17ROCPRIM_400000_NS6detail17trampoline_kernelINS0_14default_configENS1_27scan_by_key_config_selectorIiiEEZZNS1_16scan_by_key_implILNS1_25lookback_scan_determinismE0ELb0ES3_N6thrust23THRUST_200600_302600_NS16reverse_iteratorIPKiEESD_NSA_IPiEEiN6hipcub16HIPCUB_304000_NS3MaxENSH_8EqualityEiEE10hipError_tPvRmT2_T3_T4_T5_mT6_T7_P12ihipStream_tbENKUlT_T0_E_clISt17integral_constantIbLb1EESZ_IbLb0EEEEDaSV_SW_EUlSV_E_NS1_11comp_targetILNS1_3genE10ELNS1_11target_archE1200ELNS1_3gpuE4ELNS1_3repE0EEENS1_30default_config_static_selectorELNS0_4arch9wavefront6targetE0EEEvT1_
	.p2align	8
	.type	_ZN7rocprim17ROCPRIM_400000_NS6detail17trampoline_kernelINS0_14default_configENS1_27scan_by_key_config_selectorIiiEEZZNS1_16scan_by_key_implILNS1_25lookback_scan_determinismE0ELb0ES3_N6thrust23THRUST_200600_302600_NS16reverse_iteratorIPKiEESD_NSA_IPiEEiN6hipcub16HIPCUB_304000_NS3MaxENSH_8EqualityEiEE10hipError_tPvRmT2_T3_T4_T5_mT6_T7_P12ihipStream_tbENKUlT_T0_E_clISt17integral_constantIbLb1EESZ_IbLb0EEEEDaSV_SW_EUlSV_E_NS1_11comp_targetILNS1_3genE10ELNS1_11target_archE1200ELNS1_3gpuE4ELNS1_3repE0EEENS1_30default_config_static_selectorELNS0_4arch9wavefront6targetE0EEEvT1_,@function
_ZN7rocprim17ROCPRIM_400000_NS6detail17trampoline_kernelINS0_14default_configENS1_27scan_by_key_config_selectorIiiEEZZNS1_16scan_by_key_implILNS1_25lookback_scan_determinismE0ELb0ES3_N6thrust23THRUST_200600_302600_NS16reverse_iteratorIPKiEESD_NSA_IPiEEiN6hipcub16HIPCUB_304000_NS3MaxENSH_8EqualityEiEE10hipError_tPvRmT2_T3_T4_T5_mT6_T7_P12ihipStream_tbENKUlT_T0_E_clISt17integral_constantIbLb1EESZ_IbLb0EEEEDaSV_SW_EUlSV_E_NS1_11comp_targetILNS1_3genE10ELNS1_11target_archE1200ELNS1_3gpuE4ELNS1_3repE0EEENS1_30default_config_static_selectorELNS0_4arch9wavefront6targetE0EEEvT1_: ; @_ZN7rocprim17ROCPRIM_400000_NS6detail17trampoline_kernelINS0_14default_configENS1_27scan_by_key_config_selectorIiiEEZZNS1_16scan_by_key_implILNS1_25lookback_scan_determinismE0ELb0ES3_N6thrust23THRUST_200600_302600_NS16reverse_iteratorIPKiEESD_NSA_IPiEEiN6hipcub16HIPCUB_304000_NS3MaxENSH_8EqualityEiEE10hipError_tPvRmT2_T3_T4_T5_mT6_T7_P12ihipStream_tbENKUlT_T0_E_clISt17integral_constantIbLb1EESZ_IbLb0EEEEDaSV_SW_EUlSV_E_NS1_11comp_targetILNS1_3genE10ELNS1_11target_archE1200ELNS1_3gpuE4ELNS1_3repE0EEENS1_30default_config_static_selectorELNS0_4arch9wavefront6targetE0EEEvT1_
; %bb.0:
	.section	.rodata,"a",@progbits
	.p2align	6, 0x0
	.amdhsa_kernel _ZN7rocprim17ROCPRIM_400000_NS6detail17trampoline_kernelINS0_14default_configENS1_27scan_by_key_config_selectorIiiEEZZNS1_16scan_by_key_implILNS1_25lookback_scan_determinismE0ELb0ES3_N6thrust23THRUST_200600_302600_NS16reverse_iteratorIPKiEESD_NSA_IPiEEiN6hipcub16HIPCUB_304000_NS3MaxENSH_8EqualityEiEE10hipError_tPvRmT2_T3_T4_T5_mT6_T7_P12ihipStream_tbENKUlT_T0_E_clISt17integral_constantIbLb1EESZ_IbLb0EEEEDaSV_SW_EUlSV_E_NS1_11comp_targetILNS1_3genE10ELNS1_11target_archE1200ELNS1_3gpuE4ELNS1_3repE0EEENS1_30default_config_static_selectorELNS0_4arch9wavefront6targetE0EEEvT1_
		.amdhsa_group_segment_fixed_size 0
		.amdhsa_private_segment_fixed_size 0
		.amdhsa_kernarg_size 112
		.amdhsa_user_sgpr_count 6
		.amdhsa_user_sgpr_private_segment_buffer 1
		.amdhsa_user_sgpr_dispatch_ptr 0
		.amdhsa_user_sgpr_queue_ptr 0
		.amdhsa_user_sgpr_kernarg_segment_ptr 1
		.amdhsa_user_sgpr_dispatch_id 0
		.amdhsa_user_sgpr_flat_scratch_init 0
		.amdhsa_user_sgpr_private_segment_size 0
		.amdhsa_wavefront_size32 1
		.amdhsa_uses_dynamic_stack 0
		.amdhsa_system_sgpr_private_segment_wavefront_offset 0
		.amdhsa_system_sgpr_workgroup_id_x 1
		.amdhsa_system_sgpr_workgroup_id_y 0
		.amdhsa_system_sgpr_workgroup_id_z 0
		.amdhsa_system_sgpr_workgroup_info 0
		.amdhsa_system_vgpr_workitem_id 0
		.amdhsa_next_free_vgpr 1
		.amdhsa_next_free_sgpr 1
		.amdhsa_reserve_vcc 0
		.amdhsa_reserve_flat_scratch 0
		.amdhsa_float_round_mode_32 0
		.amdhsa_float_round_mode_16_64 0
		.amdhsa_float_denorm_mode_32 3
		.amdhsa_float_denorm_mode_16_64 3
		.amdhsa_dx10_clamp 1
		.amdhsa_ieee_mode 1
		.amdhsa_fp16_overflow 0
		.amdhsa_workgroup_processor_mode 1
		.amdhsa_memory_ordered 1
		.amdhsa_forward_progress 1
		.amdhsa_shared_vgpr_count 0
		.amdhsa_exception_fp_ieee_invalid_op 0
		.amdhsa_exception_fp_denorm_src 0
		.amdhsa_exception_fp_ieee_div_zero 0
		.amdhsa_exception_fp_ieee_overflow 0
		.amdhsa_exception_fp_ieee_underflow 0
		.amdhsa_exception_fp_ieee_inexact 0
		.amdhsa_exception_int_div_zero 0
	.end_amdhsa_kernel
	.section	.text._ZN7rocprim17ROCPRIM_400000_NS6detail17trampoline_kernelINS0_14default_configENS1_27scan_by_key_config_selectorIiiEEZZNS1_16scan_by_key_implILNS1_25lookback_scan_determinismE0ELb0ES3_N6thrust23THRUST_200600_302600_NS16reverse_iteratorIPKiEESD_NSA_IPiEEiN6hipcub16HIPCUB_304000_NS3MaxENSH_8EqualityEiEE10hipError_tPvRmT2_T3_T4_T5_mT6_T7_P12ihipStream_tbENKUlT_T0_E_clISt17integral_constantIbLb1EESZ_IbLb0EEEEDaSV_SW_EUlSV_E_NS1_11comp_targetILNS1_3genE10ELNS1_11target_archE1200ELNS1_3gpuE4ELNS1_3repE0EEENS1_30default_config_static_selectorELNS0_4arch9wavefront6targetE0EEEvT1_,"axG",@progbits,_ZN7rocprim17ROCPRIM_400000_NS6detail17trampoline_kernelINS0_14default_configENS1_27scan_by_key_config_selectorIiiEEZZNS1_16scan_by_key_implILNS1_25lookback_scan_determinismE0ELb0ES3_N6thrust23THRUST_200600_302600_NS16reverse_iteratorIPKiEESD_NSA_IPiEEiN6hipcub16HIPCUB_304000_NS3MaxENSH_8EqualityEiEE10hipError_tPvRmT2_T3_T4_T5_mT6_T7_P12ihipStream_tbENKUlT_T0_E_clISt17integral_constantIbLb1EESZ_IbLb0EEEEDaSV_SW_EUlSV_E_NS1_11comp_targetILNS1_3genE10ELNS1_11target_archE1200ELNS1_3gpuE4ELNS1_3repE0EEENS1_30default_config_static_selectorELNS0_4arch9wavefront6targetE0EEEvT1_,comdat
.Lfunc_end79:
	.size	_ZN7rocprim17ROCPRIM_400000_NS6detail17trampoline_kernelINS0_14default_configENS1_27scan_by_key_config_selectorIiiEEZZNS1_16scan_by_key_implILNS1_25lookback_scan_determinismE0ELb0ES3_N6thrust23THRUST_200600_302600_NS16reverse_iteratorIPKiEESD_NSA_IPiEEiN6hipcub16HIPCUB_304000_NS3MaxENSH_8EqualityEiEE10hipError_tPvRmT2_T3_T4_T5_mT6_T7_P12ihipStream_tbENKUlT_T0_E_clISt17integral_constantIbLb1EESZ_IbLb0EEEEDaSV_SW_EUlSV_E_NS1_11comp_targetILNS1_3genE10ELNS1_11target_archE1200ELNS1_3gpuE4ELNS1_3repE0EEENS1_30default_config_static_selectorELNS0_4arch9wavefront6targetE0EEEvT1_, .Lfunc_end79-_ZN7rocprim17ROCPRIM_400000_NS6detail17trampoline_kernelINS0_14default_configENS1_27scan_by_key_config_selectorIiiEEZZNS1_16scan_by_key_implILNS1_25lookback_scan_determinismE0ELb0ES3_N6thrust23THRUST_200600_302600_NS16reverse_iteratorIPKiEESD_NSA_IPiEEiN6hipcub16HIPCUB_304000_NS3MaxENSH_8EqualityEiEE10hipError_tPvRmT2_T3_T4_T5_mT6_T7_P12ihipStream_tbENKUlT_T0_E_clISt17integral_constantIbLb1EESZ_IbLb0EEEEDaSV_SW_EUlSV_E_NS1_11comp_targetILNS1_3genE10ELNS1_11target_archE1200ELNS1_3gpuE4ELNS1_3repE0EEENS1_30default_config_static_selectorELNS0_4arch9wavefront6targetE0EEEvT1_
                                        ; -- End function
	.set _ZN7rocprim17ROCPRIM_400000_NS6detail17trampoline_kernelINS0_14default_configENS1_27scan_by_key_config_selectorIiiEEZZNS1_16scan_by_key_implILNS1_25lookback_scan_determinismE0ELb0ES3_N6thrust23THRUST_200600_302600_NS16reverse_iteratorIPKiEESD_NSA_IPiEEiN6hipcub16HIPCUB_304000_NS3MaxENSH_8EqualityEiEE10hipError_tPvRmT2_T3_T4_T5_mT6_T7_P12ihipStream_tbENKUlT_T0_E_clISt17integral_constantIbLb1EESZ_IbLb0EEEEDaSV_SW_EUlSV_E_NS1_11comp_targetILNS1_3genE10ELNS1_11target_archE1200ELNS1_3gpuE4ELNS1_3repE0EEENS1_30default_config_static_selectorELNS0_4arch9wavefront6targetE0EEEvT1_.num_vgpr, 0
	.set _ZN7rocprim17ROCPRIM_400000_NS6detail17trampoline_kernelINS0_14default_configENS1_27scan_by_key_config_selectorIiiEEZZNS1_16scan_by_key_implILNS1_25lookback_scan_determinismE0ELb0ES3_N6thrust23THRUST_200600_302600_NS16reverse_iteratorIPKiEESD_NSA_IPiEEiN6hipcub16HIPCUB_304000_NS3MaxENSH_8EqualityEiEE10hipError_tPvRmT2_T3_T4_T5_mT6_T7_P12ihipStream_tbENKUlT_T0_E_clISt17integral_constantIbLb1EESZ_IbLb0EEEEDaSV_SW_EUlSV_E_NS1_11comp_targetILNS1_3genE10ELNS1_11target_archE1200ELNS1_3gpuE4ELNS1_3repE0EEENS1_30default_config_static_selectorELNS0_4arch9wavefront6targetE0EEEvT1_.num_agpr, 0
	.set _ZN7rocprim17ROCPRIM_400000_NS6detail17trampoline_kernelINS0_14default_configENS1_27scan_by_key_config_selectorIiiEEZZNS1_16scan_by_key_implILNS1_25lookback_scan_determinismE0ELb0ES3_N6thrust23THRUST_200600_302600_NS16reverse_iteratorIPKiEESD_NSA_IPiEEiN6hipcub16HIPCUB_304000_NS3MaxENSH_8EqualityEiEE10hipError_tPvRmT2_T3_T4_T5_mT6_T7_P12ihipStream_tbENKUlT_T0_E_clISt17integral_constantIbLb1EESZ_IbLb0EEEEDaSV_SW_EUlSV_E_NS1_11comp_targetILNS1_3genE10ELNS1_11target_archE1200ELNS1_3gpuE4ELNS1_3repE0EEENS1_30default_config_static_selectorELNS0_4arch9wavefront6targetE0EEEvT1_.numbered_sgpr, 0
	.set _ZN7rocprim17ROCPRIM_400000_NS6detail17trampoline_kernelINS0_14default_configENS1_27scan_by_key_config_selectorIiiEEZZNS1_16scan_by_key_implILNS1_25lookback_scan_determinismE0ELb0ES3_N6thrust23THRUST_200600_302600_NS16reverse_iteratorIPKiEESD_NSA_IPiEEiN6hipcub16HIPCUB_304000_NS3MaxENSH_8EqualityEiEE10hipError_tPvRmT2_T3_T4_T5_mT6_T7_P12ihipStream_tbENKUlT_T0_E_clISt17integral_constantIbLb1EESZ_IbLb0EEEEDaSV_SW_EUlSV_E_NS1_11comp_targetILNS1_3genE10ELNS1_11target_archE1200ELNS1_3gpuE4ELNS1_3repE0EEENS1_30default_config_static_selectorELNS0_4arch9wavefront6targetE0EEEvT1_.num_named_barrier, 0
	.set _ZN7rocprim17ROCPRIM_400000_NS6detail17trampoline_kernelINS0_14default_configENS1_27scan_by_key_config_selectorIiiEEZZNS1_16scan_by_key_implILNS1_25lookback_scan_determinismE0ELb0ES3_N6thrust23THRUST_200600_302600_NS16reverse_iteratorIPKiEESD_NSA_IPiEEiN6hipcub16HIPCUB_304000_NS3MaxENSH_8EqualityEiEE10hipError_tPvRmT2_T3_T4_T5_mT6_T7_P12ihipStream_tbENKUlT_T0_E_clISt17integral_constantIbLb1EESZ_IbLb0EEEEDaSV_SW_EUlSV_E_NS1_11comp_targetILNS1_3genE10ELNS1_11target_archE1200ELNS1_3gpuE4ELNS1_3repE0EEENS1_30default_config_static_selectorELNS0_4arch9wavefront6targetE0EEEvT1_.private_seg_size, 0
	.set _ZN7rocprim17ROCPRIM_400000_NS6detail17trampoline_kernelINS0_14default_configENS1_27scan_by_key_config_selectorIiiEEZZNS1_16scan_by_key_implILNS1_25lookback_scan_determinismE0ELb0ES3_N6thrust23THRUST_200600_302600_NS16reverse_iteratorIPKiEESD_NSA_IPiEEiN6hipcub16HIPCUB_304000_NS3MaxENSH_8EqualityEiEE10hipError_tPvRmT2_T3_T4_T5_mT6_T7_P12ihipStream_tbENKUlT_T0_E_clISt17integral_constantIbLb1EESZ_IbLb0EEEEDaSV_SW_EUlSV_E_NS1_11comp_targetILNS1_3genE10ELNS1_11target_archE1200ELNS1_3gpuE4ELNS1_3repE0EEENS1_30default_config_static_selectorELNS0_4arch9wavefront6targetE0EEEvT1_.uses_vcc, 0
	.set _ZN7rocprim17ROCPRIM_400000_NS6detail17trampoline_kernelINS0_14default_configENS1_27scan_by_key_config_selectorIiiEEZZNS1_16scan_by_key_implILNS1_25lookback_scan_determinismE0ELb0ES3_N6thrust23THRUST_200600_302600_NS16reverse_iteratorIPKiEESD_NSA_IPiEEiN6hipcub16HIPCUB_304000_NS3MaxENSH_8EqualityEiEE10hipError_tPvRmT2_T3_T4_T5_mT6_T7_P12ihipStream_tbENKUlT_T0_E_clISt17integral_constantIbLb1EESZ_IbLb0EEEEDaSV_SW_EUlSV_E_NS1_11comp_targetILNS1_3genE10ELNS1_11target_archE1200ELNS1_3gpuE4ELNS1_3repE0EEENS1_30default_config_static_selectorELNS0_4arch9wavefront6targetE0EEEvT1_.uses_flat_scratch, 0
	.set _ZN7rocprim17ROCPRIM_400000_NS6detail17trampoline_kernelINS0_14default_configENS1_27scan_by_key_config_selectorIiiEEZZNS1_16scan_by_key_implILNS1_25lookback_scan_determinismE0ELb0ES3_N6thrust23THRUST_200600_302600_NS16reverse_iteratorIPKiEESD_NSA_IPiEEiN6hipcub16HIPCUB_304000_NS3MaxENSH_8EqualityEiEE10hipError_tPvRmT2_T3_T4_T5_mT6_T7_P12ihipStream_tbENKUlT_T0_E_clISt17integral_constantIbLb1EESZ_IbLb0EEEEDaSV_SW_EUlSV_E_NS1_11comp_targetILNS1_3genE10ELNS1_11target_archE1200ELNS1_3gpuE4ELNS1_3repE0EEENS1_30default_config_static_selectorELNS0_4arch9wavefront6targetE0EEEvT1_.has_dyn_sized_stack, 0
	.set _ZN7rocprim17ROCPRIM_400000_NS6detail17trampoline_kernelINS0_14default_configENS1_27scan_by_key_config_selectorIiiEEZZNS1_16scan_by_key_implILNS1_25lookback_scan_determinismE0ELb0ES3_N6thrust23THRUST_200600_302600_NS16reverse_iteratorIPKiEESD_NSA_IPiEEiN6hipcub16HIPCUB_304000_NS3MaxENSH_8EqualityEiEE10hipError_tPvRmT2_T3_T4_T5_mT6_T7_P12ihipStream_tbENKUlT_T0_E_clISt17integral_constantIbLb1EESZ_IbLb0EEEEDaSV_SW_EUlSV_E_NS1_11comp_targetILNS1_3genE10ELNS1_11target_archE1200ELNS1_3gpuE4ELNS1_3repE0EEENS1_30default_config_static_selectorELNS0_4arch9wavefront6targetE0EEEvT1_.has_recursion, 0
	.set _ZN7rocprim17ROCPRIM_400000_NS6detail17trampoline_kernelINS0_14default_configENS1_27scan_by_key_config_selectorIiiEEZZNS1_16scan_by_key_implILNS1_25lookback_scan_determinismE0ELb0ES3_N6thrust23THRUST_200600_302600_NS16reverse_iteratorIPKiEESD_NSA_IPiEEiN6hipcub16HIPCUB_304000_NS3MaxENSH_8EqualityEiEE10hipError_tPvRmT2_T3_T4_T5_mT6_T7_P12ihipStream_tbENKUlT_T0_E_clISt17integral_constantIbLb1EESZ_IbLb0EEEEDaSV_SW_EUlSV_E_NS1_11comp_targetILNS1_3genE10ELNS1_11target_archE1200ELNS1_3gpuE4ELNS1_3repE0EEENS1_30default_config_static_selectorELNS0_4arch9wavefront6targetE0EEEvT1_.has_indirect_call, 0
	.section	.AMDGPU.csdata,"",@progbits
; Kernel info:
; codeLenInByte = 0
; TotalNumSgprs: 0
; NumVgprs: 0
; ScratchSize: 0
; MemoryBound: 0
; FloatMode: 240
; IeeeMode: 1
; LDSByteSize: 0 bytes/workgroup (compile time only)
; SGPRBlocks: 0
; VGPRBlocks: 0
; NumSGPRsForWavesPerEU: 1
; NumVGPRsForWavesPerEU: 1
; Occupancy: 16
; WaveLimiterHint : 0
; COMPUTE_PGM_RSRC2:SCRATCH_EN: 0
; COMPUTE_PGM_RSRC2:USER_SGPR: 6
; COMPUTE_PGM_RSRC2:TRAP_HANDLER: 0
; COMPUTE_PGM_RSRC2:TGID_X_EN: 1
; COMPUTE_PGM_RSRC2:TGID_Y_EN: 0
; COMPUTE_PGM_RSRC2:TGID_Z_EN: 0
; COMPUTE_PGM_RSRC2:TIDIG_COMP_CNT: 0
	.section	.text._ZN7rocprim17ROCPRIM_400000_NS6detail17trampoline_kernelINS0_14default_configENS1_27scan_by_key_config_selectorIiiEEZZNS1_16scan_by_key_implILNS1_25lookback_scan_determinismE0ELb0ES3_N6thrust23THRUST_200600_302600_NS16reverse_iteratorIPKiEESD_NSA_IPiEEiN6hipcub16HIPCUB_304000_NS3MaxENSH_8EqualityEiEE10hipError_tPvRmT2_T3_T4_T5_mT6_T7_P12ihipStream_tbENKUlT_T0_E_clISt17integral_constantIbLb1EESZ_IbLb0EEEEDaSV_SW_EUlSV_E_NS1_11comp_targetILNS1_3genE9ELNS1_11target_archE1100ELNS1_3gpuE3ELNS1_3repE0EEENS1_30default_config_static_selectorELNS0_4arch9wavefront6targetE0EEEvT1_,"axG",@progbits,_ZN7rocprim17ROCPRIM_400000_NS6detail17trampoline_kernelINS0_14default_configENS1_27scan_by_key_config_selectorIiiEEZZNS1_16scan_by_key_implILNS1_25lookback_scan_determinismE0ELb0ES3_N6thrust23THRUST_200600_302600_NS16reverse_iteratorIPKiEESD_NSA_IPiEEiN6hipcub16HIPCUB_304000_NS3MaxENSH_8EqualityEiEE10hipError_tPvRmT2_T3_T4_T5_mT6_T7_P12ihipStream_tbENKUlT_T0_E_clISt17integral_constantIbLb1EESZ_IbLb0EEEEDaSV_SW_EUlSV_E_NS1_11comp_targetILNS1_3genE9ELNS1_11target_archE1100ELNS1_3gpuE3ELNS1_3repE0EEENS1_30default_config_static_selectorELNS0_4arch9wavefront6targetE0EEEvT1_,comdat
	.protected	_ZN7rocprim17ROCPRIM_400000_NS6detail17trampoline_kernelINS0_14default_configENS1_27scan_by_key_config_selectorIiiEEZZNS1_16scan_by_key_implILNS1_25lookback_scan_determinismE0ELb0ES3_N6thrust23THRUST_200600_302600_NS16reverse_iteratorIPKiEESD_NSA_IPiEEiN6hipcub16HIPCUB_304000_NS3MaxENSH_8EqualityEiEE10hipError_tPvRmT2_T3_T4_T5_mT6_T7_P12ihipStream_tbENKUlT_T0_E_clISt17integral_constantIbLb1EESZ_IbLb0EEEEDaSV_SW_EUlSV_E_NS1_11comp_targetILNS1_3genE9ELNS1_11target_archE1100ELNS1_3gpuE3ELNS1_3repE0EEENS1_30default_config_static_selectorELNS0_4arch9wavefront6targetE0EEEvT1_ ; -- Begin function _ZN7rocprim17ROCPRIM_400000_NS6detail17trampoline_kernelINS0_14default_configENS1_27scan_by_key_config_selectorIiiEEZZNS1_16scan_by_key_implILNS1_25lookback_scan_determinismE0ELb0ES3_N6thrust23THRUST_200600_302600_NS16reverse_iteratorIPKiEESD_NSA_IPiEEiN6hipcub16HIPCUB_304000_NS3MaxENSH_8EqualityEiEE10hipError_tPvRmT2_T3_T4_T5_mT6_T7_P12ihipStream_tbENKUlT_T0_E_clISt17integral_constantIbLb1EESZ_IbLb0EEEEDaSV_SW_EUlSV_E_NS1_11comp_targetILNS1_3genE9ELNS1_11target_archE1100ELNS1_3gpuE3ELNS1_3repE0EEENS1_30default_config_static_selectorELNS0_4arch9wavefront6targetE0EEEvT1_
	.globl	_ZN7rocprim17ROCPRIM_400000_NS6detail17trampoline_kernelINS0_14default_configENS1_27scan_by_key_config_selectorIiiEEZZNS1_16scan_by_key_implILNS1_25lookback_scan_determinismE0ELb0ES3_N6thrust23THRUST_200600_302600_NS16reverse_iteratorIPKiEESD_NSA_IPiEEiN6hipcub16HIPCUB_304000_NS3MaxENSH_8EqualityEiEE10hipError_tPvRmT2_T3_T4_T5_mT6_T7_P12ihipStream_tbENKUlT_T0_E_clISt17integral_constantIbLb1EESZ_IbLb0EEEEDaSV_SW_EUlSV_E_NS1_11comp_targetILNS1_3genE9ELNS1_11target_archE1100ELNS1_3gpuE3ELNS1_3repE0EEENS1_30default_config_static_selectorELNS0_4arch9wavefront6targetE0EEEvT1_
	.p2align	8
	.type	_ZN7rocprim17ROCPRIM_400000_NS6detail17trampoline_kernelINS0_14default_configENS1_27scan_by_key_config_selectorIiiEEZZNS1_16scan_by_key_implILNS1_25lookback_scan_determinismE0ELb0ES3_N6thrust23THRUST_200600_302600_NS16reverse_iteratorIPKiEESD_NSA_IPiEEiN6hipcub16HIPCUB_304000_NS3MaxENSH_8EqualityEiEE10hipError_tPvRmT2_T3_T4_T5_mT6_T7_P12ihipStream_tbENKUlT_T0_E_clISt17integral_constantIbLb1EESZ_IbLb0EEEEDaSV_SW_EUlSV_E_NS1_11comp_targetILNS1_3genE9ELNS1_11target_archE1100ELNS1_3gpuE3ELNS1_3repE0EEENS1_30default_config_static_selectorELNS0_4arch9wavefront6targetE0EEEvT1_,@function
_ZN7rocprim17ROCPRIM_400000_NS6detail17trampoline_kernelINS0_14default_configENS1_27scan_by_key_config_selectorIiiEEZZNS1_16scan_by_key_implILNS1_25lookback_scan_determinismE0ELb0ES3_N6thrust23THRUST_200600_302600_NS16reverse_iteratorIPKiEESD_NSA_IPiEEiN6hipcub16HIPCUB_304000_NS3MaxENSH_8EqualityEiEE10hipError_tPvRmT2_T3_T4_T5_mT6_T7_P12ihipStream_tbENKUlT_T0_E_clISt17integral_constantIbLb1EESZ_IbLb0EEEEDaSV_SW_EUlSV_E_NS1_11comp_targetILNS1_3genE9ELNS1_11target_archE1100ELNS1_3gpuE3ELNS1_3repE0EEENS1_30default_config_static_selectorELNS0_4arch9wavefront6targetE0EEEvT1_: ; @_ZN7rocprim17ROCPRIM_400000_NS6detail17trampoline_kernelINS0_14default_configENS1_27scan_by_key_config_selectorIiiEEZZNS1_16scan_by_key_implILNS1_25lookback_scan_determinismE0ELb0ES3_N6thrust23THRUST_200600_302600_NS16reverse_iteratorIPKiEESD_NSA_IPiEEiN6hipcub16HIPCUB_304000_NS3MaxENSH_8EqualityEiEE10hipError_tPvRmT2_T3_T4_T5_mT6_T7_P12ihipStream_tbENKUlT_T0_E_clISt17integral_constantIbLb1EESZ_IbLb0EEEEDaSV_SW_EUlSV_E_NS1_11comp_targetILNS1_3genE9ELNS1_11target_archE1100ELNS1_3gpuE3ELNS1_3repE0EEENS1_30default_config_static_selectorELNS0_4arch9wavefront6targetE0EEEvT1_
; %bb.0:
	.section	.rodata,"a",@progbits
	.p2align	6, 0x0
	.amdhsa_kernel _ZN7rocprim17ROCPRIM_400000_NS6detail17trampoline_kernelINS0_14default_configENS1_27scan_by_key_config_selectorIiiEEZZNS1_16scan_by_key_implILNS1_25lookback_scan_determinismE0ELb0ES3_N6thrust23THRUST_200600_302600_NS16reverse_iteratorIPKiEESD_NSA_IPiEEiN6hipcub16HIPCUB_304000_NS3MaxENSH_8EqualityEiEE10hipError_tPvRmT2_T3_T4_T5_mT6_T7_P12ihipStream_tbENKUlT_T0_E_clISt17integral_constantIbLb1EESZ_IbLb0EEEEDaSV_SW_EUlSV_E_NS1_11comp_targetILNS1_3genE9ELNS1_11target_archE1100ELNS1_3gpuE3ELNS1_3repE0EEENS1_30default_config_static_selectorELNS0_4arch9wavefront6targetE0EEEvT1_
		.amdhsa_group_segment_fixed_size 0
		.amdhsa_private_segment_fixed_size 0
		.amdhsa_kernarg_size 112
		.amdhsa_user_sgpr_count 6
		.amdhsa_user_sgpr_private_segment_buffer 1
		.amdhsa_user_sgpr_dispatch_ptr 0
		.amdhsa_user_sgpr_queue_ptr 0
		.amdhsa_user_sgpr_kernarg_segment_ptr 1
		.amdhsa_user_sgpr_dispatch_id 0
		.amdhsa_user_sgpr_flat_scratch_init 0
		.amdhsa_user_sgpr_private_segment_size 0
		.amdhsa_wavefront_size32 1
		.amdhsa_uses_dynamic_stack 0
		.amdhsa_system_sgpr_private_segment_wavefront_offset 0
		.amdhsa_system_sgpr_workgroup_id_x 1
		.amdhsa_system_sgpr_workgroup_id_y 0
		.amdhsa_system_sgpr_workgroup_id_z 0
		.amdhsa_system_sgpr_workgroup_info 0
		.amdhsa_system_vgpr_workitem_id 0
		.amdhsa_next_free_vgpr 1
		.amdhsa_next_free_sgpr 1
		.amdhsa_reserve_vcc 0
		.amdhsa_reserve_flat_scratch 0
		.amdhsa_float_round_mode_32 0
		.amdhsa_float_round_mode_16_64 0
		.amdhsa_float_denorm_mode_32 3
		.amdhsa_float_denorm_mode_16_64 3
		.amdhsa_dx10_clamp 1
		.amdhsa_ieee_mode 1
		.amdhsa_fp16_overflow 0
		.amdhsa_workgroup_processor_mode 1
		.amdhsa_memory_ordered 1
		.amdhsa_forward_progress 1
		.amdhsa_shared_vgpr_count 0
		.amdhsa_exception_fp_ieee_invalid_op 0
		.amdhsa_exception_fp_denorm_src 0
		.amdhsa_exception_fp_ieee_div_zero 0
		.amdhsa_exception_fp_ieee_overflow 0
		.amdhsa_exception_fp_ieee_underflow 0
		.amdhsa_exception_fp_ieee_inexact 0
		.amdhsa_exception_int_div_zero 0
	.end_amdhsa_kernel
	.section	.text._ZN7rocprim17ROCPRIM_400000_NS6detail17trampoline_kernelINS0_14default_configENS1_27scan_by_key_config_selectorIiiEEZZNS1_16scan_by_key_implILNS1_25lookback_scan_determinismE0ELb0ES3_N6thrust23THRUST_200600_302600_NS16reverse_iteratorIPKiEESD_NSA_IPiEEiN6hipcub16HIPCUB_304000_NS3MaxENSH_8EqualityEiEE10hipError_tPvRmT2_T3_T4_T5_mT6_T7_P12ihipStream_tbENKUlT_T0_E_clISt17integral_constantIbLb1EESZ_IbLb0EEEEDaSV_SW_EUlSV_E_NS1_11comp_targetILNS1_3genE9ELNS1_11target_archE1100ELNS1_3gpuE3ELNS1_3repE0EEENS1_30default_config_static_selectorELNS0_4arch9wavefront6targetE0EEEvT1_,"axG",@progbits,_ZN7rocprim17ROCPRIM_400000_NS6detail17trampoline_kernelINS0_14default_configENS1_27scan_by_key_config_selectorIiiEEZZNS1_16scan_by_key_implILNS1_25lookback_scan_determinismE0ELb0ES3_N6thrust23THRUST_200600_302600_NS16reverse_iteratorIPKiEESD_NSA_IPiEEiN6hipcub16HIPCUB_304000_NS3MaxENSH_8EqualityEiEE10hipError_tPvRmT2_T3_T4_T5_mT6_T7_P12ihipStream_tbENKUlT_T0_E_clISt17integral_constantIbLb1EESZ_IbLb0EEEEDaSV_SW_EUlSV_E_NS1_11comp_targetILNS1_3genE9ELNS1_11target_archE1100ELNS1_3gpuE3ELNS1_3repE0EEENS1_30default_config_static_selectorELNS0_4arch9wavefront6targetE0EEEvT1_,comdat
.Lfunc_end80:
	.size	_ZN7rocprim17ROCPRIM_400000_NS6detail17trampoline_kernelINS0_14default_configENS1_27scan_by_key_config_selectorIiiEEZZNS1_16scan_by_key_implILNS1_25lookback_scan_determinismE0ELb0ES3_N6thrust23THRUST_200600_302600_NS16reverse_iteratorIPKiEESD_NSA_IPiEEiN6hipcub16HIPCUB_304000_NS3MaxENSH_8EqualityEiEE10hipError_tPvRmT2_T3_T4_T5_mT6_T7_P12ihipStream_tbENKUlT_T0_E_clISt17integral_constantIbLb1EESZ_IbLb0EEEEDaSV_SW_EUlSV_E_NS1_11comp_targetILNS1_3genE9ELNS1_11target_archE1100ELNS1_3gpuE3ELNS1_3repE0EEENS1_30default_config_static_selectorELNS0_4arch9wavefront6targetE0EEEvT1_, .Lfunc_end80-_ZN7rocprim17ROCPRIM_400000_NS6detail17trampoline_kernelINS0_14default_configENS1_27scan_by_key_config_selectorIiiEEZZNS1_16scan_by_key_implILNS1_25lookback_scan_determinismE0ELb0ES3_N6thrust23THRUST_200600_302600_NS16reverse_iteratorIPKiEESD_NSA_IPiEEiN6hipcub16HIPCUB_304000_NS3MaxENSH_8EqualityEiEE10hipError_tPvRmT2_T3_T4_T5_mT6_T7_P12ihipStream_tbENKUlT_T0_E_clISt17integral_constantIbLb1EESZ_IbLb0EEEEDaSV_SW_EUlSV_E_NS1_11comp_targetILNS1_3genE9ELNS1_11target_archE1100ELNS1_3gpuE3ELNS1_3repE0EEENS1_30default_config_static_selectorELNS0_4arch9wavefront6targetE0EEEvT1_
                                        ; -- End function
	.set _ZN7rocprim17ROCPRIM_400000_NS6detail17trampoline_kernelINS0_14default_configENS1_27scan_by_key_config_selectorIiiEEZZNS1_16scan_by_key_implILNS1_25lookback_scan_determinismE0ELb0ES3_N6thrust23THRUST_200600_302600_NS16reverse_iteratorIPKiEESD_NSA_IPiEEiN6hipcub16HIPCUB_304000_NS3MaxENSH_8EqualityEiEE10hipError_tPvRmT2_T3_T4_T5_mT6_T7_P12ihipStream_tbENKUlT_T0_E_clISt17integral_constantIbLb1EESZ_IbLb0EEEEDaSV_SW_EUlSV_E_NS1_11comp_targetILNS1_3genE9ELNS1_11target_archE1100ELNS1_3gpuE3ELNS1_3repE0EEENS1_30default_config_static_selectorELNS0_4arch9wavefront6targetE0EEEvT1_.num_vgpr, 0
	.set _ZN7rocprim17ROCPRIM_400000_NS6detail17trampoline_kernelINS0_14default_configENS1_27scan_by_key_config_selectorIiiEEZZNS1_16scan_by_key_implILNS1_25lookback_scan_determinismE0ELb0ES3_N6thrust23THRUST_200600_302600_NS16reverse_iteratorIPKiEESD_NSA_IPiEEiN6hipcub16HIPCUB_304000_NS3MaxENSH_8EqualityEiEE10hipError_tPvRmT2_T3_T4_T5_mT6_T7_P12ihipStream_tbENKUlT_T0_E_clISt17integral_constantIbLb1EESZ_IbLb0EEEEDaSV_SW_EUlSV_E_NS1_11comp_targetILNS1_3genE9ELNS1_11target_archE1100ELNS1_3gpuE3ELNS1_3repE0EEENS1_30default_config_static_selectorELNS0_4arch9wavefront6targetE0EEEvT1_.num_agpr, 0
	.set _ZN7rocprim17ROCPRIM_400000_NS6detail17trampoline_kernelINS0_14default_configENS1_27scan_by_key_config_selectorIiiEEZZNS1_16scan_by_key_implILNS1_25lookback_scan_determinismE0ELb0ES3_N6thrust23THRUST_200600_302600_NS16reverse_iteratorIPKiEESD_NSA_IPiEEiN6hipcub16HIPCUB_304000_NS3MaxENSH_8EqualityEiEE10hipError_tPvRmT2_T3_T4_T5_mT6_T7_P12ihipStream_tbENKUlT_T0_E_clISt17integral_constantIbLb1EESZ_IbLb0EEEEDaSV_SW_EUlSV_E_NS1_11comp_targetILNS1_3genE9ELNS1_11target_archE1100ELNS1_3gpuE3ELNS1_3repE0EEENS1_30default_config_static_selectorELNS0_4arch9wavefront6targetE0EEEvT1_.numbered_sgpr, 0
	.set _ZN7rocprim17ROCPRIM_400000_NS6detail17trampoline_kernelINS0_14default_configENS1_27scan_by_key_config_selectorIiiEEZZNS1_16scan_by_key_implILNS1_25lookback_scan_determinismE0ELb0ES3_N6thrust23THRUST_200600_302600_NS16reverse_iteratorIPKiEESD_NSA_IPiEEiN6hipcub16HIPCUB_304000_NS3MaxENSH_8EqualityEiEE10hipError_tPvRmT2_T3_T4_T5_mT6_T7_P12ihipStream_tbENKUlT_T0_E_clISt17integral_constantIbLb1EESZ_IbLb0EEEEDaSV_SW_EUlSV_E_NS1_11comp_targetILNS1_3genE9ELNS1_11target_archE1100ELNS1_3gpuE3ELNS1_3repE0EEENS1_30default_config_static_selectorELNS0_4arch9wavefront6targetE0EEEvT1_.num_named_barrier, 0
	.set _ZN7rocprim17ROCPRIM_400000_NS6detail17trampoline_kernelINS0_14default_configENS1_27scan_by_key_config_selectorIiiEEZZNS1_16scan_by_key_implILNS1_25lookback_scan_determinismE0ELb0ES3_N6thrust23THRUST_200600_302600_NS16reverse_iteratorIPKiEESD_NSA_IPiEEiN6hipcub16HIPCUB_304000_NS3MaxENSH_8EqualityEiEE10hipError_tPvRmT2_T3_T4_T5_mT6_T7_P12ihipStream_tbENKUlT_T0_E_clISt17integral_constantIbLb1EESZ_IbLb0EEEEDaSV_SW_EUlSV_E_NS1_11comp_targetILNS1_3genE9ELNS1_11target_archE1100ELNS1_3gpuE3ELNS1_3repE0EEENS1_30default_config_static_selectorELNS0_4arch9wavefront6targetE0EEEvT1_.private_seg_size, 0
	.set _ZN7rocprim17ROCPRIM_400000_NS6detail17trampoline_kernelINS0_14default_configENS1_27scan_by_key_config_selectorIiiEEZZNS1_16scan_by_key_implILNS1_25lookback_scan_determinismE0ELb0ES3_N6thrust23THRUST_200600_302600_NS16reverse_iteratorIPKiEESD_NSA_IPiEEiN6hipcub16HIPCUB_304000_NS3MaxENSH_8EqualityEiEE10hipError_tPvRmT2_T3_T4_T5_mT6_T7_P12ihipStream_tbENKUlT_T0_E_clISt17integral_constantIbLb1EESZ_IbLb0EEEEDaSV_SW_EUlSV_E_NS1_11comp_targetILNS1_3genE9ELNS1_11target_archE1100ELNS1_3gpuE3ELNS1_3repE0EEENS1_30default_config_static_selectorELNS0_4arch9wavefront6targetE0EEEvT1_.uses_vcc, 0
	.set _ZN7rocprim17ROCPRIM_400000_NS6detail17trampoline_kernelINS0_14default_configENS1_27scan_by_key_config_selectorIiiEEZZNS1_16scan_by_key_implILNS1_25lookback_scan_determinismE0ELb0ES3_N6thrust23THRUST_200600_302600_NS16reverse_iteratorIPKiEESD_NSA_IPiEEiN6hipcub16HIPCUB_304000_NS3MaxENSH_8EqualityEiEE10hipError_tPvRmT2_T3_T4_T5_mT6_T7_P12ihipStream_tbENKUlT_T0_E_clISt17integral_constantIbLb1EESZ_IbLb0EEEEDaSV_SW_EUlSV_E_NS1_11comp_targetILNS1_3genE9ELNS1_11target_archE1100ELNS1_3gpuE3ELNS1_3repE0EEENS1_30default_config_static_selectorELNS0_4arch9wavefront6targetE0EEEvT1_.uses_flat_scratch, 0
	.set _ZN7rocprim17ROCPRIM_400000_NS6detail17trampoline_kernelINS0_14default_configENS1_27scan_by_key_config_selectorIiiEEZZNS1_16scan_by_key_implILNS1_25lookback_scan_determinismE0ELb0ES3_N6thrust23THRUST_200600_302600_NS16reverse_iteratorIPKiEESD_NSA_IPiEEiN6hipcub16HIPCUB_304000_NS3MaxENSH_8EqualityEiEE10hipError_tPvRmT2_T3_T4_T5_mT6_T7_P12ihipStream_tbENKUlT_T0_E_clISt17integral_constantIbLb1EESZ_IbLb0EEEEDaSV_SW_EUlSV_E_NS1_11comp_targetILNS1_3genE9ELNS1_11target_archE1100ELNS1_3gpuE3ELNS1_3repE0EEENS1_30default_config_static_selectorELNS0_4arch9wavefront6targetE0EEEvT1_.has_dyn_sized_stack, 0
	.set _ZN7rocprim17ROCPRIM_400000_NS6detail17trampoline_kernelINS0_14default_configENS1_27scan_by_key_config_selectorIiiEEZZNS1_16scan_by_key_implILNS1_25lookback_scan_determinismE0ELb0ES3_N6thrust23THRUST_200600_302600_NS16reverse_iteratorIPKiEESD_NSA_IPiEEiN6hipcub16HIPCUB_304000_NS3MaxENSH_8EqualityEiEE10hipError_tPvRmT2_T3_T4_T5_mT6_T7_P12ihipStream_tbENKUlT_T0_E_clISt17integral_constantIbLb1EESZ_IbLb0EEEEDaSV_SW_EUlSV_E_NS1_11comp_targetILNS1_3genE9ELNS1_11target_archE1100ELNS1_3gpuE3ELNS1_3repE0EEENS1_30default_config_static_selectorELNS0_4arch9wavefront6targetE0EEEvT1_.has_recursion, 0
	.set _ZN7rocprim17ROCPRIM_400000_NS6detail17trampoline_kernelINS0_14default_configENS1_27scan_by_key_config_selectorIiiEEZZNS1_16scan_by_key_implILNS1_25lookback_scan_determinismE0ELb0ES3_N6thrust23THRUST_200600_302600_NS16reverse_iteratorIPKiEESD_NSA_IPiEEiN6hipcub16HIPCUB_304000_NS3MaxENSH_8EqualityEiEE10hipError_tPvRmT2_T3_T4_T5_mT6_T7_P12ihipStream_tbENKUlT_T0_E_clISt17integral_constantIbLb1EESZ_IbLb0EEEEDaSV_SW_EUlSV_E_NS1_11comp_targetILNS1_3genE9ELNS1_11target_archE1100ELNS1_3gpuE3ELNS1_3repE0EEENS1_30default_config_static_selectorELNS0_4arch9wavefront6targetE0EEEvT1_.has_indirect_call, 0
	.section	.AMDGPU.csdata,"",@progbits
; Kernel info:
; codeLenInByte = 0
; TotalNumSgprs: 0
; NumVgprs: 0
; ScratchSize: 0
; MemoryBound: 0
; FloatMode: 240
; IeeeMode: 1
; LDSByteSize: 0 bytes/workgroup (compile time only)
; SGPRBlocks: 0
; VGPRBlocks: 0
; NumSGPRsForWavesPerEU: 1
; NumVGPRsForWavesPerEU: 1
; Occupancy: 16
; WaveLimiterHint : 0
; COMPUTE_PGM_RSRC2:SCRATCH_EN: 0
; COMPUTE_PGM_RSRC2:USER_SGPR: 6
; COMPUTE_PGM_RSRC2:TRAP_HANDLER: 0
; COMPUTE_PGM_RSRC2:TGID_X_EN: 1
; COMPUTE_PGM_RSRC2:TGID_Y_EN: 0
; COMPUTE_PGM_RSRC2:TGID_Z_EN: 0
; COMPUTE_PGM_RSRC2:TIDIG_COMP_CNT: 0
	.section	.text._ZN7rocprim17ROCPRIM_400000_NS6detail17trampoline_kernelINS0_14default_configENS1_27scan_by_key_config_selectorIiiEEZZNS1_16scan_by_key_implILNS1_25lookback_scan_determinismE0ELb0ES3_N6thrust23THRUST_200600_302600_NS16reverse_iteratorIPKiEESD_NSA_IPiEEiN6hipcub16HIPCUB_304000_NS3MaxENSH_8EqualityEiEE10hipError_tPvRmT2_T3_T4_T5_mT6_T7_P12ihipStream_tbENKUlT_T0_E_clISt17integral_constantIbLb1EESZ_IbLb0EEEEDaSV_SW_EUlSV_E_NS1_11comp_targetILNS1_3genE8ELNS1_11target_archE1030ELNS1_3gpuE2ELNS1_3repE0EEENS1_30default_config_static_selectorELNS0_4arch9wavefront6targetE0EEEvT1_,"axG",@progbits,_ZN7rocprim17ROCPRIM_400000_NS6detail17trampoline_kernelINS0_14default_configENS1_27scan_by_key_config_selectorIiiEEZZNS1_16scan_by_key_implILNS1_25lookback_scan_determinismE0ELb0ES3_N6thrust23THRUST_200600_302600_NS16reverse_iteratorIPKiEESD_NSA_IPiEEiN6hipcub16HIPCUB_304000_NS3MaxENSH_8EqualityEiEE10hipError_tPvRmT2_T3_T4_T5_mT6_T7_P12ihipStream_tbENKUlT_T0_E_clISt17integral_constantIbLb1EESZ_IbLb0EEEEDaSV_SW_EUlSV_E_NS1_11comp_targetILNS1_3genE8ELNS1_11target_archE1030ELNS1_3gpuE2ELNS1_3repE0EEENS1_30default_config_static_selectorELNS0_4arch9wavefront6targetE0EEEvT1_,comdat
	.protected	_ZN7rocprim17ROCPRIM_400000_NS6detail17trampoline_kernelINS0_14default_configENS1_27scan_by_key_config_selectorIiiEEZZNS1_16scan_by_key_implILNS1_25lookback_scan_determinismE0ELb0ES3_N6thrust23THRUST_200600_302600_NS16reverse_iteratorIPKiEESD_NSA_IPiEEiN6hipcub16HIPCUB_304000_NS3MaxENSH_8EqualityEiEE10hipError_tPvRmT2_T3_T4_T5_mT6_T7_P12ihipStream_tbENKUlT_T0_E_clISt17integral_constantIbLb1EESZ_IbLb0EEEEDaSV_SW_EUlSV_E_NS1_11comp_targetILNS1_3genE8ELNS1_11target_archE1030ELNS1_3gpuE2ELNS1_3repE0EEENS1_30default_config_static_selectorELNS0_4arch9wavefront6targetE0EEEvT1_ ; -- Begin function _ZN7rocprim17ROCPRIM_400000_NS6detail17trampoline_kernelINS0_14default_configENS1_27scan_by_key_config_selectorIiiEEZZNS1_16scan_by_key_implILNS1_25lookback_scan_determinismE0ELb0ES3_N6thrust23THRUST_200600_302600_NS16reverse_iteratorIPKiEESD_NSA_IPiEEiN6hipcub16HIPCUB_304000_NS3MaxENSH_8EqualityEiEE10hipError_tPvRmT2_T3_T4_T5_mT6_T7_P12ihipStream_tbENKUlT_T0_E_clISt17integral_constantIbLb1EESZ_IbLb0EEEEDaSV_SW_EUlSV_E_NS1_11comp_targetILNS1_3genE8ELNS1_11target_archE1030ELNS1_3gpuE2ELNS1_3repE0EEENS1_30default_config_static_selectorELNS0_4arch9wavefront6targetE0EEEvT1_
	.globl	_ZN7rocprim17ROCPRIM_400000_NS6detail17trampoline_kernelINS0_14default_configENS1_27scan_by_key_config_selectorIiiEEZZNS1_16scan_by_key_implILNS1_25lookback_scan_determinismE0ELb0ES3_N6thrust23THRUST_200600_302600_NS16reverse_iteratorIPKiEESD_NSA_IPiEEiN6hipcub16HIPCUB_304000_NS3MaxENSH_8EqualityEiEE10hipError_tPvRmT2_T3_T4_T5_mT6_T7_P12ihipStream_tbENKUlT_T0_E_clISt17integral_constantIbLb1EESZ_IbLb0EEEEDaSV_SW_EUlSV_E_NS1_11comp_targetILNS1_3genE8ELNS1_11target_archE1030ELNS1_3gpuE2ELNS1_3repE0EEENS1_30default_config_static_selectorELNS0_4arch9wavefront6targetE0EEEvT1_
	.p2align	8
	.type	_ZN7rocprim17ROCPRIM_400000_NS6detail17trampoline_kernelINS0_14default_configENS1_27scan_by_key_config_selectorIiiEEZZNS1_16scan_by_key_implILNS1_25lookback_scan_determinismE0ELb0ES3_N6thrust23THRUST_200600_302600_NS16reverse_iteratorIPKiEESD_NSA_IPiEEiN6hipcub16HIPCUB_304000_NS3MaxENSH_8EqualityEiEE10hipError_tPvRmT2_T3_T4_T5_mT6_T7_P12ihipStream_tbENKUlT_T0_E_clISt17integral_constantIbLb1EESZ_IbLb0EEEEDaSV_SW_EUlSV_E_NS1_11comp_targetILNS1_3genE8ELNS1_11target_archE1030ELNS1_3gpuE2ELNS1_3repE0EEENS1_30default_config_static_selectorELNS0_4arch9wavefront6targetE0EEEvT1_,@function
_ZN7rocprim17ROCPRIM_400000_NS6detail17trampoline_kernelINS0_14default_configENS1_27scan_by_key_config_selectorIiiEEZZNS1_16scan_by_key_implILNS1_25lookback_scan_determinismE0ELb0ES3_N6thrust23THRUST_200600_302600_NS16reverse_iteratorIPKiEESD_NSA_IPiEEiN6hipcub16HIPCUB_304000_NS3MaxENSH_8EqualityEiEE10hipError_tPvRmT2_T3_T4_T5_mT6_T7_P12ihipStream_tbENKUlT_T0_E_clISt17integral_constantIbLb1EESZ_IbLb0EEEEDaSV_SW_EUlSV_E_NS1_11comp_targetILNS1_3genE8ELNS1_11target_archE1030ELNS1_3gpuE2ELNS1_3repE0EEENS1_30default_config_static_selectorELNS0_4arch9wavefront6targetE0EEEvT1_: ; @_ZN7rocprim17ROCPRIM_400000_NS6detail17trampoline_kernelINS0_14default_configENS1_27scan_by_key_config_selectorIiiEEZZNS1_16scan_by_key_implILNS1_25lookback_scan_determinismE0ELb0ES3_N6thrust23THRUST_200600_302600_NS16reverse_iteratorIPKiEESD_NSA_IPiEEiN6hipcub16HIPCUB_304000_NS3MaxENSH_8EqualityEiEE10hipError_tPvRmT2_T3_T4_T5_mT6_T7_P12ihipStream_tbENKUlT_T0_E_clISt17integral_constantIbLb1EESZ_IbLb0EEEEDaSV_SW_EUlSV_E_NS1_11comp_targetILNS1_3genE8ELNS1_11target_archE1030ELNS1_3gpuE2ELNS1_3repE0EEENS1_30default_config_static_selectorELNS0_4arch9wavefront6targetE0EEEvT1_
; %bb.0:
	s_endpgm
	.section	.rodata,"a",@progbits
	.p2align	6, 0x0
	.amdhsa_kernel _ZN7rocprim17ROCPRIM_400000_NS6detail17trampoline_kernelINS0_14default_configENS1_27scan_by_key_config_selectorIiiEEZZNS1_16scan_by_key_implILNS1_25lookback_scan_determinismE0ELb0ES3_N6thrust23THRUST_200600_302600_NS16reverse_iteratorIPKiEESD_NSA_IPiEEiN6hipcub16HIPCUB_304000_NS3MaxENSH_8EqualityEiEE10hipError_tPvRmT2_T3_T4_T5_mT6_T7_P12ihipStream_tbENKUlT_T0_E_clISt17integral_constantIbLb1EESZ_IbLb0EEEEDaSV_SW_EUlSV_E_NS1_11comp_targetILNS1_3genE8ELNS1_11target_archE1030ELNS1_3gpuE2ELNS1_3repE0EEENS1_30default_config_static_selectorELNS0_4arch9wavefront6targetE0EEEvT1_
		.amdhsa_group_segment_fixed_size 0
		.amdhsa_private_segment_fixed_size 0
		.amdhsa_kernarg_size 112
		.amdhsa_user_sgpr_count 6
		.amdhsa_user_sgpr_private_segment_buffer 1
		.amdhsa_user_sgpr_dispatch_ptr 0
		.amdhsa_user_sgpr_queue_ptr 0
		.amdhsa_user_sgpr_kernarg_segment_ptr 1
		.amdhsa_user_sgpr_dispatch_id 0
		.amdhsa_user_sgpr_flat_scratch_init 0
		.amdhsa_user_sgpr_private_segment_size 0
		.amdhsa_wavefront_size32 1
		.amdhsa_uses_dynamic_stack 0
		.amdhsa_system_sgpr_private_segment_wavefront_offset 0
		.amdhsa_system_sgpr_workgroup_id_x 1
		.amdhsa_system_sgpr_workgroup_id_y 0
		.amdhsa_system_sgpr_workgroup_id_z 0
		.amdhsa_system_sgpr_workgroup_info 0
		.amdhsa_system_vgpr_workitem_id 0
		.amdhsa_next_free_vgpr 1
		.amdhsa_next_free_sgpr 1
		.amdhsa_reserve_vcc 0
		.amdhsa_reserve_flat_scratch 0
		.amdhsa_float_round_mode_32 0
		.amdhsa_float_round_mode_16_64 0
		.amdhsa_float_denorm_mode_32 3
		.amdhsa_float_denorm_mode_16_64 3
		.amdhsa_dx10_clamp 1
		.amdhsa_ieee_mode 1
		.amdhsa_fp16_overflow 0
		.amdhsa_workgroup_processor_mode 1
		.amdhsa_memory_ordered 1
		.amdhsa_forward_progress 1
		.amdhsa_shared_vgpr_count 0
		.amdhsa_exception_fp_ieee_invalid_op 0
		.amdhsa_exception_fp_denorm_src 0
		.amdhsa_exception_fp_ieee_div_zero 0
		.amdhsa_exception_fp_ieee_overflow 0
		.amdhsa_exception_fp_ieee_underflow 0
		.amdhsa_exception_fp_ieee_inexact 0
		.amdhsa_exception_int_div_zero 0
	.end_amdhsa_kernel
	.section	.text._ZN7rocprim17ROCPRIM_400000_NS6detail17trampoline_kernelINS0_14default_configENS1_27scan_by_key_config_selectorIiiEEZZNS1_16scan_by_key_implILNS1_25lookback_scan_determinismE0ELb0ES3_N6thrust23THRUST_200600_302600_NS16reverse_iteratorIPKiEESD_NSA_IPiEEiN6hipcub16HIPCUB_304000_NS3MaxENSH_8EqualityEiEE10hipError_tPvRmT2_T3_T4_T5_mT6_T7_P12ihipStream_tbENKUlT_T0_E_clISt17integral_constantIbLb1EESZ_IbLb0EEEEDaSV_SW_EUlSV_E_NS1_11comp_targetILNS1_3genE8ELNS1_11target_archE1030ELNS1_3gpuE2ELNS1_3repE0EEENS1_30default_config_static_selectorELNS0_4arch9wavefront6targetE0EEEvT1_,"axG",@progbits,_ZN7rocprim17ROCPRIM_400000_NS6detail17trampoline_kernelINS0_14default_configENS1_27scan_by_key_config_selectorIiiEEZZNS1_16scan_by_key_implILNS1_25lookback_scan_determinismE0ELb0ES3_N6thrust23THRUST_200600_302600_NS16reverse_iteratorIPKiEESD_NSA_IPiEEiN6hipcub16HIPCUB_304000_NS3MaxENSH_8EqualityEiEE10hipError_tPvRmT2_T3_T4_T5_mT6_T7_P12ihipStream_tbENKUlT_T0_E_clISt17integral_constantIbLb1EESZ_IbLb0EEEEDaSV_SW_EUlSV_E_NS1_11comp_targetILNS1_3genE8ELNS1_11target_archE1030ELNS1_3gpuE2ELNS1_3repE0EEENS1_30default_config_static_selectorELNS0_4arch9wavefront6targetE0EEEvT1_,comdat
.Lfunc_end81:
	.size	_ZN7rocprim17ROCPRIM_400000_NS6detail17trampoline_kernelINS0_14default_configENS1_27scan_by_key_config_selectorIiiEEZZNS1_16scan_by_key_implILNS1_25lookback_scan_determinismE0ELb0ES3_N6thrust23THRUST_200600_302600_NS16reverse_iteratorIPKiEESD_NSA_IPiEEiN6hipcub16HIPCUB_304000_NS3MaxENSH_8EqualityEiEE10hipError_tPvRmT2_T3_T4_T5_mT6_T7_P12ihipStream_tbENKUlT_T0_E_clISt17integral_constantIbLb1EESZ_IbLb0EEEEDaSV_SW_EUlSV_E_NS1_11comp_targetILNS1_3genE8ELNS1_11target_archE1030ELNS1_3gpuE2ELNS1_3repE0EEENS1_30default_config_static_selectorELNS0_4arch9wavefront6targetE0EEEvT1_, .Lfunc_end81-_ZN7rocprim17ROCPRIM_400000_NS6detail17trampoline_kernelINS0_14default_configENS1_27scan_by_key_config_selectorIiiEEZZNS1_16scan_by_key_implILNS1_25lookback_scan_determinismE0ELb0ES3_N6thrust23THRUST_200600_302600_NS16reverse_iteratorIPKiEESD_NSA_IPiEEiN6hipcub16HIPCUB_304000_NS3MaxENSH_8EqualityEiEE10hipError_tPvRmT2_T3_T4_T5_mT6_T7_P12ihipStream_tbENKUlT_T0_E_clISt17integral_constantIbLb1EESZ_IbLb0EEEEDaSV_SW_EUlSV_E_NS1_11comp_targetILNS1_3genE8ELNS1_11target_archE1030ELNS1_3gpuE2ELNS1_3repE0EEENS1_30default_config_static_selectorELNS0_4arch9wavefront6targetE0EEEvT1_
                                        ; -- End function
	.set _ZN7rocprim17ROCPRIM_400000_NS6detail17trampoline_kernelINS0_14default_configENS1_27scan_by_key_config_selectorIiiEEZZNS1_16scan_by_key_implILNS1_25lookback_scan_determinismE0ELb0ES3_N6thrust23THRUST_200600_302600_NS16reverse_iteratorIPKiEESD_NSA_IPiEEiN6hipcub16HIPCUB_304000_NS3MaxENSH_8EqualityEiEE10hipError_tPvRmT2_T3_T4_T5_mT6_T7_P12ihipStream_tbENKUlT_T0_E_clISt17integral_constantIbLb1EESZ_IbLb0EEEEDaSV_SW_EUlSV_E_NS1_11comp_targetILNS1_3genE8ELNS1_11target_archE1030ELNS1_3gpuE2ELNS1_3repE0EEENS1_30default_config_static_selectorELNS0_4arch9wavefront6targetE0EEEvT1_.num_vgpr, 0
	.set _ZN7rocprim17ROCPRIM_400000_NS6detail17trampoline_kernelINS0_14default_configENS1_27scan_by_key_config_selectorIiiEEZZNS1_16scan_by_key_implILNS1_25lookback_scan_determinismE0ELb0ES3_N6thrust23THRUST_200600_302600_NS16reverse_iteratorIPKiEESD_NSA_IPiEEiN6hipcub16HIPCUB_304000_NS3MaxENSH_8EqualityEiEE10hipError_tPvRmT2_T3_T4_T5_mT6_T7_P12ihipStream_tbENKUlT_T0_E_clISt17integral_constantIbLb1EESZ_IbLb0EEEEDaSV_SW_EUlSV_E_NS1_11comp_targetILNS1_3genE8ELNS1_11target_archE1030ELNS1_3gpuE2ELNS1_3repE0EEENS1_30default_config_static_selectorELNS0_4arch9wavefront6targetE0EEEvT1_.num_agpr, 0
	.set _ZN7rocprim17ROCPRIM_400000_NS6detail17trampoline_kernelINS0_14default_configENS1_27scan_by_key_config_selectorIiiEEZZNS1_16scan_by_key_implILNS1_25lookback_scan_determinismE0ELb0ES3_N6thrust23THRUST_200600_302600_NS16reverse_iteratorIPKiEESD_NSA_IPiEEiN6hipcub16HIPCUB_304000_NS3MaxENSH_8EqualityEiEE10hipError_tPvRmT2_T3_T4_T5_mT6_T7_P12ihipStream_tbENKUlT_T0_E_clISt17integral_constantIbLb1EESZ_IbLb0EEEEDaSV_SW_EUlSV_E_NS1_11comp_targetILNS1_3genE8ELNS1_11target_archE1030ELNS1_3gpuE2ELNS1_3repE0EEENS1_30default_config_static_selectorELNS0_4arch9wavefront6targetE0EEEvT1_.numbered_sgpr, 0
	.set _ZN7rocprim17ROCPRIM_400000_NS6detail17trampoline_kernelINS0_14default_configENS1_27scan_by_key_config_selectorIiiEEZZNS1_16scan_by_key_implILNS1_25lookback_scan_determinismE0ELb0ES3_N6thrust23THRUST_200600_302600_NS16reverse_iteratorIPKiEESD_NSA_IPiEEiN6hipcub16HIPCUB_304000_NS3MaxENSH_8EqualityEiEE10hipError_tPvRmT2_T3_T4_T5_mT6_T7_P12ihipStream_tbENKUlT_T0_E_clISt17integral_constantIbLb1EESZ_IbLb0EEEEDaSV_SW_EUlSV_E_NS1_11comp_targetILNS1_3genE8ELNS1_11target_archE1030ELNS1_3gpuE2ELNS1_3repE0EEENS1_30default_config_static_selectorELNS0_4arch9wavefront6targetE0EEEvT1_.num_named_barrier, 0
	.set _ZN7rocprim17ROCPRIM_400000_NS6detail17trampoline_kernelINS0_14default_configENS1_27scan_by_key_config_selectorIiiEEZZNS1_16scan_by_key_implILNS1_25lookback_scan_determinismE0ELb0ES3_N6thrust23THRUST_200600_302600_NS16reverse_iteratorIPKiEESD_NSA_IPiEEiN6hipcub16HIPCUB_304000_NS3MaxENSH_8EqualityEiEE10hipError_tPvRmT2_T3_T4_T5_mT6_T7_P12ihipStream_tbENKUlT_T0_E_clISt17integral_constantIbLb1EESZ_IbLb0EEEEDaSV_SW_EUlSV_E_NS1_11comp_targetILNS1_3genE8ELNS1_11target_archE1030ELNS1_3gpuE2ELNS1_3repE0EEENS1_30default_config_static_selectorELNS0_4arch9wavefront6targetE0EEEvT1_.private_seg_size, 0
	.set _ZN7rocprim17ROCPRIM_400000_NS6detail17trampoline_kernelINS0_14default_configENS1_27scan_by_key_config_selectorIiiEEZZNS1_16scan_by_key_implILNS1_25lookback_scan_determinismE0ELb0ES3_N6thrust23THRUST_200600_302600_NS16reverse_iteratorIPKiEESD_NSA_IPiEEiN6hipcub16HIPCUB_304000_NS3MaxENSH_8EqualityEiEE10hipError_tPvRmT2_T3_T4_T5_mT6_T7_P12ihipStream_tbENKUlT_T0_E_clISt17integral_constantIbLb1EESZ_IbLb0EEEEDaSV_SW_EUlSV_E_NS1_11comp_targetILNS1_3genE8ELNS1_11target_archE1030ELNS1_3gpuE2ELNS1_3repE0EEENS1_30default_config_static_selectorELNS0_4arch9wavefront6targetE0EEEvT1_.uses_vcc, 0
	.set _ZN7rocprim17ROCPRIM_400000_NS6detail17trampoline_kernelINS0_14default_configENS1_27scan_by_key_config_selectorIiiEEZZNS1_16scan_by_key_implILNS1_25lookback_scan_determinismE0ELb0ES3_N6thrust23THRUST_200600_302600_NS16reverse_iteratorIPKiEESD_NSA_IPiEEiN6hipcub16HIPCUB_304000_NS3MaxENSH_8EqualityEiEE10hipError_tPvRmT2_T3_T4_T5_mT6_T7_P12ihipStream_tbENKUlT_T0_E_clISt17integral_constantIbLb1EESZ_IbLb0EEEEDaSV_SW_EUlSV_E_NS1_11comp_targetILNS1_3genE8ELNS1_11target_archE1030ELNS1_3gpuE2ELNS1_3repE0EEENS1_30default_config_static_selectorELNS0_4arch9wavefront6targetE0EEEvT1_.uses_flat_scratch, 0
	.set _ZN7rocprim17ROCPRIM_400000_NS6detail17trampoline_kernelINS0_14default_configENS1_27scan_by_key_config_selectorIiiEEZZNS1_16scan_by_key_implILNS1_25lookback_scan_determinismE0ELb0ES3_N6thrust23THRUST_200600_302600_NS16reverse_iteratorIPKiEESD_NSA_IPiEEiN6hipcub16HIPCUB_304000_NS3MaxENSH_8EqualityEiEE10hipError_tPvRmT2_T3_T4_T5_mT6_T7_P12ihipStream_tbENKUlT_T0_E_clISt17integral_constantIbLb1EESZ_IbLb0EEEEDaSV_SW_EUlSV_E_NS1_11comp_targetILNS1_3genE8ELNS1_11target_archE1030ELNS1_3gpuE2ELNS1_3repE0EEENS1_30default_config_static_selectorELNS0_4arch9wavefront6targetE0EEEvT1_.has_dyn_sized_stack, 0
	.set _ZN7rocprim17ROCPRIM_400000_NS6detail17trampoline_kernelINS0_14default_configENS1_27scan_by_key_config_selectorIiiEEZZNS1_16scan_by_key_implILNS1_25lookback_scan_determinismE0ELb0ES3_N6thrust23THRUST_200600_302600_NS16reverse_iteratorIPKiEESD_NSA_IPiEEiN6hipcub16HIPCUB_304000_NS3MaxENSH_8EqualityEiEE10hipError_tPvRmT2_T3_T4_T5_mT6_T7_P12ihipStream_tbENKUlT_T0_E_clISt17integral_constantIbLb1EESZ_IbLb0EEEEDaSV_SW_EUlSV_E_NS1_11comp_targetILNS1_3genE8ELNS1_11target_archE1030ELNS1_3gpuE2ELNS1_3repE0EEENS1_30default_config_static_selectorELNS0_4arch9wavefront6targetE0EEEvT1_.has_recursion, 0
	.set _ZN7rocprim17ROCPRIM_400000_NS6detail17trampoline_kernelINS0_14default_configENS1_27scan_by_key_config_selectorIiiEEZZNS1_16scan_by_key_implILNS1_25lookback_scan_determinismE0ELb0ES3_N6thrust23THRUST_200600_302600_NS16reverse_iteratorIPKiEESD_NSA_IPiEEiN6hipcub16HIPCUB_304000_NS3MaxENSH_8EqualityEiEE10hipError_tPvRmT2_T3_T4_T5_mT6_T7_P12ihipStream_tbENKUlT_T0_E_clISt17integral_constantIbLb1EESZ_IbLb0EEEEDaSV_SW_EUlSV_E_NS1_11comp_targetILNS1_3genE8ELNS1_11target_archE1030ELNS1_3gpuE2ELNS1_3repE0EEENS1_30default_config_static_selectorELNS0_4arch9wavefront6targetE0EEEvT1_.has_indirect_call, 0
	.section	.AMDGPU.csdata,"",@progbits
; Kernel info:
; codeLenInByte = 4
; TotalNumSgprs: 0
; NumVgprs: 0
; ScratchSize: 0
; MemoryBound: 0
; FloatMode: 240
; IeeeMode: 1
; LDSByteSize: 0 bytes/workgroup (compile time only)
; SGPRBlocks: 0
; VGPRBlocks: 0
; NumSGPRsForWavesPerEU: 1
; NumVGPRsForWavesPerEU: 1
; Occupancy: 16
; WaveLimiterHint : 0
; COMPUTE_PGM_RSRC2:SCRATCH_EN: 0
; COMPUTE_PGM_RSRC2:USER_SGPR: 6
; COMPUTE_PGM_RSRC2:TRAP_HANDLER: 0
; COMPUTE_PGM_RSRC2:TGID_X_EN: 1
; COMPUTE_PGM_RSRC2:TGID_Y_EN: 0
; COMPUTE_PGM_RSRC2:TGID_Z_EN: 0
; COMPUTE_PGM_RSRC2:TIDIG_COMP_CNT: 0
	.section	.text._ZN7rocprim17ROCPRIM_400000_NS6detail30init_device_scan_by_key_kernelINS1_19lookback_scan_stateINS0_5tupleIJibEEELb0ELb1EEEN6thrust23THRUST_200600_302600_NS16reverse_iteratorIPKiEEjNS1_16block_id_wrapperIjLb1EEEEEvT_jjPNSF_10value_typeET0_PNSt15iterator_traitsISI_E10value_typeEmT1_T2_,"axG",@progbits,_ZN7rocprim17ROCPRIM_400000_NS6detail30init_device_scan_by_key_kernelINS1_19lookback_scan_stateINS0_5tupleIJibEEELb0ELb1EEEN6thrust23THRUST_200600_302600_NS16reverse_iteratorIPKiEEjNS1_16block_id_wrapperIjLb1EEEEEvT_jjPNSF_10value_typeET0_PNSt15iterator_traitsISI_E10value_typeEmT1_T2_,comdat
	.protected	_ZN7rocprim17ROCPRIM_400000_NS6detail30init_device_scan_by_key_kernelINS1_19lookback_scan_stateINS0_5tupleIJibEEELb0ELb1EEEN6thrust23THRUST_200600_302600_NS16reverse_iteratorIPKiEEjNS1_16block_id_wrapperIjLb1EEEEEvT_jjPNSF_10value_typeET0_PNSt15iterator_traitsISI_E10value_typeEmT1_T2_ ; -- Begin function _ZN7rocprim17ROCPRIM_400000_NS6detail30init_device_scan_by_key_kernelINS1_19lookback_scan_stateINS0_5tupleIJibEEELb0ELb1EEEN6thrust23THRUST_200600_302600_NS16reverse_iteratorIPKiEEjNS1_16block_id_wrapperIjLb1EEEEEvT_jjPNSF_10value_typeET0_PNSt15iterator_traitsISI_E10value_typeEmT1_T2_
	.globl	_ZN7rocprim17ROCPRIM_400000_NS6detail30init_device_scan_by_key_kernelINS1_19lookback_scan_stateINS0_5tupleIJibEEELb0ELb1EEEN6thrust23THRUST_200600_302600_NS16reverse_iteratorIPKiEEjNS1_16block_id_wrapperIjLb1EEEEEvT_jjPNSF_10value_typeET0_PNSt15iterator_traitsISI_E10value_typeEmT1_T2_
	.p2align	8
	.type	_ZN7rocprim17ROCPRIM_400000_NS6detail30init_device_scan_by_key_kernelINS1_19lookback_scan_stateINS0_5tupleIJibEEELb0ELb1EEEN6thrust23THRUST_200600_302600_NS16reverse_iteratorIPKiEEjNS1_16block_id_wrapperIjLb1EEEEEvT_jjPNSF_10value_typeET0_PNSt15iterator_traitsISI_E10value_typeEmT1_T2_,@function
_ZN7rocprim17ROCPRIM_400000_NS6detail30init_device_scan_by_key_kernelINS1_19lookback_scan_stateINS0_5tupleIJibEEELb0ELb1EEEN6thrust23THRUST_200600_302600_NS16reverse_iteratorIPKiEEjNS1_16block_id_wrapperIjLb1EEEEEvT_jjPNSF_10value_typeET0_PNSt15iterator_traitsISI_E10value_typeEmT1_T2_: ; @_ZN7rocprim17ROCPRIM_400000_NS6detail30init_device_scan_by_key_kernelINS1_19lookback_scan_stateINS0_5tupleIJibEEELb0ELb1EEEN6thrust23THRUST_200600_302600_NS16reverse_iteratorIPKiEEjNS1_16block_id_wrapperIjLb1EEEEEvT_jjPNSF_10value_typeET0_PNSt15iterator_traitsISI_E10value_typeEmT1_T2_
; %bb.0:
	s_clause 0x2
	s_load_dword s0, s[4:5], 0x4c
	s_load_dwordx8 s[8:15], s[4:5], 0x0
	s_load_dword s7, s[4:5], 0x40
	s_waitcnt lgkmcnt(0)
	s_and_b32 s16, s0, 0xffff
	s_cmp_eq_u64 s[12:13], 0
	v_mad_u64_u32 v[4:5], null, s6, s16, v[0:1]
	s_cbranch_scc1 .LBB82_8
; %bb.1:
	s_cmp_lt_u32 s11, s10
	s_mov_b32 s1, 0
	s_cselect_b32 s0, s11, 0
	s_mov_b32 s2, exec_lo
	v_cmpx_eq_u32_e64 s0, v4
	s_cbranch_execz .LBB82_7
; %bb.2:
	s_add_i32 s0, s11, 32
	v_mov_b32_e32 v6, 0
	s_lshl_b64 s[0:1], s[0:1], 4
	s_mov_b32 s3, exec_lo
	s_add_u32 s0, s8, s0
	s_addc_u32 s1, s9, s1
	v_mov_b32_e32 v0, s0
	v_mov_b32_e32 v1, s1
	;;#ASMSTART
	global_load_dwordx4 v[0:3], v[0:1] off glc dlc	
s_waitcnt vmcnt(0)
	;;#ASMEND
	v_and_b32_e32 v5, 0xff, v2
	v_cmpx_eq_u64_e32 0, v[5:6]
	s_cbranch_execz .LBB82_6
; %bb.3:
	v_mov_b32_e32 v8, s1
	v_mov_b32_e32 v7, s0
	s_mov_b32 s0, 0
.LBB82_4:                               ; =>This Inner Loop Header: Depth=1
	;;#ASMSTART
	global_load_dwordx4 v[0:3], v[7:8] off glc dlc	
s_waitcnt vmcnt(0)
	;;#ASMEND
	v_and_b32_e32 v5, 0xff, v2
	v_cmp_ne_u64_e32 vcc_lo, 0, v[5:6]
	s_or_b32 s0, vcc_lo, s0
	s_andn2_b32 exec_lo, exec_lo, s0
	s_cbranch_execnz .LBB82_4
; %bb.5:
	s_or_b32 exec_lo, exec_lo, s0
.LBB82_6:
	s_or_b32 exec_lo, exec_lo, s3
	v_mov_b32_e32 v2, 0
	global_store_dword v2, v0, s[12:13]
	global_store_byte v2, v1, s[12:13] offset:4
.LBB82_7:
	s_or_b32 exec_lo, exec_lo, s2
.LBB82_8:
	s_mov_b32 s0, exec_lo
	v_cmpx_eq_u32_e32 0, v4
	s_cbranch_execz .LBB82_10
; %bb.9:
	s_load_dwordx2 s[2:3], s[4:5], 0x38
	v_mov_b32_e32 v0, 0
	s_waitcnt lgkmcnt(0)
	global_store_dword v0, v0, s[2:3]
.LBB82_10:
	s_or_b32 exec_lo, exec_lo, s0
	s_mov_b32 s0, exec_lo
	v_cmpx_gt_u32_e64 s10, v4
	s_cbranch_execz .LBB82_12
; %bb.11:
	v_add_nc_u32_e32 v0, 32, v4
	v_mov_b32_e32 v1, 0
	v_lshlrev_b64 v[5:6], 4, v[0:1]
	v_mov_b32_e32 v0, v1
	v_mov_b32_e32 v2, v1
	v_mov_b32_e32 v3, v1
	v_add_co_u32 v5, vcc_lo, s8, v5
	v_add_co_ci_u32_e64 v6, null, s9, v6, vcc_lo
	global_store_dwordx4 v[5:6], v[0:3], off
.LBB82_12:
	s_or_b32 exec_lo, exec_lo, s0
	v_mov_b32_e32 v5, 0
	s_mov_b32 s0, exec_lo
	v_cmpx_gt_u32_e32 32, v4
	s_cbranch_execz .LBB82_14
; %bb.13:
	v_lshlrev_b64 v[6:7], 4, v[4:5]
	v_mov_b32_e32 v2, 0xff
	v_mov_b32_e32 v0, v5
	v_mov_b32_e32 v1, v5
	v_mov_b32_e32 v3, v5
	v_add_co_u32 v6, vcc_lo, s8, v6
	v_add_co_ci_u32_e64 v7, null, s9, v7, vcc_lo
	global_store_dwordx4 v[6:7], v[0:3], off
.LBB82_14:
	s_or_b32 exec_lo, exec_lo, s0
	s_load_dwordx2 s[2:3], s[4:5], 0x28
	s_mov_b32 s0, exec_lo
	s_waitcnt lgkmcnt(0)
	v_cmpx_gt_u64_e64 s[2:3], v[4:5]
	s_cbranch_execz .LBB82_17
; %bb.15:
	s_clause 0x1
	s_load_dword s6, s[4:5], 0x30
	s_load_dwordx2 s[8:9], s[4:5], 0x20
	s_mov_b32 s1, 0
	v_lshlrev_b64 v[2:3], 2, v[4:5]
	s_mul_i32 s4, s7, s16
	s_mov_b32 s5, s1
	s_waitcnt lgkmcnt(0)
	s_add_i32 s0, s6, -1
	s_mul_hi_u32 s7, s6, s4
	v_mad_u64_u32 v[0:1], null, s6, v4, s[0:1]
	s_mul_i32 s6, s6, s4
	s_lshl_b64 s[6:7], s[6:7], 2
	v_not_b32_e32 v1, v1
	v_not_b32_e32 v0, v0
	v_lshlrev_b64 v[0:1], 2, v[0:1]
	v_add_co_u32 v0, vcc_lo, s14, v0
	v_add_co_ci_u32_e64 v1, null, s15, v1, vcc_lo
	v_add_co_u32 v2, vcc_lo, s8, v2
	v_add_co_ci_u32_e64 v3, null, s9, v3, vcc_lo
	s_sub_u32 s8, 0, s6
	s_subb_u32 s9, 0, s7
	s_lshl_b64 s[6:7], s[4:5], 2
	.p2align	6
.LBB82_16:                              ; =>This Inner Loop Header: Depth=1
	global_load_dword v6, v[0:1], off
	v_add_co_u32 v4, vcc_lo, v4, s4
	v_add_co_ci_u32_e64 v5, null, 0, v5, vcc_lo
	v_add_co_u32 v0, vcc_lo, v0, s8
	v_add_co_ci_u32_e64 v1, null, s9, v1, vcc_lo
	v_cmp_le_u64_e32 vcc_lo, s[2:3], v[4:5]
	s_or_b32 s1, vcc_lo, s1
	s_waitcnt vmcnt(0)
	global_store_dword v[2:3], v6, off
	v_add_co_u32 v2, s0, v2, s6
	v_add_co_ci_u32_e64 v3, null, s7, v3, s0
	s_andn2_b32 exec_lo, exec_lo, s1
	s_cbranch_execnz .LBB82_16
.LBB82_17:
	s_endpgm
	.section	.rodata,"a",@progbits
	.p2align	6, 0x0
	.amdhsa_kernel _ZN7rocprim17ROCPRIM_400000_NS6detail30init_device_scan_by_key_kernelINS1_19lookback_scan_stateINS0_5tupleIJibEEELb0ELb1EEEN6thrust23THRUST_200600_302600_NS16reverse_iteratorIPKiEEjNS1_16block_id_wrapperIjLb1EEEEEvT_jjPNSF_10value_typeET0_PNSt15iterator_traitsISI_E10value_typeEmT1_T2_
		.amdhsa_group_segment_fixed_size 0
		.amdhsa_private_segment_fixed_size 0
		.amdhsa_kernarg_size 320
		.amdhsa_user_sgpr_count 6
		.amdhsa_user_sgpr_private_segment_buffer 1
		.amdhsa_user_sgpr_dispatch_ptr 0
		.amdhsa_user_sgpr_queue_ptr 0
		.amdhsa_user_sgpr_kernarg_segment_ptr 1
		.amdhsa_user_sgpr_dispatch_id 0
		.amdhsa_user_sgpr_flat_scratch_init 0
		.amdhsa_user_sgpr_private_segment_size 0
		.amdhsa_wavefront_size32 1
		.amdhsa_uses_dynamic_stack 0
		.amdhsa_system_sgpr_private_segment_wavefront_offset 0
		.amdhsa_system_sgpr_workgroup_id_x 1
		.amdhsa_system_sgpr_workgroup_id_y 0
		.amdhsa_system_sgpr_workgroup_id_z 0
		.amdhsa_system_sgpr_workgroup_info 0
		.amdhsa_system_vgpr_workitem_id 0
		.amdhsa_next_free_vgpr 9
		.amdhsa_next_free_sgpr 17
		.amdhsa_reserve_vcc 1
		.amdhsa_reserve_flat_scratch 0
		.amdhsa_float_round_mode_32 0
		.amdhsa_float_round_mode_16_64 0
		.amdhsa_float_denorm_mode_32 3
		.amdhsa_float_denorm_mode_16_64 3
		.amdhsa_dx10_clamp 1
		.amdhsa_ieee_mode 1
		.amdhsa_fp16_overflow 0
		.amdhsa_workgroup_processor_mode 1
		.amdhsa_memory_ordered 1
		.amdhsa_forward_progress 1
		.amdhsa_shared_vgpr_count 0
		.amdhsa_exception_fp_ieee_invalid_op 0
		.amdhsa_exception_fp_denorm_src 0
		.amdhsa_exception_fp_ieee_div_zero 0
		.amdhsa_exception_fp_ieee_overflow 0
		.amdhsa_exception_fp_ieee_underflow 0
		.amdhsa_exception_fp_ieee_inexact 0
		.amdhsa_exception_int_div_zero 0
	.end_amdhsa_kernel
	.section	.text._ZN7rocprim17ROCPRIM_400000_NS6detail30init_device_scan_by_key_kernelINS1_19lookback_scan_stateINS0_5tupleIJibEEELb0ELb1EEEN6thrust23THRUST_200600_302600_NS16reverse_iteratorIPKiEEjNS1_16block_id_wrapperIjLb1EEEEEvT_jjPNSF_10value_typeET0_PNSt15iterator_traitsISI_E10value_typeEmT1_T2_,"axG",@progbits,_ZN7rocprim17ROCPRIM_400000_NS6detail30init_device_scan_by_key_kernelINS1_19lookback_scan_stateINS0_5tupleIJibEEELb0ELb1EEEN6thrust23THRUST_200600_302600_NS16reverse_iteratorIPKiEEjNS1_16block_id_wrapperIjLb1EEEEEvT_jjPNSF_10value_typeET0_PNSt15iterator_traitsISI_E10value_typeEmT1_T2_,comdat
.Lfunc_end82:
	.size	_ZN7rocprim17ROCPRIM_400000_NS6detail30init_device_scan_by_key_kernelINS1_19lookback_scan_stateINS0_5tupleIJibEEELb0ELb1EEEN6thrust23THRUST_200600_302600_NS16reverse_iteratorIPKiEEjNS1_16block_id_wrapperIjLb1EEEEEvT_jjPNSF_10value_typeET0_PNSt15iterator_traitsISI_E10value_typeEmT1_T2_, .Lfunc_end82-_ZN7rocprim17ROCPRIM_400000_NS6detail30init_device_scan_by_key_kernelINS1_19lookback_scan_stateINS0_5tupleIJibEEELb0ELb1EEEN6thrust23THRUST_200600_302600_NS16reverse_iteratorIPKiEEjNS1_16block_id_wrapperIjLb1EEEEEvT_jjPNSF_10value_typeET0_PNSt15iterator_traitsISI_E10value_typeEmT1_T2_
                                        ; -- End function
	.set _ZN7rocprim17ROCPRIM_400000_NS6detail30init_device_scan_by_key_kernelINS1_19lookback_scan_stateINS0_5tupleIJibEEELb0ELb1EEEN6thrust23THRUST_200600_302600_NS16reverse_iteratorIPKiEEjNS1_16block_id_wrapperIjLb1EEEEEvT_jjPNSF_10value_typeET0_PNSt15iterator_traitsISI_E10value_typeEmT1_T2_.num_vgpr, 9
	.set _ZN7rocprim17ROCPRIM_400000_NS6detail30init_device_scan_by_key_kernelINS1_19lookback_scan_stateINS0_5tupleIJibEEELb0ELb1EEEN6thrust23THRUST_200600_302600_NS16reverse_iteratorIPKiEEjNS1_16block_id_wrapperIjLb1EEEEEvT_jjPNSF_10value_typeET0_PNSt15iterator_traitsISI_E10value_typeEmT1_T2_.num_agpr, 0
	.set _ZN7rocprim17ROCPRIM_400000_NS6detail30init_device_scan_by_key_kernelINS1_19lookback_scan_stateINS0_5tupleIJibEEELb0ELb1EEEN6thrust23THRUST_200600_302600_NS16reverse_iteratorIPKiEEjNS1_16block_id_wrapperIjLb1EEEEEvT_jjPNSF_10value_typeET0_PNSt15iterator_traitsISI_E10value_typeEmT1_T2_.numbered_sgpr, 17
	.set _ZN7rocprim17ROCPRIM_400000_NS6detail30init_device_scan_by_key_kernelINS1_19lookback_scan_stateINS0_5tupleIJibEEELb0ELb1EEEN6thrust23THRUST_200600_302600_NS16reverse_iteratorIPKiEEjNS1_16block_id_wrapperIjLb1EEEEEvT_jjPNSF_10value_typeET0_PNSt15iterator_traitsISI_E10value_typeEmT1_T2_.num_named_barrier, 0
	.set _ZN7rocprim17ROCPRIM_400000_NS6detail30init_device_scan_by_key_kernelINS1_19lookback_scan_stateINS0_5tupleIJibEEELb0ELb1EEEN6thrust23THRUST_200600_302600_NS16reverse_iteratorIPKiEEjNS1_16block_id_wrapperIjLb1EEEEEvT_jjPNSF_10value_typeET0_PNSt15iterator_traitsISI_E10value_typeEmT1_T2_.private_seg_size, 0
	.set _ZN7rocprim17ROCPRIM_400000_NS6detail30init_device_scan_by_key_kernelINS1_19lookback_scan_stateINS0_5tupleIJibEEELb0ELb1EEEN6thrust23THRUST_200600_302600_NS16reverse_iteratorIPKiEEjNS1_16block_id_wrapperIjLb1EEEEEvT_jjPNSF_10value_typeET0_PNSt15iterator_traitsISI_E10value_typeEmT1_T2_.uses_vcc, 1
	.set _ZN7rocprim17ROCPRIM_400000_NS6detail30init_device_scan_by_key_kernelINS1_19lookback_scan_stateINS0_5tupleIJibEEELb0ELb1EEEN6thrust23THRUST_200600_302600_NS16reverse_iteratorIPKiEEjNS1_16block_id_wrapperIjLb1EEEEEvT_jjPNSF_10value_typeET0_PNSt15iterator_traitsISI_E10value_typeEmT1_T2_.uses_flat_scratch, 0
	.set _ZN7rocprim17ROCPRIM_400000_NS6detail30init_device_scan_by_key_kernelINS1_19lookback_scan_stateINS0_5tupleIJibEEELb0ELb1EEEN6thrust23THRUST_200600_302600_NS16reverse_iteratorIPKiEEjNS1_16block_id_wrapperIjLb1EEEEEvT_jjPNSF_10value_typeET0_PNSt15iterator_traitsISI_E10value_typeEmT1_T2_.has_dyn_sized_stack, 0
	.set _ZN7rocprim17ROCPRIM_400000_NS6detail30init_device_scan_by_key_kernelINS1_19lookback_scan_stateINS0_5tupleIJibEEELb0ELb1EEEN6thrust23THRUST_200600_302600_NS16reverse_iteratorIPKiEEjNS1_16block_id_wrapperIjLb1EEEEEvT_jjPNSF_10value_typeET0_PNSt15iterator_traitsISI_E10value_typeEmT1_T2_.has_recursion, 0
	.set _ZN7rocprim17ROCPRIM_400000_NS6detail30init_device_scan_by_key_kernelINS1_19lookback_scan_stateINS0_5tupleIJibEEELb0ELb1EEEN6thrust23THRUST_200600_302600_NS16reverse_iteratorIPKiEEjNS1_16block_id_wrapperIjLb1EEEEEvT_jjPNSF_10value_typeET0_PNSt15iterator_traitsISI_E10value_typeEmT1_T2_.has_indirect_call, 0
	.section	.AMDGPU.csdata,"",@progbits
; Kernel info:
; codeLenInByte = 728
; TotalNumSgprs: 19
; NumVgprs: 9
; ScratchSize: 0
; MemoryBound: 0
; FloatMode: 240
; IeeeMode: 1
; LDSByteSize: 0 bytes/workgroup (compile time only)
; SGPRBlocks: 0
; VGPRBlocks: 1
; NumSGPRsForWavesPerEU: 19
; NumVGPRsForWavesPerEU: 9
; Occupancy: 16
; WaveLimiterHint : 0
; COMPUTE_PGM_RSRC2:SCRATCH_EN: 0
; COMPUTE_PGM_RSRC2:USER_SGPR: 6
; COMPUTE_PGM_RSRC2:TRAP_HANDLER: 0
; COMPUTE_PGM_RSRC2:TGID_X_EN: 1
; COMPUTE_PGM_RSRC2:TGID_Y_EN: 0
; COMPUTE_PGM_RSRC2:TGID_Z_EN: 0
; COMPUTE_PGM_RSRC2:TIDIG_COMP_CNT: 0
	.section	.text._ZN7rocprim17ROCPRIM_400000_NS6detail17trampoline_kernelINS0_14default_configENS1_27scan_by_key_config_selectorIiiEEZZNS1_16scan_by_key_implILNS1_25lookback_scan_determinismE0ELb0ES3_N6thrust23THRUST_200600_302600_NS16reverse_iteratorIPKiEESD_NSA_IPiEEiN6hipcub16HIPCUB_304000_NS3MaxENSH_8EqualityEiEE10hipError_tPvRmT2_T3_T4_T5_mT6_T7_P12ihipStream_tbENKUlT_T0_E_clISt17integral_constantIbLb0EESZ_IbLb1EEEEDaSV_SW_EUlSV_E_NS1_11comp_targetILNS1_3genE0ELNS1_11target_archE4294967295ELNS1_3gpuE0ELNS1_3repE0EEENS1_30default_config_static_selectorELNS0_4arch9wavefront6targetE0EEEvT1_,"axG",@progbits,_ZN7rocprim17ROCPRIM_400000_NS6detail17trampoline_kernelINS0_14default_configENS1_27scan_by_key_config_selectorIiiEEZZNS1_16scan_by_key_implILNS1_25lookback_scan_determinismE0ELb0ES3_N6thrust23THRUST_200600_302600_NS16reverse_iteratorIPKiEESD_NSA_IPiEEiN6hipcub16HIPCUB_304000_NS3MaxENSH_8EqualityEiEE10hipError_tPvRmT2_T3_T4_T5_mT6_T7_P12ihipStream_tbENKUlT_T0_E_clISt17integral_constantIbLb0EESZ_IbLb1EEEEDaSV_SW_EUlSV_E_NS1_11comp_targetILNS1_3genE0ELNS1_11target_archE4294967295ELNS1_3gpuE0ELNS1_3repE0EEENS1_30default_config_static_selectorELNS0_4arch9wavefront6targetE0EEEvT1_,comdat
	.protected	_ZN7rocprim17ROCPRIM_400000_NS6detail17trampoline_kernelINS0_14default_configENS1_27scan_by_key_config_selectorIiiEEZZNS1_16scan_by_key_implILNS1_25lookback_scan_determinismE0ELb0ES3_N6thrust23THRUST_200600_302600_NS16reverse_iteratorIPKiEESD_NSA_IPiEEiN6hipcub16HIPCUB_304000_NS3MaxENSH_8EqualityEiEE10hipError_tPvRmT2_T3_T4_T5_mT6_T7_P12ihipStream_tbENKUlT_T0_E_clISt17integral_constantIbLb0EESZ_IbLb1EEEEDaSV_SW_EUlSV_E_NS1_11comp_targetILNS1_3genE0ELNS1_11target_archE4294967295ELNS1_3gpuE0ELNS1_3repE0EEENS1_30default_config_static_selectorELNS0_4arch9wavefront6targetE0EEEvT1_ ; -- Begin function _ZN7rocprim17ROCPRIM_400000_NS6detail17trampoline_kernelINS0_14default_configENS1_27scan_by_key_config_selectorIiiEEZZNS1_16scan_by_key_implILNS1_25lookback_scan_determinismE0ELb0ES3_N6thrust23THRUST_200600_302600_NS16reverse_iteratorIPKiEESD_NSA_IPiEEiN6hipcub16HIPCUB_304000_NS3MaxENSH_8EqualityEiEE10hipError_tPvRmT2_T3_T4_T5_mT6_T7_P12ihipStream_tbENKUlT_T0_E_clISt17integral_constantIbLb0EESZ_IbLb1EEEEDaSV_SW_EUlSV_E_NS1_11comp_targetILNS1_3genE0ELNS1_11target_archE4294967295ELNS1_3gpuE0ELNS1_3repE0EEENS1_30default_config_static_selectorELNS0_4arch9wavefront6targetE0EEEvT1_
	.globl	_ZN7rocprim17ROCPRIM_400000_NS6detail17trampoline_kernelINS0_14default_configENS1_27scan_by_key_config_selectorIiiEEZZNS1_16scan_by_key_implILNS1_25lookback_scan_determinismE0ELb0ES3_N6thrust23THRUST_200600_302600_NS16reverse_iteratorIPKiEESD_NSA_IPiEEiN6hipcub16HIPCUB_304000_NS3MaxENSH_8EqualityEiEE10hipError_tPvRmT2_T3_T4_T5_mT6_T7_P12ihipStream_tbENKUlT_T0_E_clISt17integral_constantIbLb0EESZ_IbLb1EEEEDaSV_SW_EUlSV_E_NS1_11comp_targetILNS1_3genE0ELNS1_11target_archE4294967295ELNS1_3gpuE0ELNS1_3repE0EEENS1_30default_config_static_selectorELNS0_4arch9wavefront6targetE0EEEvT1_
	.p2align	8
	.type	_ZN7rocprim17ROCPRIM_400000_NS6detail17trampoline_kernelINS0_14default_configENS1_27scan_by_key_config_selectorIiiEEZZNS1_16scan_by_key_implILNS1_25lookback_scan_determinismE0ELb0ES3_N6thrust23THRUST_200600_302600_NS16reverse_iteratorIPKiEESD_NSA_IPiEEiN6hipcub16HIPCUB_304000_NS3MaxENSH_8EqualityEiEE10hipError_tPvRmT2_T3_T4_T5_mT6_T7_P12ihipStream_tbENKUlT_T0_E_clISt17integral_constantIbLb0EESZ_IbLb1EEEEDaSV_SW_EUlSV_E_NS1_11comp_targetILNS1_3genE0ELNS1_11target_archE4294967295ELNS1_3gpuE0ELNS1_3repE0EEENS1_30default_config_static_selectorELNS0_4arch9wavefront6targetE0EEEvT1_,@function
_ZN7rocprim17ROCPRIM_400000_NS6detail17trampoline_kernelINS0_14default_configENS1_27scan_by_key_config_selectorIiiEEZZNS1_16scan_by_key_implILNS1_25lookback_scan_determinismE0ELb0ES3_N6thrust23THRUST_200600_302600_NS16reverse_iteratorIPKiEESD_NSA_IPiEEiN6hipcub16HIPCUB_304000_NS3MaxENSH_8EqualityEiEE10hipError_tPvRmT2_T3_T4_T5_mT6_T7_P12ihipStream_tbENKUlT_T0_E_clISt17integral_constantIbLb0EESZ_IbLb1EEEEDaSV_SW_EUlSV_E_NS1_11comp_targetILNS1_3genE0ELNS1_11target_archE4294967295ELNS1_3gpuE0ELNS1_3repE0EEENS1_30default_config_static_selectorELNS0_4arch9wavefront6targetE0EEEvT1_: ; @_ZN7rocprim17ROCPRIM_400000_NS6detail17trampoline_kernelINS0_14default_configENS1_27scan_by_key_config_selectorIiiEEZZNS1_16scan_by_key_implILNS1_25lookback_scan_determinismE0ELb0ES3_N6thrust23THRUST_200600_302600_NS16reverse_iteratorIPKiEESD_NSA_IPiEEiN6hipcub16HIPCUB_304000_NS3MaxENSH_8EqualityEiEE10hipError_tPvRmT2_T3_T4_T5_mT6_T7_P12ihipStream_tbENKUlT_T0_E_clISt17integral_constantIbLb0EESZ_IbLb1EEEEDaSV_SW_EUlSV_E_NS1_11comp_targetILNS1_3genE0ELNS1_11target_archE4294967295ELNS1_3gpuE0ELNS1_3repE0EEENS1_30default_config_static_selectorELNS0_4arch9wavefront6targetE0EEEvT1_
; %bb.0:
	.section	.rodata,"a",@progbits
	.p2align	6, 0x0
	.amdhsa_kernel _ZN7rocprim17ROCPRIM_400000_NS6detail17trampoline_kernelINS0_14default_configENS1_27scan_by_key_config_selectorIiiEEZZNS1_16scan_by_key_implILNS1_25lookback_scan_determinismE0ELb0ES3_N6thrust23THRUST_200600_302600_NS16reverse_iteratorIPKiEESD_NSA_IPiEEiN6hipcub16HIPCUB_304000_NS3MaxENSH_8EqualityEiEE10hipError_tPvRmT2_T3_T4_T5_mT6_T7_P12ihipStream_tbENKUlT_T0_E_clISt17integral_constantIbLb0EESZ_IbLb1EEEEDaSV_SW_EUlSV_E_NS1_11comp_targetILNS1_3genE0ELNS1_11target_archE4294967295ELNS1_3gpuE0ELNS1_3repE0EEENS1_30default_config_static_selectorELNS0_4arch9wavefront6targetE0EEEvT1_
		.amdhsa_group_segment_fixed_size 0
		.amdhsa_private_segment_fixed_size 0
		.amdhsa_kernarg_size 112
		.amdhsa_user_sgpr_count 6
		.amdhsa_user_sgpr_private_segment_buffer 1
		.amdhsa_user_sgpr_dispatch_ptr 0
		.amdhsa_user_sgpr_queue_ptr 0
		.amdhsa_user_sgpr_kernarg_segment_ptr 1
		.amdhsa_user_sgpr_dispatch_id 0
		.amdhsa_user_sgpr_flat_scratch_init 0
		.amdhsa_user_sgpr_private_segment_size 0
		.amdhsa_wavefront_size32 1
		.amdhsa_uses_dynamic_stack 0
		.amdhsa_system_sgpr_private_segment_wavefront_offset 0
		.amdhsa_system_sgpr_workgroup_id_x 1
		.amdhsa_system_sgpr_workgroup_id_y 0
		.amdhsa_system_sgpr_workgroup_id_z 0
		.amdhsa_system_sgpr_workgroup_info 0
		.amdhsa_system_vgpr_workitem_id 0
		.amdhsa_next_free_vgpr 1
		.amdhsa_next_free_sgpr 1
		.amdhsa_reserve_vcc 0
		.amdhsa_reserve_flat_scratch 0
		.amdhsa_float_round_mode_32 0
		.amdhsa_float_round_mode_16_64 0
		.amdhsa_float_denorm_mode_32 3
		.amdhsa_float_denorm_mode_16_64 3
		.amdhsa_dx10_clamp 1
		.amdhsa_ieee_mode 1
		.amdhsa_fp16_overflow 0
		.amdhsa_workgroup_processor_mode 1
		.amdhsa_memory_ordered 1
		.amdhsa_forward_progress 1
		.amdhsa_shared_vgpr_count 0
		.amdhsa_exception_fp_ieee_invalid_op 0
		.amdhsa_exception_fp_denorm_src 0
		.amdhsa_exception_fp_ieee_div_zero 0
		.amdhsa_exception_fp_ieee_overflow 0
		.amdhsa_exception_fp_ieee_underflow 0
		.amdhsa_exception_fp_ieee_inexact 0
		.amdhsa_exception_int_div_zero 0
	.end_amdhsa_kernel
	.section	.text._ZN7rocprim17ROCPRIM_400000_NS6detail17trampoline_kernelINS0_14default_configENS1_27scan_by_key_config_selectorIiiEEZZNS1_16scan_by_key_implILNS1_25lookback_scan_determinismE0ELb0ES3_N6thrust23THRUST_200600_302600_NS16reverse_iteratorIPKiEESD_NSA_IPiEEiN6hipcub16HIPCUB_304000_NS3MaxENSH_8EqualityEiEE10hipError_tPvRmT2_T3_T4_T5_mT6_T7_P12ihipStream_tbENKUlT_T0_E_clISt17integral_constantIbLb0EESZ_IbLb1EEEEDaSV_SW_EUlSV_E_NS1_11comp_targetILNS1_3genE0ELNS1_11target_archE4294967295ELNS1_3gpuE0ELNS1_3repE0EEENS1_30default_config_static_selectorELNS0_4arch9wavefront6targetE0EEEvT1_,"axG",@progbits,_ZN7rocprim17ROCPRIM_400000_NS6detail17trampoline_kernelINS0_14default_configENS1_27scan_by_key_config_selectorIiiEEZZNS1_16scan_by_key_implILNS1_25lookback_scan_determinismE0ELb0ES3_N6thrust23THRUST_200600_302600_NS16reverse_iteratorIPKiEESD_NSA_IPiEEiN6hipcub16HIPCUB_304000_NS3MaxENSH_8EqualityEiEE10hipError_tPvRmT2_T3_T4_T5_mT6_T7_P12ihipStream_tbENKUlT_T0_E_clISt17integral_constantIbLb0EESZ_IbLb1EEEEDaSV_SW_EUlSV_E_NS1_11comp_targetILNS1_3genE0ELNS1_11target_archE4294967295ELNS1_3gpuE0ELNS1_3repE0EEENS1_30default_config_static_selectorELNS0_4arch9wavefront6targetE0EEEvT1_,comdat
.Lfunc_end83:
	.size	_ZN7rocprim17ROCPRIM_400000_NS6detail17trampoline_kernelINS0_14default_configENS1_27scan_by_key_config_selectorIiiEEZZNS1_16scan_by_key_implILNS1_25lookback_scan_determinismE0ELb0ES3_N6thrust23THRUST_200600_302600_NS16reverse_iteratorIPKiEESD_NSA_IPiEEiN6hipcub16HIPCUB_304000_NS3MaxENSH_8EqualityEiEE10hipError_tPvRmT2_T3_T4_T5_mT6_T7_P12ihipStream_tbENKUlT_T0_E_clISt17integral_constantIbLb0EESZ_IbLb1EEEEDaSV_SW_EUlSV_E_NS1_11comp_targetILNS1_3genE0ELNS1_11target_archE4294967295ELNS1_3gpuE0ELNS1_3repE0EEENS1_30default_config_static_selectorELNS0_4arch9wavefront6targetE0EEEvT1_, .Lfunc_end83-_ZN7rocprim17ROCPRIM_400000_NS6detail17trampoline_kernelINS0_14default_configENS1_27scan_by_key_config_selectorIiiEEZZNS1_16scan_by_key_implILNS1_25lookback_scan_determinismE0ELb0ES3_N6thrust23THRUST_200600_302600_NS16reverse_iteratorIPKiEESD_NSA_IPiEEiN6hipcub16HIPCUB_304000_NS3MaxENSH_8EqualityEiEE10hipError_tPvRmT2_T3_T4_T5_mT6_T7_P12ihipStream_tbENKUlT_T0_E_clISt17integral_constantIbLb0EESZ_IbLb1EEEEDaSV_SW_EUlSV_E_NS1_11comp_targetILNS1_3genE0ELNS1_11target_archE4294967295ELNS1_3gpuE0ELNS1_3repE0EEENS1_30default_config_static_selectorELNS0_4arch9wavefront6targetE0EEEvT1_
                                        ; -- End function
	.set _ZN7rocprim17ROCPRIM_400000_NS6detail17trampoline_kernelINS0_14default_configENS1_27scan_by_key_config_selectorIiiEEZZNS1_16scan_by_key_implILNS1_25lookback_scan_determinismE0ELb0ES3_N6thrust23THRUST_200600_302600_NS16reverse_iteratorIPKiEESD_NSA_IPiEEiN6hipcub16HIPCUB_304000_NS3MaxENSH_8EqualityEiEE10hipError_tPvRmT2_T3_T4_T5_mT6_T7_P12ihipStream_tbENKUlT_T0_E_clISt17integral_constantIbLb0EESZ_IbLb1EEEEDaSV_SW_EUlSV_E_NS1_11comp_targetILNS1_3genE0ELNS1_11target_archE4294967295ELNS1_3gpuE0ELNS1_3repE0EEENS1_30default_config_static_selectorELNS0_4arch9wavefront6targetE0EEEvT1_.num_vgpr, 0
	.set _ZN7rocprim17ROCPRIM_400000_NS6detail17trampoline_kernelINS0_14default_configENS1_27scan_by_key_config_selectorIiiEEZZNS1_16scan_by_key_implILNS1_25lookback_scan_determinismE0ELb0ES3_N6thrust23THRUST_200600_302600_NS16reverse_iteratorIPKiEESD_NSA_IPiEEiN6hipcub16HIPCUB_304000_NS3MaxENSH_8EqualityEiEE10hipError_tPvRmT2_T3_T4_T5_mT6_T7_P12ihipStream_tbENKUlT_T0_E_clISt17integral_constantIbLb0EESZ_IbLb1EEEEDaSV_SW_EUlSV_E_NS1_11comp_targetILNS1_3genE0ELNS1_11target_archE4294967295ELNS1_3gpuE0ELNS1_3repE0EEENS1_30default_config_static_selectorELNS0_4arch9wavefront6targetE0EEEvT1_.num_agpr, 0
	.set _ZN7rocprim17ROCPRIM_400000_NS6detail17trampoline_kernelINS0_14default_configENS1_27scan_by_key_config_selectorIiiEEZZNS1_16scan_by_key_implILNS1_25lookback_scan_determinismE0ELb0ES3_N6thrust23THRUST_200600_302600_NS16reverse_iteratorIPKiEESD_NSA_IPiEEiN6hipcub16HIPCUB_304000_NS3MaxENSH_8EqualityEiEE10hipError_tPvRmT2_T3_T4_T5_mT6_T7_P12ihipStream_tbENKUlT_T0_E_clISt17integral_constantIbLb0EESZ_IbLb1EEEEDaSV_SW_EUlSV_E_NS1_11comp_targetILNS1_3genE0ELNS1_11target_archE4294967295ELNS1_3gpuE0ELNS1_3repE0EEENS1_30default_config_static_selectorELNS0_4arch9wavefront6targetE0EEEvT1_.numbered_sgpr, 0
	.set _ZN7rocprim17ROCPRIM_400000_NS6detail17trampoline_kernelINS0_14default_configENS1_27scan_by_key_config_selectorIiiEEZZNS1_16scan_by_key_implILNS1_25lookback_scan_determinismE0ELb0ES3_N6thrust23THRUST_200600_302600_NS16reverse_iteratorIPKiEESD_NSA_IPiEEiN6hipcub16HIPCUB_304000_NS3MaxENSH_8EqualityEiEE10hipError_tPvRmT2_T3_T4_T5_mT6_T7_P12ihipStream_tbENKUlT_T0_E_clISt17integral_constantIbLb0EESZ_IbLb1EEEEDaSV_SW_EUlSV_E_NS1_11comp_targetILNS1_3genE0ELNS1_11target_archE4294967295ELNS1_3gpuE0ELNS1_3repE0EEENS1_30default_config_static_selectorELNS0_4arch9wavefront6targetE0EEEvT1_.num_named_barrier, 0
	.set _ZN7rocprim17ROCPRIM_400000_NS6detail17trampoline_kernelINS0_14default_configENS1_27scan_by_key_config_selectorIiiEEZZNS1_16scan_by_key_implILNS1_25lookback_scan_determinismE0ELb0ES3_N6thrust23THRUST_200600_302600_NS16reverse_iteratorIPKiEESD_NSA_IPiEEiN6hipcub16HIPCUB_304000_NS3MaxENSH_8EqualityEiEE10hipError_tPvRmT2_T3_T4_T5_mT6_T7_P12ihipStream_tbENKUlT_T0_E_clISt17integral_constantIbLb0EESZ_IbLb1EEEEDaSV_SW_EUlSV_E_NS1_11comp_targetILNS1_3genE0ELNS1_11target_archE4294967295ELNS1_3gpuE0ELNS1_3repE0EEENS1_30default_config_static_selectorELNS0_4arch9wavefront6targetE0EEEvT1_.private_seg_size, 0
	.set _ZN7rocprim17ROCPRIM_400000_NS6detail17trampoline_kernelINS0_14default_configENS1_27scan_by_key_config_selectorIiiEEZZNS1_16scan_by_key_implILNS1_25lookback_scan_determinismE0ELb0ES3_N6thrust23THRUST_200600_302600_NS16reverse_iteratorIPKiEESD_NSA_IPiEEiN6hipcub16HIPCUB_304000_NS3MaxENSH_8EqualityEiEE10hipError_tPvRmT2_T3_T4_T5_mT6_T7_P12ihipStream_tbENKUlT_T0_E_clISt17integral_constantIbLb0EESZ_IbLb1EEEEDaSV_SW_EUlSV_E_NS1_11comp_targetILNS1_3genE0ELNS1_11target_archE4294967295ELNS1_3gpuE0ELNS1_3repE0EEENS1_30default_config_static_selectorELNS0_4arch9wavefront6targetE0EEEvT1_.uses_vcc, 0
	.set _ZN7rocprim17ROCPRIM_400000_NS6detail17trampoline_kernelINS0_14default_configENS1_27scan_by_key_config_selectorIiiEEZZNS1_16scan_by_key_implILNS1_25lookback_scan_determinismE0ELb0ES3_N6thrust23THRUST_200600_302600_NS16reverse_iteratorIPKiEESD_NSA_IPiEEiN6hipcub16HIPCUB_304000_NS3MaxENSH_8EqualityEiEE10hipError_tPvRmT2_T3_T4_T5_mT6_T7_P12ihipStream_tbENKUlT_T0_E_clISt17integral_constantIbLb0EESZ_IbLb1EEEEDaSV_SW_EUlSV_E_NS1_11comp_targetILNS1_3genE0ELNS1_11target_archE4294967295ELNS1_3gpuE0ELNS1_3repE0EEENS1_30default_config_static_selectorELNS0_4arch9wavefront6targetE0EEEvT1_.uses_flat_scratch, 0
	.set _ZN7rocprim17ROCPRIM_400000_NS6detail17trampoline_kernelINS0_14default_configENS1_27scan_by_key_config_selectorIiiEEZZNS1_16scan_by_key_implILNS1_25lookback_scan_determinismE0ELb0ES3_N6thrust23THRUST_200600_302600_NS16reverse_iteratorIPKiEESD_NSA_IPiEEiN6hipcub16HIPCUB_304000_NS3MaxENSH_8EqualityEiEE10hipError_tPvRmT2_T3_T4_T5_mT6_T7_P12ihipStream_tbENKUlT_T0_E_clISt17integral_constantIbLb0EESZ_IbLb1EEEEDaSV_SW_EUlSV_E_NS1_11comp_targetILNS1_3genE0ELNS1_11target_archE4294967295ELNS1_3gpuE0ELNS1_3repE0EEENS1_30default_config_static_selectorELNS0_4arch9wavefront6targetE0EEEvT1_.has_dyn_sized_stack, 0
	.set _ZN7rocprim17ROCPRIM_400000_NS6detail17trampoline_kernelINS0_14default_configENS1_27scan_by_key_config_selectorIiiEEZZNS1_16scan_by_key_implILNS1_25lookback_scan_determinismE0ELb0ES3_N6thrust23THRUST_200600_302600_NS16reverse_iteratorIPKiEESD_NSA_IPiEEiN6hipcub16HIPCUB_304000_NS3MaxENSH_8EqualityEiEE10hipError_tPvRmT2_T3_T4_T5_mT6_T7_P12ihipStream_tbENKUlT_T0_E_clISt17integral_constantIbLb0EESZ_IbLb1EEEEDaSV_SW_EUlSV_E_NS1_11comp_targetILNS1_3genE0ELNS1_11target_archE4294967295ELNS1_3gpuE0ELNS1_3repE0EEENS1_30default_config_static_selectorELNS0_4arch9wavefront6targetE0EEEvT1_.has_recursion, 0
	.set _ZN7rocprim17ROCPRIM_400000_NS6detail17trampoline_kernelINS0_14default_configENS1_27scan_by_key_config_selectorIiiEEZZNS1_16scan_by_key_implILNS1_25lookback_scan_determinismE0ELb0ES3_N6thrust23THRUST_200600_302600_NS16reverse_iteratorIPKiEESD_NSA_IPiEEiN6hipcub16HIPCUB_304000_NS3MaxENSH_8EqualityEiEE10hipError_tPvRmT2_T3_T4_T5_mT6_T7_P12ihipStream_tbENKUlT_T0_E_clISt17integral_constantIbLb0EESZ_IbLb1EEEEDaSV_SW_EUlSV_E_NS1_11comp_targetILNS1_3genE0ELNS1_11target_archE4294967295ELNS1_3gpuE0ELNS1_3repE0EEENS1_30default_config_static_selectorELNS0_4arch9wavefront6targetE0EEEvT1_.has_indirect_call, 0
	.section	.AMDGPU.csdata,"",@progbits
; Kernel info:
; codeLenInByte = 0
; TotalNumSgprs: 0
; NumVgprs: 0
; ScratchSize: 0
; MemoryBound: 0
; FloatMode: 240
; IeeeMode: 1
; LDSByteSize: 0 bytes/workgroup (compile time only)
; SGPRBlocks: 0
; VGPRBlocks: 0
; NumSGPRsForWavesPerEU: 1
; NumVGPRsForWavesPerEU: 1
; Occupancy: 16
; WaveLimiterHint : 0
; COMPUTE_PGM_RSRC2:SCRATCH_EN: 0
; COMPUTE_PGM_RSRC2:USER_SGPR: 6
; COMPUTE_PGM_RSRC2:TRAP_HANDLER: 0
; COMPUTE_PGM_RSRC2:TGID_X_EN: 1
; COMPUTE_PGM_RSRC2:TGID_Y_EN: 0
; COMPUTE_PGM_RSRC2:TGID_Z_EN: 0
; COMPUTE_PGM_RSRC2:TIDIG_COMP_CNT: 0
	.section	.text._ZN7rocprim17ROCPRIM_400000_NS6detail17trampoline_kernelINS0_14default_configENS1_27scan_by_key_config_selectorIiiEEZZNS1_16scan_by_key_implILNS1_25lookback_scan_determinismE0ELb0ES3_N6thrust23THRUST_200600_302600_NS16reverse_iteratorIPKiEESD_NSA_IPiEEiN6hipcub16HIPCUB_304000_NS3MaxENSH_8EqualityEiEE10hipError_tPvRmT2_T3_T4_T5_mT6_T7_P12ihipStream_tbENKUlT_T0_E_clISt17integral_constantIbLb0EESZ_IbLb1EEEEDaSV_SW_EUlSV_E_NS1_11comp_targetILNS1_3genE10ELNS1_11target_archE1201ELNS1_3gpuE5ELNS1_3repE0EEENS1_30default_config_static_selectorELNS0_4arch9wavefront6targetE0EEEvT1_,"axG",@progbits,_ZN7rocprim17ROCPRIM_400000_NS6detail17trampoline_kernelINS0_14default_configENS1_27scan_by_key_config_selectorIiiEEZZNS1_16scan_by_key_implILNS1_25lookback_scan_determinismE0ELb0ES3_N6thrust23THRUST_200600_302600_NS16reverse_iteratorIPKiEESD_NSA_IPiEEiN6hipcub16HIPCUB_304000_NS3MaxENSH_8EqualityEiEE10hipError_tPvRmT2_T3_T4_T5_mT6_T7_P12ihipStream_tbENKUlT_T0_E_clISt17integral_constantIbLb0EESZ_IbLb1EEEEDaSV_SW_EUlSV_E_NS1_11comp_targetILNS1_3genE10ELNS1_11target_archE1201ELNS1_3gpuE5ELNS1_3repE0EEENS1_30default_config_static_selectorELNS0_4arch9wavefront6targetE0EEEvT1_,comdat
	.protected	_ZN7rocprim17ROCPRIM_400000_NS6detail17trampoline_kernelINS0_14default_configENS1_27scan_by_key_config_selectorIiiEEZZNS1_16scan_by_key_implILNS1_25lookback_scan_determinismE0ELb0ES3_N6thrust23THRUST_200600_302600_NS16reverse_iteratorIPKiEESD_NSA_IPiEEiN6hipcub16HIPCUB_304000_NS3MaxENSH_8EqualityEiEE10hipError_tPvRmT2_T3_T4_T5_mT6_T7_P12ihipStream_tbENKUlT_T0_E_clISt17integral_constantIbLb0EESZ_IbLb1EEEEDaSV_SW_EUlSV_E_NS1_11comp_targetILNS1_3genE10ELNS1_11target_archE1201ELNS1_3gpuE5ELNS1_3repE0EEENS1_30default_config_static_selectorELNS0_4arch9wavefront6targetE0EEEvT1_ ; -- Begin function _ZN7rocprim17ROCPRIM_400000_NS6detail17trampoline_kernelINS0_14default_configENS1_27scan_by_key_config_selectorIiiEEZZNS1_16scan_by_key_implILNS1_25lookback_scan_determinismE0ELb0ES3_N6thrust23THRUST_200600_302600_NS16reverse_iteratorIPKiEESD_NSA_IPiEEiN6hipcub16HIPCUB_304000_NS3MaxENSH_8EqualityEiEE10hipError_tPvRmT2_T3_T4_T5_mT6_T7_P12ihipStream_tbENKUlT_T0_E_clISt17integral_constantIbLb0EESZ_IbLb1EEEEDaSV_SW_EUlSV_E_NS1_11comp_targetILNS1_3genE10ELNS1_11target_archE1201ELNS1_3gpuE5ELNS1_3repE0EEENS1_30default_config_static_selectorELNS0_4arch9wavefront6targetE0EEEvT1_
	.globl	_ZN7rocprim17ROCPRIM_400000_NS6detail17trampoline_kernelINS0_14default_configENS1_27scan_by_key_config_selectorIiiEEZZNS1_16scan_by_key_implILNS1_25lookback_scan_determinismE0ELb0ES3_N6thrust23THRUST_200600_302600_NS16reverse_iteratorIPKiEESD_NSA_IPiEEiN6hipcub16HIPCUB_304000_NS3MaxENSH_8EqualityEiEE10hipError_tPvRmT2_T3_T4_T5_mT6_T7_P12ihipStream_tbENKUlT_T0_E_clISt17integral_constantIbLb0EESZ_IbLb1EEEEDaSV_SW_EUlSV_E_NS1_11comp_targetILNS1_3genE10ELNS1_11target_archE1201ELNS1_3gpuE5ELNS1_3repE0EEENS1_30default_config_static_selectorELNS0_4arch9wavefront6targetE0EEEvT1_
	.p2align	8
	.type	_ZN7rocprim17ROCPRIM_400000_NS6detail17trampoline_kernelINS0_14default_configENS1_27scan_by_key_config_selectorIiiEEZZNS1_16scan_by_key_implILNS1_25lookback_scan_determinismE0ELb0ES3_N6thrust23THRUST_200600_302600_NS16reverse_iteratorIPKiEESD_NSA_IPiEEiN6hipcub16HIPCUB_304000_NS3MaxENSH_8EqualityEiEE10hipError_tPvRmT2_T3_T4_T5_mT6_T7_P12ihipStream_tbENKUlT_T0_E_clISt17integral_constantIbLb0EESZ_IbLb1EEEEDaSV_SW_EUlSV_E_NS1_11comp_targetILNS1_3genE10ELNS1_11target_archE1201ELNS1_3gpuE5ELNS1_3repE0EEENS1_30default_config_static_selectorELNS0_4arch9wavefront6targetE0EEEvT1_,@function
_ZN7rocprim17ROCPRIM_400000_NS6detail17trampoline_kernelINS0_14default_configENS1_27scan_by_key_config_selectorIiiEEZZNS1_16scan_by_key_implILNS1_25lookback_scan_determinismE0ELb0ES3_N6thrust23THRUST_200600_302600_NS16reverse_iteratorIPKiEESD_NSA_IPiEEiN6hipcub16HIPCUB_304000_NS3MaxENSH_8EqualityEiEE10hipError_tPvRmT2_T3_T4_T5_mT6_T7_P12ihipStream_tbENKUlT_T0_E_clISt17integral_constantIbLb0EESZ_IbLb1EEEEDaSV_SW_EUlSV_E_NS1_11comp_targetILNS1_3genE10ELNS1_11target_archE1201ELNS1_3gpuE5ELNS1_3repE0EEENS1_30default_config_static_selectorELNS0_4arch9wavefront6targetE0EEEvT1_: ; @_ZN7rocprim17ROCPRIM_400000_NS6detail17trampoline_kernelINS0_14default_configENS1_27scan_by_key_config_selectorIiiEEZZNS1_16scan_by_key_implILNS1_25lookback_scan_determinismE0ELb0ES3_N6thrust23THRUST_200600_302600_NS16reverse_iteratorIPKiEESD_NSA_IPiEEiN6hipcub16HIPCUB_304000_NS3MaxENSH_8EqualityEiEE10hipError_tPvRmT2_T3_T4_T5_mT6_T7_P12ihipStream_tbENKUlT_T0_E_clISt17integral_constantIbLb0EESZ_IbLb1EEEEDaSV_SW_EUlSV_E_NS1_11comp_targetILNS1_3genE10ELNS1_11target_archE1201ELNS1_3gpuE5ELNS1_3repE0EEENS1_30default_config_static_selectorELNS0_4arch9wavefront6targetE0EEEvT1_
; %bb.0:
	.section	.rodata,"a",@progbits
	.p2align	6, 0x0
	.amdhsa_kernel _ZN7rocprim17ROCPRIM_400000_NS6detail17trampoline_kernelINS0_14default_configENS1_27scan_by_key_config_selectorIiiEEZZNS1_16scan_by_key_implILNS1_25lookback_scan_determinismE0ELb0ES3_N6thrust23THRUST_200600_302600_NS16reverse_iteratorIPKiEESD_NSA_IPiEEiN6hipcub16HIPCUB_304000_NS3MaxENSH_8EqualityEiEE10hipError_tPvRmT2_T3_T4_T5_mT6_T7_P12ihipStream_tbENKUlT_T0_E_clISt17integral_constantIbLb0EESZ_IbLb1EEEEDaSV_SW_EUlSV_E_NS1_11comp_targetILNS1_3genE10ELNS1_11target_archE1201ELNS1_3gpuE5ELNS1_3repE0EEENS1_30default_config_static_selectorELNS0_4arch9wavefront6targetE0EEEvT1_
		.amdhsa_group_segment_fixed_size 0
		.amdhsa_private_segment_fixed_size 0
		.amdhsa_kernarg_size 112
		.amdhsa_user_sgpr_count 6
		.amdhsa_user_sgpr_private_segment_buffer 1
		.amdhsa_user_sgpr_dispatch_ptr 0
		.amdhsa_user_sgpr_queue_ptr 0
		.amdhsa_user_sgpr_kernarg_segment_ptr 1
		.amdhsa_user_sgpr_dispatch_id 0
		.amdhsa_user_sgpr_flat_scratch_init 0
		.amdhsa_user_sgpr_private_segment_size 0
		.amdhsa_wavefront_size32 1
		.amdhsa_uses_dynamic_stack 0
		.amdhsa_system_sgpr_private_segment_wavefront_offset 0
		.amdhsa_system_sgpr_workgroup_id_x 1
		.amdhsa_system_sgpr_workgroup_id_y 0
		.amdhsa_system_sgpr_workgroup_id_z 0
		.amdhsa_system_sgpr_workgroup_info 0
		.amdhsa_system_vgpr_workitem_id 0
		.amdhsa_next_free_vgpr 1
		.amdhsa_next_free_sgpr 1
		.amdhsa_reserve_vcc 0
		.amdhsa_reserve_flat_scratch 0
		.amdhsa_float_round_mode_32 0
		.amdhsa_float_round_mode_16_64 0
		.amdhsa_float_denorm_mode_32 3
		.amdhsa_float_denorm_mode_16_64 3
		.amdhsa_dx10_clamp 1
		.amdhsa_ieee_mode 1
		.amdhsa_fp16_overflow 0
		.amdhsa_workgroup_processor_mode 1
		.amdhsa_memory_ordered 1
		.amdhsa_forward_progress 1
		.amdhsa_shared_vgpr_count 0
		.amdhsa_exception_fp_ieee_invalid_op 0
		.amdhsa_exception_fp_denorm_src 0
		.amdhsa_exception_fp_ieee_div_zero 0
		.amdhsa_exception_fp_ieee_overflow 0
		.amdhsa_exception_fp_ieee_underflow 0
		.amdhsa_exception_fp_ieee_inexact 0
		.amdhsa_exception_int_div_zero 0
	.end_amdhsa_kernel
	.section	.text._ZN7rocprim17ROCPRIM_400000_NS6detail17trampoline_kernelINS0_14default_configENS1_27scan_by_key_config_selectorIiiEEZZNS1_16scan_by_key_implILNS1_25lookback_scan_determinismE0ELb0ES3_N6thrust23THRUST_200600_302600_NS16reverse_iteratorIPKiEESD_NSA_IPiEEiN6hipcub16HIPCUB_304000_NS3MaxENSH_8EqualityEiEE10hipError_tPvRmT2_T3_T4_T5_mT6_T7_P12ihipStream_tbENKUlT_T0_E_clISt17integral_constantIbLb0EESZ_IbLb1EEEEDaSV_SW_EUlSV_E_NS1_11comp_targetILNS1_3genE10ELNS1_11target_archE1201ELNS1_3gpuE5ELNS1_3repE0EEENS1_30default_config_static_selectorELNS0_4arch9wavefront6targetE0EEEvT1_,"axG",@progbits,_ZN7rocprim17ROCPRIM_400000_NS6detail17trampoline_kernelINS0_14default_configENS1_27scan_by_key_config_selectorIiiEEZZNS1_16scan_by_key_implILNS1_25lookback_scan_determinismE0ELb0ES3_N6thrust23THRUST_200600_302600_NS16reverse_iteratorIPKiEESD_NSA_IPiEEiN6hipcub16HIPCUB_304000_NS3MaxENSH_8EqualityEiEE10hipError_tPvRmT2_T3_T4_T5_mT6_T7_P12ihipStream_tbENKUlT_T0_E_clISt17integral_constantIbLb0EESZ_IbLb1EEEEDaSV_SW_EUlSV_E_NS1_11comp_targetILNS1_3genE10ELNS1_11target_archE1201ELNS1_3gpuE5ELNS1_3repE0EEENS1_30default_config_static_selectorELNS0_4arch9wavefront6targetE0EEEvT1_,comdat
.Lfunc_end84:
	.size	_ZN7rocprim17ROCPRIM_400000_NS6detail17trampoline_kernelINS0_14default_configENS1_27scan_by_key_config_selectorIiiEEZZNS1_16scan_by_key_implILNS1_25lookback_scan_determinismE0ELb0ES3_N6thrust23THRUST_200600_302600_NS16reverse_iteratorIPKiEESD_NSA_IPiEEiN6hipcub16HIPCUB_304000_NS3MaxENSH_8EqualityEiEE10hipError_tPvRmT2_T3_T4_T5_mT6_T7_P12ihipStream_tbENKUlT_T0_E_clISt17integral_constantIbLb0EESZ_IbLb1EEEEDaSV_SW_EUlSV_E_NS1_11comp_targetILNS1_3genE10ELNS1_11target_archE1201ELNS1_3gpuE5ELNS1_3repE0EEENS1_30default_config_static_selectorELNS0_4arch9wavefront6targetE0EEEvT1_, .Lfunc_end84-_ZN7rocprim17ROCPRIM_400000_NS6detail17trampoline_kernelINS0_14default_configENS1_27scan_by_key_config_selectorIiiEEZZNS1_16scan_by_key_implILNS1_25lookback_scan_determinismE0ELb0ES3_N6thrust23THRUST_200600_302600_NS16reverse_iteratorIPKiEESD_NSA_IPiEEiN6hipcub16HIPCUB_304000_NS3MaxENSH_8EqualityEiEE10hipError_tPvRmT2_T3_T4_T5_mT6_T7_P12ihipStream_tbENKUlT_T0_E_clISt17integral_constantIbLb0EESZ_IbLb1EEEEDaSV_SW_EUlSV_E_NS1_11comp_targetILNS1_3genE10ELNS1_11target_archE1201ELNS1_3gpuE5ELNS1_3repE0EEENS1_30default_config_static_selectorELNS0_4arch9wavefront6targetE0EEEvT1_
                                        ; -- End function
	.set _ZN7rocprim17ROCPRIM_400000_NS6detail17trampoline_kernelINS0_14default_configENS1_27scan_by_key_config_selectorIiiEEZZNS1_16scan_by_key_implILNS1_25lookback_scan_determinismE0ELb0ES3_N6thrust23THRUST_200600_302600_NS16reverse_iteratorIPKiEESD_NSA_IPiEEiN6hipcub16HIPCUB_304000_NS3MaxENSH_8EqualityEiEE10hipError_tPvRmT2_T3_T4_T5_mT6_T7_P12ihipStream_tbENKUlT_T0_E_clISt17integral_constantIbLb0EESZ_IbLb1EEEEDaSV_SW_EUlSV_E_NS1_11comp_targetILNS1_3genE10ELNS1_11target_archE1201ELNS1_3gpuE5ELNS1_3repE0EEENS1_30default_config_static_selectorELNS0_4arch9wavefront6targetE0EEEvT1_.num_vgpr, 0
	.set _ZN7rocprim17ROCPRIM_400000_NS6detail17trampoline_kernelINS0_14default_configENS1_27scan_by_key_config_selectorIiiEEZZNS1_16scan_by_key_implILNS1_25lookback_scan_determinismE0ELb0ES3_N6thrust23THRUST_200600_302600_NS16reverse_iteratorIPKiEESD_NSA_IPiEEiN6hipcub16HIPCUB_304000_NS3MaxENSH_8EqualityEiEE10hipError_tPvRmT2_T3_T4_T5_mT6_T7_P12ihipStream_tbENKUlT_T0_E_clISt17integral_constantIbLb0EESZ_IbLb1EEEEDaSV_SW_EUlSV_E_NS1_11comp_targetILNS1_3genE10ELNS1_11target_archE1201ELNS1_3gpuE5ELNS1_3repE0EEENS1_30default_config_static_selectorELNS0_4arch9wavefront6targetE0EEEvT1_.num_agpr, 0
	.set _ZN7rocprim17ROCPRIM_400000_NS6detail17trampoline_kernelINS0_14default_configENS1_27scan_by_key_config_selectorIiiEEZZNS1_16scan_by_key_implILNS1_25lookback_scan_determinismE0ELb0ES3_N6thrust23THRUST_200600_302600_NS16reverse_iteratorIPKiEESD_NSA_IPiEEiN6hipcub16HIPCUB_304000_NS3MaxENSH_8EqualityEiEE10hipError_tPvRmT2_T3_T4_T5_mT6_T7_P12ihipStream_tbENKUlT_T0_E_clISt17integral_constantIbLb0EESZ_IbLb1EEEEDaSV_SW_EUlSV_E_NS1_11comp_targetILNS1_3genE10ELNS1_11target_archE1201ELNS1_3gpuE5ELNS1_3repE0EEENS1_30default_config_static_selectorELNS0_4arch9wavefront6targetE0EEEvT1_.numbered_sgpr, 0
	.set _ZN7rocprim17ROCPRIM_400000_NS6detail17trampoline_kernelINS0_14default_configENS1_27scan_by_key_config_selectorIiiEEZZNS1_16scan_by_key_implILNS1_25lookback_scan_determinismE0ELb0ES3_N6thrust23THRUST_200600_302600_NS16reverse_iteratorIPKiEESD_NSA_IPiEEiN6hipcub16HIPCUB_304000_NS3MaxENSH_8EqualityEiEE10hipError_tPvRmT2_T3_T4_T5_mT6_T7_P12ihipStream_tbENKUlT_T0_E_clISt17integral_constantIbLb0EESZ_IbLb1EEEEDaSV_SW_EUlSV_E_NS1_11comp_targetILNS1_3genE10ELNS1_11target_archE1201ELNS1_3gpuE5ELNS1_3repE0EEENS1_30default_config_static_selectorELNS0_4arch9wavefront6targetE0EEEvT1_.num_named_barrier, 0
	.set _ZN7rocprim17ROCPRIM_400000_NS6detail17trampoline_kernelINS0_14default_configENS1_27scan_by_key_config_selectorIiiEEZZNS1_16scan_by_key_implILNS1_25lookback_scan_determinismE0ELb0ES3_N6thrust23THRUST_200600_302600_NS16reverse_iteratorIPKiEESD_NSA_IPiEEiN6hipcub16HIPCUB_304000_NS3MaxENSH_8EqualityEiEE10hipError_tPvRmT2_T3_T4_T5_mT6_T7_P12ihipStream_tbENKUlT_T0_E_clISt17integral_constantIbLb0EESZ_IbLb1EEEEDaSV_SW_EUlSV_E_NS1_11comp_targetILNS1_3genE10ELNS1_11target_archE1201ELNS1_3gpuE5ELNS1_3repE0EEENS1_30default_config_static_selectorELNS0_4arch9wavefront6targetE0EEEvT1_.private_seg_size, 0
	.set _ZN7rocprim17ROCPRIM_400000_NS6detail17trampoline_kernelINS0_14default_configENS1_27scan_by_key_config_selectorIiiEEZZNS1_16scan_by_key_implILNS1_25lookback_scan_determinismE0ELb0ES3_N6thrust23THRUST_200600_302600_NS16reverse_iteratorIPKiEESD_NSA_IPiEEiN6hipcub16HIPCUB_304000_NS3MaxENSH_8EqualityEiEE10hipError_tPvRmT2_T3_T4_T5_mT6_T7_P12ihipStream_tbENKUlT_T0_E_clISt17integral_constantIbLb0EESZ_IbLb1EEEEDaSV_SW_EUlSV_E_NS1_11comp_targetILNS1_3genE10ELNS1_11target_archE1201ELNS1_3gpuE5ELNS1_3repE0EEENS1_30default_config_static_selectorELNS0_4arch9wavefront6targetE0EEEvT1_.uses_vcc, 0
	.set _ZN7rocprim17ROCPRIM_400000_NS6detail17trampoline_kernelINS0_14default_configENS1_27scan_by_key_config_selectorIiiEEZZNS1_16scan_by_key_implILNS1_25lookback_scan_determinismE0ELb0ES3_N6thrust23THRUST_200600_302600_NS16reverse_iteratorIPKiEESD_NSA_IPiEEiN6hipcub16HIPCUB_304000_NS3MaxENSH_8EqualityEiEE10hipError_tPvRmT2_T3_T4_T5_mT6_T7_P12ihipStream_tbENKUlT_T0_E_clISt17integral_constantIbLb0EESZ_IbLb1EEEEDaSV_SW_EUlSV_E_NS1_11comp_targetILNS1_3genE10ELNS1_11target_archE1201ELNS1_3gpuE5ELNS1_3repE0EEENS1_30default_config_static_selectorELNS0_4arch9wavefront6targetE0EEEvT1_.uses_flat_scratch, 0
	.set _ZN7rocprim17ROCPRIM_400000_NS6detail17trampoline_kernelINS0_14default_configENS1_27scan_by_key_config_selectorIiiEEZZNS1_16scan_by_key_implILNS1_25lookback_scan_determinismE0ELb0ES3_N6thrust23THRUST_200600_302600_NS16reverse_iteratorIPKiEESD_NSA_IPiEEiN6hipcub16HIPCUB_304000_NS3MaxENSH_8EqualityEiEE10hipError_tPvRmT2_T3_T4_T5_mT6_T7_P12ihipStream_tbENKUlT_T0_E_clISt17integral_constantIbLb0EESZ_IbLb1EEEEDaSV_SW_EUlSV_E_NS1_11comp_targetILNS1_3genE10ELNS1_11target_archE1201ELNS1_3gpuE5ELNS1_3repE0EEENS1_30default_config_static_selectorELNS0_4arch9wavefront6targetE0EEEvT1_.has_dyn_sized_stack, 0
	.set _ZN7rocprim17ROCPRIM_400000_NS6detail17trampoline_kernelINS0_14default_configENS1_27scan_by_key_config_selectorIiiEEZZNS1_16scan_by_key_implILNS1_25lookback_scan_determinismE0ELb0ES3_N6thrust23THRUST_200600_302600_NS16reverse_iteratorIPKiEESD_NSA_IPiEEiN6hipcub16HIPCUB_304000_NS3MaxENSH_8EqualityEiEE10hipError_tPvRmT2_T3_T4_T5_mT6_T7_P12ihipStream_tbENKUlT_T0_E_clISt17integral_constantIbLb0EESZ_IbLb1EEEEDaSV_SW_EUlSV_E_NS1_11comp_targetILNS1_3genE10ELNS1_11target_archE1201ELNS1_3gpuE5ELNS1_3repE0EEENS1_30default_config_static_selectorELNS0_4arch9wavefront6targetE0EEEvT1_.has_recursion, 0
	.set _ZN7rocprim17ROCPRIM_400000_NS6detail17trampoline_kernelINS0_14default_configENS1_27scan_by_key_config_selectorIiiEEZZNS1_16scan_by_key_implILNS1_25lookback_scan_determinismE0ELb0ES3_N6thrust23THRUST_200600_302600_NS16reverse_iteratorIPKiEESD_NSA_IPiEEiN6hipcub16HIPCUB_304000_NS3MaxENSH_8EqualityEiEE10hipError_tPvRmT2_T3_T4_T5_mT6_T7_P12ihipStream_tbENKUlT_T0_E_clISt17integral_constantIbLb0EESZ_IbLb1EEEEDaSV_SW_EUlSV_E_NS1_11comp_targetILNS1_3genE10ELNS1_11target_archE1201ELNS1_3gpuE5ELNS1_3repE0EEENS1_30default_config_static_selectorELNS0_4arch9wavefront6targetE0EEEvT1_.has_indirect_call, 0
	.section	.AMDGPU.csdata,"",@progbits
; Kernel info:
; codeLenInByte = 0
; TotalNumSgprs: 0
; NumVgprs: 0
; ScratchSize: 0
; MemoryBound: 0
; FloatMode: 240
; IeeeMode: 1
; LDSByteSize: 0 bytes/workgroup (compile time only)
; SGPRBlocks: 0
; VGPRBlocks: 0
; NumSGPRsForWavesPerEU: 1
; NumVGPRsForWavesPerEU: 1
; Occupancy: 16
; WaveLimiterHint : 0
; COMPUTE_PGM_RSRC2:SCRATCH_EN: 0
; COMPUTE_PGM_RSRC2:USER_SGPR: 6
; COMPUTE_PGM_RSRC2:TRAP_HANDLER: 0
; COMPUTE_PGM_RSRC2:TGID_X_EN: 1
; COMPUTE_PGM_RSRC2:TGID_Y_EN: 0
; COMPUTE_PGM_RSRC2:TGID_Z_EN: 0
; COMPUTE_PGM_RSRC2:TIDIG_COMP_CNT: 0
	.section	.text._ZN7rocprim17ROCPRIM_400000_NS6detail17trampoline_kernelINS0_14default_configENS1_27scan_by_key_config_selectorIiiEEZZNS1_16scan_by_key_implILNS1_25lookback_scan_determinismE0ELb0ES3_N6thrust23THRUST_200600_302600_NS16reverse_iteratorIPKiEESD_NSA_IPiEEiN6hipcub16HIPCUB_304000_NS3MaxENSH_8EqualityEiEE10hipError_tPvRmT2_T3_T4_T5_mT6_T7_P12ihipStream_tbENKUlT_T0_E_clISt17integral_constantIbLb0EESZ_IbLb1EEEEDaSV_SW_EUlSV_E_NS1_11comp_targetILNS1_3genE5ELNS1_11target_archE942ELNS1_3gpuE9ELNS1_3repE0EEENS1_30default_config_static_selectorELNS0_4arch9wavefront6targetE0EEEvT1_,"axG",@progbits,_ZN7rocprim17ROCPRIM_400000_NS6detail17trampoline_kernelINS0_14default_configENS1_27scan_by_key_config_selectorIiiEEZZNS1_16scan_by_key_implILNS1_25lookback_scan_determinismE0ELb0ES3_N6thrust23THRUST_200600_302600_NS16reverse_iteratorIPKiEESD_NSA_IPiEEiN6hipcub16HIPCUB_304000_NS3MaxENSH_8EqualityEiEE10hipError_tPvRmT2_T3_T4_T5_mT6_T7_P12ihipStream_tbENKUlT_T0_E_clISt17integral_constantIbLb0EESZ_IbLb1EEEEDaSV_SW_EUlSV_E_NS1_11comp_targetILNS1_3genE5ELNS1_11target_archE942ELNS1_3gpuE9ELNS1_3repE0EEENS1_30default_config_static_selectorELNS0_4arch9wavefront6targetE0EEEvT1_,comdat
	.protected	_ZN7rocprim17ROCPRIM_400000_NS6detail17trampoline_kernelINS0_14default_configENS1_27scan_by_key_config_selectorIiiEEZZNS1_16scan_by_key_implILNS1_25lookback_scan_determinismE0ELb0ES3_N6thrust23THRUST_200600_302600_NS16reverse_iteratorIPKiEESD_NSA_IPiEEiN6hipcub16HIPCUB_304000_NS3MaxENSH_8EqualityEiEE10hipError_tPvRmT2_T3_T4_T5_mT6_T7_P12ihipStream_tbENKUlT_T0_E_clISt17integral_constantIbLb0EESZ_IbLb1EEEEDaSV_SW_EUlSV_E_NS1_11comp_targetILNS1_3genE5ELNS1_11target_archE942ELNS1_3gpuE9ELNS1_3repE0EEENS1_30default_config_static_selectorELNS0_4arch9wavefront6targetE0EEEvT1_ ; -- Begin function _ZN7rocprim17ROCPRIM_400000_NS6detail17trampoline_kernelINS0_14default_configENS1_27scan_by_key_config_selectorIiiEEZZNS1_16scan_by_key_implILNS1_25lookback_scan_determinismE0ELb0ES3_N6thrust23THRUST_200600_302600_NS16reverse_iteratorIPKiEESD_NSA_IPiEEiN6hipcub16HIPCUB_304000_NS3MaxENSH_8EqualityEiEE10hipError_tPvRmT2_T3_T4_T5_mT6_T7_P12ihipStream_tbENKUlT_T0_E_clISt17integral_constantIbLb0EESZ_IbLb1EEEEDaSV_SW_EUlSV_E_NS1_11comp_targetILNS1_3genE5ELNS1_11target_archE942ELNS1_3gpuE9ELNS1_3repE0EEENS1_30default_config_static_selectorELNS0_4arch9wavefront6targetE0EEEvT1_
	.globl	_ZN7rocprim17ROCPRIM_400000_NS6detail17trampoline_kernelINS0_14default_configENS1_27scan_by_key_config_selectorIiiEEZZNS1_16scan_by_key_implILNS1_25lookback_scan_determinismE0ELb0ES3_N6thrust23THRUST_200600_302600_NS16reverse_iteratorIPKiEESD_NSA_IPiEEiN6hipcub16HIPCUB_304000_NS3MaxENSH_8EqualityEiEE10hipError_tPvRmT2_T3_T4_T5_mT6_T7_P12ihipStream_tbENKUlT_T0_E_clISt17integral_constantIbLb0EESZ_IbLb1EEEEDaSV_SW_EUlSV_E_NS1_11comp_targetILNS1_3genE5ELNS1_11target_archE942ELNS1_3gpuE9ELNS1_3repE0EEENS1_30default_config_static_selectorELNS0_4arch9wavefront6targetE0EEEvT1_
	.p2align	8
	.type	_ZN7rocprim17ROCPRIM_400000_NS6detail17trampoline_kernelINS0_14default_configENS1_27scan_by_key_config_selectorIiiEEZZNS1_16scan_by_key_implILNS1_25lookback_scan_determinismE0ELb0ES3_N6thrust23THRUST_200600_302600_NS16reverse_iteratorIPKiEESD_NSA_IPiEEiN6hipcub16HIPCUB_304000_NS3MaxENSH_8EqualityEiEE10hipError_tPvRmT2_T3_T4_T5_mT6_T7_P12ihipStream_tbENKUlT_T0_E_clISt17integral_constantIbLb0EESZ_IbLb1EEEEDaSV_SW_EUlSV_E_NS1_11comp_targetILNS1_3genE5ELNS1_11target_archE942ELNS1_3gpuE9ELNS1_3repE0EEENS1_30default_config_static_selectorELNS0_4arch9wavefront6targetE0EEEvT1_,@function
_ZN7rocprim17ROCPRIM_400000_NS6detail17trampoline_kernelINS0_14default_configENS1_27scan_by_key_config_selectorIiiEEZZNS1_16scan_by_key_implILNS1_25lookback_scan_determinismE0ELb0ES3_N6thrust23THRUST_200600_302600_NS16reverse_iteratorIPKiEESD_NSA_IPiEEiN6hipcub16HIPCUB_304000_NS3MaxENSH_8EqualityEiEE10hipError_tPvRmT2_T3_T4_T5_mT6_T7_P12ihipStream_tbENKUlT_T0_E_clISt17integral_constantIbLb0EESZ_IbLb1EEEEDaSV_SW_EUlSV_E_NS1_11comp_targetILNS1_3genE5ELNS1_11target_archE942ELNS1_3gpuE9ELNS1_3repE0EEENS1_30default_config_static_selectorELNS0_4arch9wavefront6targetE0EEEvT1_: ; @_ZN7rocprim17ROCPRIM_400000_NS6detail17trampoline_kernelINS0_14default_configENS1_27scan_by_key_config_selectorIiiEEZZNS1_16scan_by_key_implILNS1_25lookback_scan_determinismE0ELb0ES3_N6thrust23THRUST_200600_302600_NS16reverse_iteratorIPKiEESD_NSA_IPiEEiN6hipcub16HIPCUB_304000_NS3MaxENSH_8EqualityEiEE10hipError_tPvRmT2_T3_T4_T5_mT6_T7_P12ihipStream_tbENKUlT_T0_E_clISt17integral_constantIbLb0EESZ_IbLb1EEEEDaSV_SW_EUlSV_E_NS1_11comp_targetILNS1_3genE5ELNS1_11target_archE942ELNS1_3gpuE9ELNS1_3repE0EEENS1_30default_config_static_selectorELNS0_4arch9wavefront6targetE0EEEvT1_
; %bb.0:
	.section	.rodata,"a",@progbits
	.p2align	6, 0x0
	.amdhsa_kernel _ZN7rocprim17ROCPRIM_400000_NS6detail17trampoline_kernelINS0_14default_configENS1_27scan_by_key_config_selectorIiiEEZZNS1_16scan_by_key_implILNS1_25lookback_scan_determinismE0ELb0ES3_N6thrust23THRUST_200600_302600_NS16reverse_iteratorIPKiEESD_NSA_IPiEEiN6hipcub16HIPCUB_304000_NS3MaxENSH_8EqualityEiEE10hipError_tPvRmT2_T3_T4_T5_mT6_T7_P12ihipStream_tbENKUlT_T0_E_clISt17integral_constantIbLb0EESZ_IbLb1EEEEDaSV_SW_EUlSV_E_NS1_11comp_targetILNS1_3genE5ELNS1_11target_archE942ELNS1_3gpuE9ELNS1_3repE0EEENS1_30default_config_static_selectorELNS0_4arch9wavefront6targetE0EEEvT1_
		.amdhsa_group_segment_fixed_size 0
		.amdhsa_private_segment_fixed_size 0
		.amdhsa_kernarg_size 112
		.amdhsa_user_sgpr_count 6
		.amdhsa_user_sgpr_private_segment_buffer 1
		.amdhsa_user_sgpr_dispatch_ptr 0
		.amdhsa_user_sgpr_queue_ptr 0
		.amdhsa_user_sgpr_kernarg_segment_ptr 1
		.amdhsa_user_sgpr_dispatch_id 0
		.amdhsa_user_sgpr_flat_scratch_init 0
		.amdhsa_user_sgpr_private_segment_size 0
		.amdhsa_wavefront_size32 1
		.amdhsa_uses_dynamic_stack 0
		.amdhsa_system_sgpr_private_segment_wavefront_offset 0
		.amdhsa_system_sgpr_workgroup_id_x 1
		.amdhsa_system_sgpr_workgroup_id_y 0
		.amdhsa_system_sgpr_workgroup_id_z 0
		.amdhsa_system_sgpr_workgroup_info 0
		.amdhsa_system_vgpr_workitem_id 0
		.amdhsa_next_free_vgpr 1
		.amdhsa_next_free_sgpr 1
		.amdhsa_reserve_vcc 0
		.amdhsa_reserve_flat_scratch 0
		.amdhsa_float_round_mode_32 0
		.amdhsa_float_round_mode_16_64 0
		.amdhsa_float_denorm_mode_32 3
		.amdhsa_float_denorm_mode_16_64 3
		.amdhsa_dx10_clamp 1
		.amdhsa_ieee_mode 1
		.amdhsa_fp16_overflow 0
		.amdhsa_workgroup_processor_mode 1
		.amdhsa_memory_ordered 1
		.amdhsa_forward_progress 1
		.amdhsa_shared_vgpr_count 0
		.amdhsa_exception_fp_ieee_invalid_op 0
		.amdhsa_exception_fp_denorm_src 0
		.amdhsa_exception_fp_ieee_div_zero 0
		.amdhsa_exception_fp_ieee_overflow 0
		.amdhsa_exception_fp_ieee_underflow 0
		.amdhsa_exception_fp_ieee_inexact 0
		.amdhsa_exception_int_div_zero 0
	.end_amdhsa_kernel
	.section	.text._ZN7rocprim17ROCPRIM_400000_NS6detail17trampoline_kernelINS0_14default_configENS1_27scan_by_key_config_selectorIiiEEZZNS1_16scan_by_key_implILNS1_25lookback_scan_determinismE0ELb0ES3_N6thrust23THRUST_200600_302600_NS16reverse_iteratorIPKiEESD_NSA_IPiEEiN6hipcub16HIPCUB_304000_NS3MaxENSH_8EqualityEiEE10hipError_tPvRmT2_T3_T4_T5_mT6_T7_P12ihipStream_tbENKUlT_T0_E_clISt17integral_constantIbLb0EESZ_IbLb1EEEEDaSV_SW_EUlSV_E_NS1_11comp_targetILNS1_3genE5ELNS1_11target_archE942ELNS1_3gpuE9ELNS1_3repE0EEENS1_30default_config_static_selectorELNS0_4arch9wavefront6targetE0EEEvT1_,"axG",@progbits,_ZN7rocprim17ROCPRIM_400000_NS6detail17trampoline_kernelINS0_14default_configENS1_27scan_by_key_config_selectorIiiEEZZNS1_16scan_by_key_implILNS1_25lookback_scan_determinismE0ELb0ES3_N6thrust23THRUST_200600_302600_NS16reverse_iteratorIPKiEESD_NSA_IPiEEiN6hipcub16HIPCUB_304000_NS3MaxENSH_8EqualityEiEE10hipError_tPvRmT2_T3_T4_T5_mT6_T7_P12ihipStream_tbENKUlT_T0_E_clISt17integral_constantIbLb0EESZ_IbLb1EEEEDaSV_SW_EUlSV_E_NS1_11comp_targetILNS1_3genE5ELNS1_11target_archE942ELNS1_3gpuE9ELNS1_3repE0EEENS1_30default_config_static_selectorELNS0_4arch9wavefront6targetE0EEEvT1_,comdat
.Lfunc_end85:
	.size	_ZN7rocprim17ROCPRIM_400000_NS6detail17trampoline_kernelINS0_14default_configENS1_27scan_by_key_config_selectorIiiEEZZNS1_16scan_by_key_implILNS1_25lookback_scan_determinismE0ELb0ES3_N6thrust23THRUST_200600_302600_NS16reverse_iteratorIPKiEESD_NSA_IPiEEiN6hipcub16HIPCUB_304000_NS3MaxENSH_8EqualityEiEE10hipError_tPvRmT2_T3_T4_T5_mT6_T7_P12ihipStream_tbENKUlT_T0_E_clISt17integral_constantIbLb0EESZ_IbLb1EEEEDaSV_SW_EUlSV_E_NS1_11comp_targetILNS1_3genE5ELNS1_11target_archE942ELNS1_3gpuE9ELNS1_3repE0EEENS1_30default_config_static_selectorELNS0_4arch9wavefront6targetE0EEEvT1_, .Lfunc_end85-_ZN7rocprim17ROCPRIM_400000_NS6detail17trampoline_kernelINS0_14default_configENS1_27scan_by_key_config_selectorIiiEEZZNS1_16scan_by_key_implILNS1_25lookback_scan_determinismE0ELb0ES3_N6thrust23THRUST_200600_302600_NS16reverse_iteratorIPKiEESD_NSA_IPiEEiN6hipcub16HIPCUB_304000_NS3MaxENSH_8EqualityEiEE10hipError_tPvRmT2_T3_T4_T5_mT6_T7_P12ihipStream_tbENKUlT_T0_E_clISt17integral_constantIbLb0EESZ_IbLb1EEEEDaSV_SW_EUlSV_E_NS1_11comp_targetILNS1_3genE5ELNS1_11target_archE942ELNS1_3gpuE9ELNS1_3repE0EEENS1_30default_config_static_selectorELNS0_4arch9wavefront6targetE0EEEvT1_
                                        ; -- End function
	.set _ZN7rocprim17ROCPRIM_400000_NS6detail17trampoline_kernelINS0_14default_configENS1_27scan_by_key_config_selectorIiiEEZZNS1_16scan_by_key_implILNS1_25lookback_scan_determinismE0ELb0ES3_N6thrust23THRUST_200600_302600_NS16reverse_iteratorIPKiEESD_NSA_IPiEEiN6hipcub16HIPCUB_304000_NS3MaxENSH_8EqualityEiEE10hipError_tPvRmT2_T3_T4_T5_mT6_T7_P12ihipStream_tbENKUlT_T0_E_clISt17integral_constantIbLb0EESZ_IbLb1EEEEDaSV_SW_EUlSV_E_NS1_11comp_targetILNS1_3genE5ELNS1_11target_archE942ELNS1_3gpuE9ELNS1_3repE0EEENS1_30default_config_static_selectorELNS0_4arch9wavefront6targetE0EEEvT1_.num_vgpr, 0
	.set _ZN7rocprim17ROCPRIM_400000_NS6detail17trampoline_kernelINS0_14default_configENS1_27scan_by_key_config_selectorIiiEEZZNS1_16scan_by_key_implILNS1_25lookback_scan_determinismE0ELb0ES3_N6thrust23THRUST_200600_302600_NS16reverse_iteratorIPKiEESD_NSA_IPiEEiN6hipcub16HIPCUB_304000_NS3MaxENSH_8EqualityEiEE10hipError_tPvRmT2_T3_T4_T5_mT6_T7_P12ihipStream_tbENKUlT_T0_E_clISt17integral_constantIbLb0EESZ_IbLb1EEEEDaSV_SW_EUlSV_E_NS1_11comp_targetILNS1_3genE5ELNS1_11target_archE942ELNS1_3gpuE9ELNS1_3repE0EEENS1_30default_config_static_selectorELNS0_4arch9wavefront6targetE0EEEvT1_.num_agpr, 0
	.set _ZN7rocprim17ROCPRIM_400000_NS6detail17trampoline_kernelINS0_14default_configENS1_27scan_by_key_config_selectorIiiEEZZNS1_16scan_by_key_implILNS1_25lookback_scan_determinismE0ELb0ES3_N6thrust23THRUST_200600_302600_NS16reverse_iteratorIPKiEESD_NSA_IPiEEiN6hipcub16HIPCUB_304000_NS3MaxENSH_8EqualityEiEE10hipError_tPvRmT2_T3_T4_T5_mT6_T7_P12ihipStream_tbENKUlT_T0_E_clISt17integral_constantIbLb0EESZ_IbLb1EEEEDaSV_SW_EUlSV_E_NS1_11comp_targetILNS1_3genE5ELNS1_11target_archE942ELNS1_3gpuE9ELNS1_3repE0EEENS1_30default_config_static_selectorELNS0_4arch9wavefront6targetE0EEEvT1_.numbered_sgpr, 0
	.set _ZN7rocprim17ROCPRIM_400000_NS6detail17trampoline_kernelINS0_14default_configENS1_27scan_by_key_config_selectorIiiEEZZNS1_16scan_by_key_implILNS1_25lookback_scan_determinismE0ELb0ES3_N6thrust23THRUST_200600_302600_NS16reverse_iteratorIPKiEESD_NSA_IPiEEiN6hipcub16HIPCUB_304000_NS3MaxENSH_8EqualityEiEE10hipError_tPvRmT2_T3_T4_T5_mT6_T7_P12ihipStream_tbENKUlT_T0_E_clISt17integral_constantIbLb0EESZ_IbLb1EEEEDaSV_SW_EUlSV_E_NS1_11comp_targetILNS1_3genE5ELNS1_11target_archE942ELNS1_3gpuE9ELNS1_3repE0EEENS1_30default_config_static_selectorELNS0_4arch9wavefront6targetE0EEEvT1_.num_named_barrier, 0
	.set _ZN7rocprim17ROCPRIM_400000_NS6detail17trampoline_kernelINS0_14default_configENS1_27scan_by_key_config_selectorIiiEEZZNS1_16scan_by_key_implILNS1_25lookback_scan_determinismE0ELb0ES3_N6thrust23THRUST_200600_302600_NS16reverse_iteratorIPKiEESD_NSA_IPiEEiN6hipcub16HIPCUB_304000_NS3MaxENSH_8EqualityEiEE10hipError_tPvRmT2_T3_T4_T5_mT6_T7_P12ihipStream_tbENKUlT_T0_E_clISt17integral_constantIbLb0EESZ_IbLb1EEEEDaSV_SW_EUlSV_E_NS1_11comp_targetILNS1_3genE5ELNS1_11target_archE942ELNS1_3gpuE9ELNS1_3repE0EEENS1_30default_config_static_selectorELNS0_4arch9wavefront6targetE0EEEvT1_.private_seg_size, 0
	.set _ZN7rocprim17ROCPRIM_400000_NS6detail17trampoline_kernelINS0_14default_configENS1_27scan_by_key_config_selectorIiiEEZZNS1_16scan_by_key_implILNS1_25lookback_scan_determinismE0ELb0ES3_N6thrust23THRUST_200600_302600_NS16reverse_iteratorIPKiEESD_NSA_IPiEEiN6hipcub16HIPCUB_304000_NS3MaxENSH_8EqualityEiEE10hipError_tPvRmT2_T3_T4_T5_mT6_T7_P12ihipStream_tbENKUlT_T0_E_clISt17integral_constantIbLb0EESZ_IbLb1EEEEDaSV_SW_EUlSV_E_NS1_11comp_targetILNS1_3genE5ELNS1_11target_archE942ELNS1_3gpuE9ELNS1_3repE0EEENS1_30default_config_static_selectorELNS0_4arch9wavefront6targetE0EEEvT1_.uses_vcc, 0
	.set _ZN7rocprim17ROCPRIM_400000_NS6detail17trampoline_kernelINS0_14default_configENS1_27scan_by_key_config_selectorIiiEEZZNS1_16scan_by_key_implILNS1_25lookback_scan_determinismE0ELb0ES3_N6thrust23THRUST_200600_302600_NS16reverse_iteratorIPKiEESD_NSA_IPiEEiN6hipcub16HIPCUB_304000_NS3MaxENSH_8EqualityEiEE10hipError_tPvRmT2_T3_T4_T5_mT6_T7_P12ihipStream_tbENKUlT_T0_E_clISt17integral_constantIbLb0EESZ_IbLb1EEEEDaSV_SW_EUlSV_E_NS1_11comp_targetILNS1_3genE5ELNS1_11target_archE942ELNS1_3gpuE9ELNS1_3repE0EEENS1_30default_config_static_selectorELNS0_4arch9wavefront6targetE0EEEvT1_.uses_flat_scratch, 0
	.set _ZN7rocprim17ROCPRIM_400000_NS6detail17trampoline_kernelINS0_14default_configENS1_27scan_by_key_config_selectorIiiEEZZNS1_16scan_by_key_implILNS1_25lookback_scan_determinismE0ELb0ES3_N6thrust23THRUST_200600_302600_NS16reverse_iteratorIPKiEESD_NSA_IPiEEiN6hipcub16HIPCUB_304000_NS3MaxENSH_8EqualityEiEE10hipError_tPvRmT2_T3_T4_T5_mT6_T7_P12ihipStream_tbENKUlT_T0_E_clISt17integral_constantIbLb0EESZ_IbLb1EEEEDaSV_SW_EUlSV_E_NS1_11comp_targetILNS1_3genE5ELNS1_11target_archE942ELNS1_3gpuE9ELNS1_3repE0EEENS1_30default_config_static_selectorELNS0_4arch9wavefront6targetE0EEEvT1_.has_dyn_sized_stack, 0
	.set _ZN7rocprim17ROCPRIM_400000_NS6detail17trampoline_kernelINS0_14default_configENS1_27scan_by_key_config_selectorIiiEEZZNS1_16scan_by_key_implILNS1_25lookback_scan_determinismE0ELb0ES3_N6thrust23THRUST_200600_302600_NS16reverse_iteratorIPKiEESD_NSA_IPiEEiN6hipcub16HIPCUB_304000_NS3MaxENSH_8EqualityEiEE10hipError_tPvRmT2_T3_T4_T5_mT6_T7_P12ihipStream_tbENKUlT_T0_E_clISt17integral_constantIbLb0EESZ_IbLb1EEEEDaSV_SW_EUlSV_E_NS1_11comp_targetILNS1_3genE5ELNS1_11target_archE942ELNS1_3gpuE9ELNS1_3repE0EEENS1_30default_config_static_selectorELNS0_4arch9wavefront6targetE0EEEvT1_.has_recursion, 0
	.set _ZN7rocprim17ROCPRIM_400000_NS6detail17trampoline_kernelINS0_14default_configENS1_27scan_by_key_config_selectorIiiEEZZNS1_16scan_by_key_implILNS1_25lookback_scan_determinismE0ELb0ES3_N6thrust23THRUST_200600_302600_NS16reverse_iteratorIPKiEESD_NSA_IPiEEiN6hipcub16HIPCUB_304000_NS3MaxENSH_8EqualityEiEE10hipError_tPvRmT2_T3_T4_T5_mT6_T7_P12ihipStream_tbENKUlT_T0_E_clISt17integral_constantIbLb0EESZ_IbLb1EEEEDaSV_SW_EUlSV_E_NS1_11comp_targetILNS1_3genE5ELNS1_11target_archE942ELNS1_3gpuE9ELNS1_3repE0EEENS1_30default_config_static_selectorELNS0_4arch9wavefront6targetE0EEEvT1_.has_indirect_call, 0
	.section	.AMDGPU.csdata,"",@progbits
; Kernel info:
; codeLenInByte = 0
; TotalNumSgprs: 0
; NumVgprs: 0
; ScratchSize: 0
; MemoryBound: 0
; FloatMode: 240
; IeeeMode: 1
; LDSByteSize: 0 bytes/workgroup (compile time only)
; SGPRBlocks: 0
; VGPRBlocks: 0
; NumSGPRsForWavesPerEU: 1
; NumVGPRsForWavesPerEU: 1
; Occupancy: 16
; WaveLimiterHint : 0
; COMPUTE_PGM_RSRC2:SCRATCH_EN: 0
; COMPUTE_PGM_RSRC2:USER_SGPR: 6
; COMPUTE_PGM_RSRC2:TRAP_HANDLER: 0
; COMPUTE_PGM_RSRC2:TGID_X_EN: 1
; COMPUTE_PGM_RSRC2:TGID_Y_EN: 0
; COMPUTE_PGM_RSRC2:TGID_Z_EN: 0
; COMPUTE_PGM_RSRC2:TIDIG_COMP_CNT: 0
	.section	.text._ZN7rocprim17ROCPRIM_400000_NS6detail17trampoline_kernelINS0_14default_configENS1_27scan_by_key_config_selectorIiiEEZZNS1_16scan_by_key_implILNS1_25lookback_scan_determinismE0ELb0ES3_N6thrust23THRUST_200600_302600_NS16reverse_iteratorIPKiEESD_NSA_IPiEEiN6hipcub16HIPCUB_304000_NS3MaxENSH_8EqualityEiEE10hipError_tPvRmT2_T3_T4_T5_mT6_T7_P12ihipStream_tbENKUlT_T0_E_clISt17integral_constantIbLb0EESZ_IbLb1EEEEDaSV_SW_EUlSV_E_NS1_11comp_targetILNS1_3genE4ELNS1_11target_archE910ELNS1_3gpuE8ELNS1_3repE0EEENS1_30default_config_static_selectorELNS0_4arch9wavefront6targetE0EEEvT1_,"axG",@progbits,_ZN7rocprim17ROCPRIM_400000_NS6detail17trampoline_kernelINS0_14default_configENS1_27scan_by_key_config_selectorIiiEEZZNS1_16scan_by_key_implILNS1_25lookback_scan_determinismE0ELb0ES3_N6thrust23THRUST_200600_302600_NS16reverse_iteratorIPKiEESD_NSA_IPiEEiN6hipcub16HIPCUB_304000_NS3MaxENSH_8EqualityEiEE10hipError_tPvRmT2_T3_T4_T5_mT6_T7_P12ihipStream_tbENKUlT_T0_E_clISt17integral_constantIbLb0EESZ_IbLb1EEEEDaSV_SW_EUlSV_E_NS1_11comp_targetILNS1_3genE4ELNS1_11target_archE910ELNS1_3gpuE8ELNS1_3repE0EEENS1_30default_config_static_selectorELNS0_4arch9wavefront6targetE0EEEvT1_,comdat
	.protected	_ZN7rocprim17ROCPRIM_400000_NS6detail17trampoline_kernelINS0_14default_configENS1_27scan_by_key_config_selectorIiiEEZZNS1_16scan_by_key_implILNS1_25lookback_scan_determinismE0ELb0ES3_N6thrust23THRUST_200600_302600_NS16reverse_iteratorIPKiEESD_NSA_IPiEEiN6hipcub16HIPCUB_304000_NS3MaxENSH_8EqualityEiEE10hipError_tPvRmT2_T3_T4_T5_mT6_T7_P12ihipStream_tbENKUlT_T0_E_clISt17integral_constantIbLb0EESZ_IbLb1EEEEDaSV_SW_EUlSV_E_NS1_11comp_targetILNS1_3genE4ELNS1_11target_archE910ELNS1_3gpuE8ELNS1_3repE0EEENS1_30default_config_static_selectorELNS0_4arch9wavefront6targetE0EEEvT1_ ; -- Begin function _ZN7rocprim17ROCPRIM_400000_NS6detail17trampoline_kernelINS0_14default_configENS1_27scan_by_key_config_selectorIiiEEZZNS1_16scan_by_key_implILNS1_25lookback_scan_determinismE0ELb0ES3_N6thrust23THRUST_200600_302600_NS16reverse_iteratorIPKiEESD_NSA_IPiEEiN6hipcub16HIPCUB_304000_NS3MaxENSH_8EqualityEiEE10hipError_tPvRmT2_T3_T4_T5_mT6_T7_P12ihipStream_tbENKUlT_T0_E_clISt17integral_constantIbLb0EESZ_IbLb1EEEEDaSV_SW_EUlSV_E_NS1_11comp_targetILNS1_3genE4ELNS1_11target_archE910ELNS1_3gpuE8ELNS1_3repE0EEENS1_30default_config_static_selectorELNS0_4arch9wavefront6targetE0EEEvT1_
	.globl	_ZN7rocprim17ROCPRIM_400000_NS6detail17trampoline_kernelINS0_14default_configENS1_27scan_by_key_config_selectorIiiEEZZNS1_16scan_by_key_implILNS1_25lookback_scan_determinismE0ELb0ES3_N6thrust23THRUST_200600_302600_NS16reverse_iteratorIPKiEESD_NSA_IPiEEiN6hipcub16HIPCUB_304000_NS3MaxENSH_8EqualityEiEE10hipError_tPvRmT2_T3_T4_T5_mT6_T7_P12ihipStream_tbENKUlT_T0_E_clISt17integral_constantIbLb0EESZ_IbLb1EEEEDaSV_SW_EUlSV_E_NS1_11comp_targetILNS1_3genE4ELNS1_11target_archE910ELNS1_3gpuE8ELNS1_3repE0EEENS1_30default_config_static_selectorELNS0_4arch9wavefront6targetE0EEEvT1_
	.p2align	8
	.type	_ZN7rocprim17ROCPRIM_400000_NS6detail17trampoline_kernelINS0_14default_configENS1_27scan_by_key_config_selectorIiiEEZZNS1_16scan_by_key_implILNS1_25lookback_scan_determinismE0ELb0ES3_N6thrust23THRUST_200600_302600_NS16reverse_iteratorIPKiEESD_NSA_IPiEEiN6hipcub16HIPCUB_304000_NS3MaxENSH_8EqualityEiEE10hipError_tPvRmT2_T3_T4_T5_mT6_T7_P12ihipStream_tbENKUlT_T0_E_clISt17integral_constantIbLb0EESZ_IbLb1EEEEDaSV_SW_EUlSV_E_NS1_11comp_targetILNS1_3genE4ELNS1_11target_archE910ELNS1_3gpuE8ELNS1_3repE0EEENS1_30default_config_static_selectorELNS0_4arch9wavefront6targetE0EEEvT1_,@function
_ZN7rocprim17ROCPRIM_400000_NS6detail17trampoline_kernelINS0_14default_configENS1_27scan_by_key_config_selectorIiiEEZZNS1_16scan_by_key_implILNS1_25lookback_scan_determinismE0ELb0ES3_N6thrust23THRUST_200600_302600_NS16reverse_iteratorIPKiEESD_NSA_IPiEEiN6hipcub16HIPCUB_304000_NS3MaxENSH_8EqualityEiEE10hipError_tPvRmT2_T3_T4_T5_mT6_T7_P12ihipStream_tbENKUlT_T0_E_clISt17integral_constantIbLb0EESZ_IbLb1EEEEDaSV_SW_EUlSV_E_NS1_11comp_targetILNS1_3genE4ELNS1_11target_archE910ELNS1_3gpuE8ELNS1_3repE0EEENS1_30default_config_static_selectorELNS0_4arch9wavefront6targetE0EEEvT1_: ; @_ZN7rocprim17ROCPRIM_400000_NS6detail17trampoline_kernelINS0_14default_configENS1_27scan_by_key_config_selectorIiiEEZZNS1_16scan_by_key_implILNS1_25lookback_scan_determinismE0ELb0ES3_N6thrust23THRUST_200600_302600_NS16reverse_iteratorIPKiEESD_NSA_IPiEEiN6hipcub16HIPCUB_304000_NS3MaxENSH_8EqualityEiEE10hipError_tPvRmT2_T3_T4_T5_mT6_T7_P12ihipStream_tbENKUlT_T0_E_clISt17integral_constantIbLb0EESZ_IbLb1EEEEDaSV_SW_EUlSV_E_NS1_11comp_targetILNS1_3genE4ELNS1_11target_archE910ELNS1_3gpuE8ELNS1_3repE0EEENS1_30default_config_static_selectorELNS0_4arch9wavefront6targetE0EEEvT1_
; %bb.0:
	.section	.rodata,"a",@progbits
	.p2align	6, 0x0
	.amdhsa_kernel _ZN7rocprim17ROCPRIM_400000_NS6detail17trampoline_kernelINS0_14default_configENS1_27scan_by_key_config_selectorIiiEEZZNS1_16scan_by_key_implILNS1_25lookback_scan_determinismE0ELb0ES3_N6thrust23THRUST_200600_302600_NS16reverse_iteratorIPKiEESD_NSA_IPiEEiN6hipcub16HIPCUB_304000_NS3MaxENSH_8EqualityEiEE10hipError_tPvRmT2_T3_T4_T5_mT6_T7_P12ihipStream_tbENKUlT_T0_E_clISt17integral_constantIbLb0EESZ_IbLb1EEEEDaSV_SW_EUlSV_E_NS1_11comp_targetILNS1_3genE4ELNS1_11target_archE910ELNS1_3gpuE8ELNS1_3repE0EEENS1_30default_config_static_selectorELNS0_4arch9wavefront6targetE0EEEvT1_
		.amdhsa_group_segment_fixed_size 0
		.amdhsa_private_segment_fixed_size 0
		.amdhsa_kernarg_size 112
		.amdhsa_user_sgpr_count 6
		.amdhsa_user_sgpr_private_segment_buffer 1
		.amdhsa_user_sgpr_dispatch_ptr 0
		.amdhsa_user_sgpr_queue_ptr 0
		.amdhsa_user_sgpr_kernarg_segment_ptr 1
		.amdhsa_user_sgpr_dispatch_id 0
		.amdhsa_user_sgpr_flat_scratch_init 0
		.amdhsa_user_sgpr_private_segment_size 0
		.amdhsa_wavefront_size32 1
		.amdhsa_uses_dynamic_stack 0
		.amdhsa_system_sgpr_private_segment_wavefront_offset 0
		.amdhsa_system_sgpr_workgroup_id_x 1
		.amdhsa_system_sgpr_workgroup_id_y 0
		.amdhsa_system_sgpr_workgroup_id_z 0
		.amdhsa_system_sgpr_workgroup_info 0
		.amdhsa_system_vgpr_workitem_id 0
		.amdhsa_next_free_vgpr 1
		.amdhsa_next_free_sgpr 1
		.amdhsa_reserve_vcc 0
		.amdhsa_reserve_flat_scratch 0
		.amdhsa_float_round_mode_32 0
		.amdhsa_float_round_mode_16_64 0
		.amdhsa_float_denorm_mode_32 3
		.amdhsa_float_denorm_mode_16_64 3
		.amdhsa_dx10_clamp 1
		.amdhsa_ieee_mode 1
		.amdhsa_fp16_overflow 0
		.amdhsa_workgroup_processor_mode 1
		.amdhsa_memory_ordered 1
		.amdhsa_forward_progress 1
		.amdhsa_shared_vgpr_count 0
		.amdhsa_exception_fp_ieee_invalid_op 0
		.amdhsa_exception_fp_denorm_src 0
		.amdhsa_exception_fp_ieee_div_zero 0
		.amdhsa_exception_fp_ieee_overflow 0
		.amdhsa_exception_fp_ieee_underflow 0
		.amdhsa_exception_fp_ieee_inexact 0
		.amdhsa_exception_int_div_zero 0
	.end_amdhsa_kernel
	.section	.text._ZN7rocprim17ROCPRIM_400000_NS6detail17trampoline_kernelINS0_14default_configENS1_27scan_by_key_config_selectorIiiEEZZNS1_16scan_by_key_implILNS1_25lookback_scan_determinismE0ELb0ES3_N6thrust23THRUST_200600_302600_NS16reverse_iteratorIPKiEESD_NSA_IPiEEiN6hipcub16HIPCUB_304000_NS3MaxENSH_8EqualityEiEE10hipError_tPvRmT2_T3_T4_T5_mT6_T7_P12ihipStream_tbENKUlT_T0_E_clISt17integral_constantIbLb0EESZ_IbLb1EEEEDaSV_SW_EUlSV_E_NS1_11comp_targetILNS1_3genE4ELNS1_11target_archE910ELNS1_3gpuE8ELNS1_3repE0EEENS1_30default_config_static_selectorELNS0_4arch9wavefront6targetE0EEEvT1_,"axG",@progbits,_ZN7rocprim17ROCPRIM_400000_NS6detail17trampoline_kernelINS0_14default_configENS1_27scan_by_key_config_selectorIiiEEZZNS1_16scan_by_key_implILNS1_25lookback_scan_determinismE0ELb0ES3_N6thrust23THRUST_200600_302600_NS16reverse_iteratorIPKiEESD_NSA_IPiEEiN6hipcub16HIPCUB_304000_NS3MaxENSH_8EqualityEiEE10hipError_tPvRmT2_T3_T4_T5_mT6_T7_P12ihipStream_tbENKUlT_T0_E_clISt17integral_constantIbLb0EESZ_IbLb1EEEEDaSV_SW_EUlSV_E_NS1_11comp_targetILNS1_3genE4ELNS1_11target_archE910ELNS1_3gpuE8ELNS1_3repE0EEENS1_30default_config_static_selectorELNS0_4arch9wavefront6targetE0EEEvT1_,comdat
.Lfunc_end86:
	.size	_ZN7rocprim17ROCPRIM_400000_NS6detail17trampoline_kernelINS0_14default_configENS1_27scan_by_key_config_selectorIiiEEZZNS1_16scan_by_key_implILNS1_25lookback_scan_determinismE0ELb0ES3_N6thrust23THRUST_200600_302600_NS16reverse_iteratorIPKiEESD_NSA_IPiEEiN6hipcub16HIPCUB_304000_NS3MaxENSH_8EqualityEiEE10hipError_tPvRmT2_T3_T4_T5_mT6_T7_P12ihipStream_tbENKUlT_T0_E_clISt17integral_constantIbLb0EESZ_IbLb1EEEEDaSV_SW_EUlSV_E_NS1_11comp_targetILNS1_3genE4ELNS1_11target_archE910ELNS1_3gpuE8ELNS1_3repE0EEENS1_30default_config_static_selectorELNS0_4arch9wavefront6targetE0EEEvT1_, .Lfunc_end86-_ZN7rocprim17ROCPRIM_400000_NS6detail17trampoline_kernelINS0_14default_configENS1_27scan_by_key_config_selectorIiiEEZZNS1_16scan_by_key_implILNS1_25lookback_scan_determinismE0ELb0ES3_N6thrust23THRUST_200600_302600_NS16reverse_iteratorIPKiEESD_NSA_IPiEEiN6hipcub16HIPCUB_304000_NS3MaxENSH_8EqualityEiEE10hipError_tPvRmT2_T3_T4_T5_mT6_T7_P12ihipStream_tbENKUlT_T0_E_clISt17integral_constantIbLb0EESZ_IbLb1EEEEDaSV_SW_EUlSV_E_NS1_11comp_targetILNS1_3genE4ELNS1_11target_archE910ELNS1_3gpuE8ELNS1_3repE0EEENS1_30default_config_static_selectorELNS0_4arch9wavefront6targetE0EEEvT1_
                                        ; -- End function
	.set _ZN7rocprim17ROCPRIM_400000_NS6detail17trampoline_kernelINS0_14default_configENS1_27scan_by_key_config_selectorIiiEEZZNS1_16scan_by_key_implILNS1_25lookback_scan_determinismE0ELb0ES3_N6thrust23THRUST_200600_302600_NS16reverse_iteratorIPKiEESD_NSA_IPiEEiN6hipcub16HIPCUB_304000_NS3MaxENSH_8EqualityEiEE10hipError_tPvRmT2_T3_T4_T5_mT6_T7_P12ihipStream_tbENKUlT_T0_E_clISt17integral_constantIbLb0EESZ_IbLb1EEEEDaSV_SW_EUlSV_E_NS1_11comp_targetILNS1_3genE4ELNS1_11target_archE910ELNS1_3gpuE8ELNS1_3repE0EEENS1_30default_config_static_selectorELNS0_4arch9wavefront6targetE0EEEvT1_.num_vgpr, 0
	.set _ZN7rocprim17ROCPRIM_400000_NS6detail17trampoline_kernelINS0_14default_configENS1_27scan_by_key_config_selectorIiiEEZZNS1_16scan_by_key_implILNS1_25lookback_scan_determinismE0ELb0ES3_N6thrust23THRUST_200600_302600_NS16reverse_iteratorIPKiEESD_NSA_IPiEEiN6hipcub16HIPCUB_304000_NS3MaxENSH_8EqualityEiEE10hipError_tPvRmT2_T3_T4_T5_mT6_T7_P12ihipStream_tbENKUlT_T0_E_clISt17integral_constantIbLb0EESZ_IbLb1EEEEDaSV_SW_EUlSV_E_NS1_11comp_targetILNS1_3genE4ELNS1_11target_archE910ELNS1_3gpuE8ELNS1_3repE0EEENS1_30default_config_static_selectorELNS0_4arch9wavefront6targetE0EEEvT1_.num_agpr, 0
	.set _ZN7rocprim17ROCPRIM_400000_NS6detail17trampoline_kernelINS0_14default_configENS1_27scan_by_key_config_selectorIiiEEZZNS1_16scan_by_key_implILNS1_25lookback_scan_determinismE0ELb0ES3_N6thrust23THRUST_200600_302600_NS16reverse_iteratorIPKiEESD_NSA_IPiEEiN6hipcub16HIPCUB_304000_NS3MaxENSH_8EqualityEiEE10hipError_tPvRmT2_T3_T4_T5_mT6_T7_P12ihipStream_tbENKUlT_T0_E_clISt17integral_constantIbLb0EESZ_IbLb1EEEEDaSV_SW_EUlSV_E_NS1_11comp_targetILNS1_3genE4ELNS1_11target_archE910ELNS1_3gpuE8ELNS1_3repE0EEENS1_30default_config_static_selectorELNS0_4arch9wavefront6targetE0EEEvT1_.numbered_sgpr, 0
	.set _ZN7rocprim17ROCPRIM_400000_NS6detail17trampoline_kernelINS0_14default_configENS1_27scan_by_key_config_selectorIiiEEZZNS1_16scan_by_key_implILNS1_25lookback_scan_determinismE0ELb0ES3_N6thrust23THRUST_200600_302600_NS16reverse_iteratorIPKiEESD_NSA_IPiEEiN6hipcub16HIPCUB_304000_NS3MaxENSH_8EqualityEiEE10hipError_tPvRmT2_T3_T4_T5_mT6_T7_P12ihipStream_tbENKUlT_T0_E_clISt17integral_constantIbLb0EESZ_IbLb1EEEEDaSV_SW_EUlSV_E_NS1_11comp_targetILNS1_3genE4ELNS1_11target_archE910ELNS1_3gpuE8ELNS1_3repE0EEENS1_30default_config_static_selectorELNS0_4arch9wavefront6targetE0EEEvT1_.num_named_barrier, 0
	.set _ZN7rocprim17ROCPRIM_400000_NS6detail17trampoline_kernelINS0_14default_configENS1_27scan_by_key_config_selectorIiiEEZZNS1_16scan_by_key_implILNS1_25lookback_scan_determinismE0ELb0ES3_N6thrust23THRUST_200600_302600_NS16reverse_iteratorIPKiEESD_NSA_IPiEEiN6hipcub16HIPCUB_304000_NS3MaxENSH_8EqualityEiEE10hipError_tPvRmT2_T3_T4_T5_mT6_T7_P12ihipStream_tbENKUlT_T0_E_clISt17integral_constantIbLb0EESZ_IbLb1EEEEDaSV_SW_EUlSV_E_NS1_11comp_targetILNS1_3genE4ELNS1_11target_archE910ELNS1_3gpuE8ELNS1_3repE0EEENS1_30default_config_static_selectorELNS0_4arch9wavefront6targetE0EEEvT1_.private_seg_size, 0
	.set _ZN7rocprim17ROCPRIM_400000_NS6detail17trampoline_kernelINS0_14default_configENS1_27scan_by_key_config_selectorIiiEEZZNS1_16scan_by_key_implILNS1_25lookback_scan_determinismE0ELb0ES3_N6thrust23THRUST_200600_302600_NS16reverse_iteratorIPKiEESD_NSA_IPiEEiN6hipcub16HIPCUB_304000_NS3MaxENSH_8EqualityEiEE10hipError_tPvRmT2_T3_T4_T5_mT6_T7_P12ihipStream_tbENKUlT_T0_E_clISt17integral_constantIbLb0EESZ_IbLb1EEEEDaSV_SW_EUlSV_E_NS1_11comp_targetILNS1_3genE4ELNS1_11target_archE910ELNS1_3gpuE8ELNS1_3repE0EEENS1_30default_config_static_selectorELNS0_4arch9wavefront6targetE0EEEvT1_.uses_vcc, 0
	.set _ZN7rocprim17ROCPRIM_400000_NS6detail17trampoline_kernelINS0_14default_configENS1_27scan_by_key_config_selectorIiiEEZZNS1_16scan_by_key_implILNS1_25lookback_scan_determinismE0ELb0ES3_N6thrust23THRUST_200600_302600_NS16reverse_iteratorIPKiEESD_NSA_IPiEEiN6hipcub16HIPCUB_304000_NS3MaxENSH_8EqualityEiEE10hipError_tPvRmT2_T3_T4_T5_mT6_T7_P12ihipStream_tbENKUlT_T0_E_clISt17integral_constantIbLb0EESZ_IbLb1EEEEDaSV_SW_EUlSV_E_NS1_11comp_targetILNS1_3genE4ELNS1_11target_archE910ELNS1_3gpuE8ELNS1_3repE0EEENS1_30default_config_static_selectorELNS0_4arch9wavefront6targetE0EEEvT1_.uses_flat_scratch, 0
	.set _ZN7rocprim17ROCPRIM_400000_NS6detail17trampoline_kernelINS0_14default_configENS1_27scan_by_key_config_selectorIiiEEZZNS1_16scan_by_key_implILNS1_25lookback_scan_determinismE0ELb0ES3_N6thrust23THRUST_200600_302600_NS16reverse_iteratorIPKiEESD_NSA_IPiEEiN6hipcub16HIPCUB_304000_NS3MaxENSH_8EqualityEiEE10hipError_tPvRmT2_T3_T4_T5_mT6_T7_P12ihipStream_tbENKUlT_T0_E_clISt17integral_constantIbLb0EESZ_IbLb1EEEEDaSV_SW_EUlSV_E_NS1_11comp_targetILNS1_3genE4ELNS1_11target_archE910ELNS1_3gpuE8ELNS1_3repE0EEENS1_30default_config_static_selectorELNS0_4arch9wavefront6targetE0EEEvT1_.has_dyn_sized_stack, 0
	.set _ZN7rocprim17ROCPRIM_400000_NS6detail17trampoline_kernelINS0_14default_configENS1_27scan_by_key_config_selectorIiiEEZZNS1_16scan_by_key_implILNS1_25lookback_scan_determinismE0ELb0ES3_N6thrust23THRUST_200600_302600_NS16reverse_iteratorIPKiEESD_NSA_IPiEEiN6hipcub16HIPCUB_304000_NS3MaxENSH_8EqualityEiEE10hipError_tPvRmT2_T3_T4_T5_mT6_T7_P12ihipStream_tbENKUlT_T0_E_clISt17integral_constantIbLb0EESZ_IbLb1EEEEDaSV_SW_EUlSV_E_NS1_11comp_targetILNS1_3genE4ELNS1_11target_archE910ELNS1_3gpuE8ELNS1_3repE0EEENS1_30default_config_static_selectorELNS0_4arch9wavefront6targetE0EEEvT1_.has_recursion, 0
	.set _ZN7rocprim17ROCPRIM_400000_NS6detail17trampoline_kernelINS0_14default_configENS1_27scan_by_key_config_selectorIiiEEZZNS1_16scan_by_key_implILNS1_25lookback_scan_determinismE0ELb0ES3_N6thrust23THRUST_200600_302600_NS16reverse_iteratorIPKiEESD_NSA_IPiEEiN6hipcub16HIPCUB_304000_NS3MaxENSH_8EqualityEiEE10hipError_tPvRmT2_T3_T4_T5_mT6_T7_P12ihipStream_tbENKUlT_T0_E_clISt17integral_constantIbLb0EESZ_IbLb1EEEEDaSV_SW_EUlSV_E_NS1_11comp_targetILNS1_3genE4ELNS1_11target_archE910ELNS1_3gpuE8ELNS1_3repE0EEENS1_30default_config_static_selectorELNS0_4arch9wavefront6targetE0EEEvT1_.has_indirect_call, 0
	.section	.AMDGPU.csdata,"",@progbits
; Kernel info:
; codeLenInByte = 0
; TotalNumSgprs: 0
; NumVgprs: 0
; ScratchSize: 0
; MemoryBound: 0
; FloatMode: 240
; IeeeMode: 1
; LDSByteSize: 0 bytes/workgroup (compile time only)
; SGPRBlocks: 0
; VGPRBlocks: 0
; NumSGPRsForWavesPerEU: 1
; NumVGPRsForWavesPerEU: 1
; Occupancy: 16
; WaveLimiterHint : 0
; COMPUTE_PGM_RSRC2:SCRATCH_EN: 0
; COMPUTE_PGM_RSRC2:USER_SGPR: 6
; COMPUTE_PGM_RSRC2:TRAP_HANDLER: 0
; COMPUTE_PGM_RSRC2:TGID_X_EN: 1
; COMPUTE_PGM_RSRC2:TGID_Y_EN: 0
; COMPUTE_PGM_RSRC2:TGID_Z_EN: 0
; COMPUTE_PGM_RSRC2:TIDIG_COMP_CNT: 0
	.section	.text._ZN7rocprim17ROCPRIM_400000_NS6detail17trampoline_kernelINS0_14default_configENS1_27scan_by_key_config_selectorIiiEEZZNS1_16scan_by_key_implILNS1_25lookback_scan_determinismE0ELb0ES3_N6thrust23THRUST_200600_302600_NS16reverse_iteratorIPKiEESD_NSA_IPiEEiN6hipcub16HIPCUB_304000_NS3MaxENSH_8EqualityEiEE10hipError_tPvRmT2_T3_T4_T5_mT6_T7_P12ihipStream_tbENKUlT_T0_E_clISt17integral_constantIbLb0EESZ_IbLb1EEEEDaSV_SW_EUlSV_E_NS1_11comp_targetILNS1_3genE3ELNS1_11target_archE908ELNS1_3gpuE7ELNS1_3repE0EEENS1_30default_config_static_selectorELNS0_4arch9wavefront6targetE0EEEvT1_,"axG",@progbits,_ZN7rocprim17ROCPRIM_400000_NS6detail17trampoline_kernelINS0_14default_configENS1_27scan_by_key_config_selectorIiiEEZZNS1_16scan_by_key_implILNS1_25lookback_scan_determinismE0ELb0ES3_N6thrust23THRUST_200600_302600_NS16reverse_iteratorIPKiEESD_NSA_IPiEEiN6hipcub16HIPCUB_304000_NS3MaxENSH_8EqualityEiEE10hipError_tPvRmT2_T3_T4_T5_mT6_T7_P12ihipStream_tbENKUlT_T0_E_clISt17integral_constantIbLb0EESZ_IbLb1EEEEDaSV_SW_EUlSV_E_NS1_11comp_targetILNS1_3genE3ELNS1_11target_archE908ELNS1_3gpuE7ELNS1_3repE0EEENS1_30default_config_static_selectorELNS0_4arch9wavefront6targetE0EEEvT1_,comdat
	.protected	_ZN7rocprim17ROCPRIM_400000_NS6detail17trampoline_kernelINS0_14default_configENS1_27scan_by_key_config_selectorIiiEEZZNS1_16scan_by_key_implILNS1_25lookback_scan_determinismE0ELb0ES3_N6thrust23THRUST_200600_302600_NS16reverse_iteratorIPKiEESD_NSA_IPiEEiN6hipcub16HIPCUB_304000_NS3MaxENSH_8EqualityEiEE10hipError_tPvRmT2_T3_T4_T5_mT6_T7_P12ihipStream_tbENKUlT_T0_E_clISt17integral_constantIbLb0EESZ_IbLb1EEEEDaSV_SW_EUlSV_E_NS1_11comp_targetILNS1_3genE3ELNS1_11target_archE908ELNS1_3gpuE7ELNS1_3repE0EEENS1_30default_config_static_selectorELNS0_4arch9wavefront6targetE0EEEvT1_ ; -- Begin function _ZN7rocprim17ROCPRIM_400000_NS6detail17trampoline_kernelINS0_14default_configENS1_27scan_by_key_config_selectorIiiEEZZNS1_16scan_by_key_implILNS1_25lookback_scan_determinismE0ELb0ES3_N6thrust23THRUST_200600_302600_NS16reverse_iteratorIPKiEESD_NSA_IPiEEiN6hipcub16HIPCUB_304000_NS3MaxENSH_8EqualityEiEE10hipError_tPvRmT2_T3_T4_T5_mT6_T7_P12ihipStream_tbENKUlT_T0_E_clISt17integral_constantIbLb0EESZ_IbLb1EEEEDaSV_SW_EUlSV_E_NS1_11comp_targetILNS1_3genE3ELNS1_11target_archE908ELNS1_3gpuE7ELNS1_3repE0EEENS1_30default_config_static_selectorELNS0_4arch9wavefront6targetE0EEEvT1_
	.globl	_ZN7rocprim17ROCPRIM_400000_NS6detail17trampoline_kernelINS0_14default_configENS1_27scan_by_key_config_selectorIiiEEZZNS1_16scan_by_key_implILNS1_25lookback_scan_determinismE0ELb0ES3_N6thrust23THRUST_200600_302600_NS16reverse_iteratorIPKiEESD_NSA_IPiEEiN6hipcub16HIPCUB_304000_NS3MaxENSH_8EqualityEiEE10hipError_tPvRmT2_T3_T4_T5_mT6_T7_P12ihipStream_tbENKUlT_T0_E_clISt17integral_constantIbLb0EESZ_IbLb1EEEEDaSV_SW_EUlSV_E_NS1_11comp_targetILNS1_3genE3ELNS1_11target_archE908ELNS1_3gpuE7ELNS1_3repE0EEENS1_30default_config_static_selectorELNS0_4arch9wavefront6targetE0EEEvT1_
	.p2align	8
	.type	_ZN7rocprim17ROCPRIM_400000_NS6detail17trampoline_kernelINS0_14default_configENS1_27scan_by_key_config_selectorIiiEEZZNS1_16scan_by_key_implILNS1_25lookback_scan_determinismE0ELb0ES3_N6thrust23THRUST_200600_302600_NS16reverse_iteratorIPKiEESD_NSA_IPiEEiN6hipcub16HIPCUB_304000_NS3MaxENSH_8EqualityEiEE10hipError_tPvRmT2_T3_T4_T5_mT6_T7_P12ihipStream_tbENKUlT_T0_E_clISt17integral_constantIbLb0EESZ_IbLb1EEEEDaSV_SW_EUlSV_E_NS1_11comp_targetILNS1_3genE3ELNS1_11target_archE908ELNS1_3gpuE7ELNS1_3repE0EEENS1_30default_config_static_selectorELNS0_4arch9wavefront6targetE0EEEvT1_,@function
_ZN7rocprim17ROCPRIM_400000_NS6detail17trampoline_kernelINS0_14default_configENS1_27scan_by_key_config_selectorIiiEEZZNS1_16scan_by_key_implILNS1_25lookback_scan_determinismE0ELb0ES3_N6thrust23THRUST_200600_302600_NS16reverse_iteratorIPKiEESD_NSA_IPiEEiN6hipcub16HIPCUB_304000_NS3MaxENSH_8EqualityEiEE10hipError_tPvRmT2_T3_T4_T5_mT6_T7_P12ihipStream_tbENKUlT_T0_E_clISt17integral_constantIbLb0EESZ_IbLb1EEEEDaSV_SW_EUlSV_E_NS1_11comp_targetILNS1_3genE3ELNS1_11target_archE908ELNS1_3gpuE7ELNS1_3repE0EEENS1_30default_config_static_selectorELNS0_4arch9wavefront6targetE0EEEvT1_: ; @_ZN7rocprim17ROCPRIM_400000_NS6detail17trampoline_kernelINS0_14default_configENS1_27scan_by_key_config_selectorIiiEEZZNS1_16scan_by_key_implILNS1_25lookback_scan_determinismE0ELb0ES3_N6thrust23THRUST_200600_302600_NS16reverse_iteratorIPKiEESD_NSA_IPiEEiN6hipcub16HIPCUB_304000_NS3MaxENSH_8EqualityEiEE10hipError_tPvRmT2_T3_T4_T5_mT6_T7_P12ihipStream_tbENKUlT_T0_E_clISt17integral_constantIbLb0EESZ_IbLb1EEEEDaSV_SW_EUlSV_E_NS1_11comp_targetILNS1_3genE3ELNS1_11target_archE908ELNS1_3gpuE7ELNS1_3repE0EEENS1_30default_config_static_selectorELNS0_4arch9wavefront6targetE0EEEvT1_
; %bb.0:
	.section	.rodata,"a",@progbits
	.p2align	6, 0x0
	.amdhsa_kernel _ZN7rocprim17ROCPRIM_400000_NS6detail17trampoline_kernelINS0_14default_configENS1_27scan_by_key_config_selectorIiiEEZZNS1_16scan_by_key_implILNS1_25lookback_scan_determinismE0ELb0ES3_N6thrust23THRUST_200600_302600_NS16reverse_iteratorIPKiEESD_NSA_IPiEEiN6hipcub16HIPCUB_304000_NS3MaxENSH_8EqualityEiEE10hipError_tPvRmT2_T3_T4_T5_mT6_T7_P12ihipStream_tbENKUlT_T0_E_clISt17integral_constantIbLb0EESZ_IbLb1EEEEDaSV_SW_EUlSV_E_NS1_11comp_targetILNS1_3genE3ELNS1_11target_archE908ELNS1_3gpuE7ELNS1_3repE0EEENS1_30default_config_static_selectorELNS0_4arch9wavefront6targetE0EEEvT1_
		.amdhsa_group_segment_fixed_size 0
		.amdhsa_private_segment_fixed_size 0
		.amdhsa_kernarg_size 112
		.amdhsa_user_sgpr_count 6
		.amdhsa_user_sgpr_private_segment_buffer 1
		.amdhsa_user_sgpr_dispatch_ptr 0
		.amdhsa_user_sgpr_queue_ptr 0
		.amdhsa_user_sgpr_kernarg_segment_ptr 1
		.amdhsa_user_sgpr_dispatch_id 0
		.amdhsa_user_sgpr_flat_scratch_init 0
		.amdhsa_user_sgpr_private_segment_size 0
		.amdhsa_wavefront_size32 1
		.amdhsa_uses_dynamic_stack 0
		.amdhsa_system_sgpr_private_segment_wavefront_offset 0
		.amdhsa_system_sgpr_workgroup_id_x 1
		.amdhsa_system_sgpr_workgroup_id_y 0
		.amdhsa_system_sgpr_workgroup_id_z 0
		.amdhsa_system_sgpr_workgroup_info 0
		.amdhsa_system_vgpr_workitem_id 0
		.amdhsa_next_free_vgpr 1
		.amdhsa_next_free_sgpr 1
		.amdhsa_reserve_vcc 0
		.amdhsa_reserve_flat_scratch 0
		.amdhsa_float_round_mode_32 0
		.amdhsa_float_round_mode_16_64 0
		.amdhsa_float_denorm_mode_32 3
		.amdhsa_float_denorm_mode_16_64 3
		.amdhsa_dx10_clamp 1
		.amdhsa_ieee_mode 1
		.amdhsa_fp16_overflow 0
		.amdhsa_workgroup_processor_mode 1
		.amdhsa_memory_ordered 1
		.amdhsa_forward_progress 1
		.amdhsa_shared_vgpr_count 0
		.amdhsa_exception_fp_ieee_invalid_op 0
		.amdhsa_exception_fp_denorm_src 0
		.amdhsa_exception_fp_ieee_div_zero 0
		.amdhsa_exception_fp_ieee_overflow 0
		.amdhsa_exception_fp_ieee_underflow 0
		.amdhsa_exception_fp_ieee_inexact 0
		.amdhsa_exception_int_div_zero 0
	.end_amdhsa_kernel
	.section	.text._ZN7rocprim17ROCPRIM_400000_NS6detail17trampoline_kernelINS0_14default_configENS1_27scan_by_key_config_selectorIiiEEZZNS1_16scan_by_key_implILNS1_25lookback_scan_determinismE0ELb0ES3_N6thrust23THRUST_200600_302600_NS16reverse_iteratorIPKiEESD_NSA_IPiEEiN6hipcub16HIPCUB_304000_NS3MaxENSH_8EqualityEiEE10hipError_tPvRmT2_T3_T4_T5_mT6_T7_P12ihipStream_tbENKUlT_T0_E_clISt17integral_constantIbLb0EESZ_IbLb1EEEEDaSV_SW_EUlSV_E_NS1_11comp_targetILNS1_3genE3ELNS1_11target_archE908ELNS1_3gpuE7ELNS1_3repE0EEENS1_30default_config_static_selectorELNS0_4arch9wavefront6targetE0EEEvT1_,"axG",@progbits,_ZN7rocprim17ROCPRIM_400000_NS6detail17trampoline_kernelINS0_14default_configENS1_27scan_by_key_config_selectorIiiEEZZNS1_16scan_by_key_implILNS1_25lookback_scan_determinismE0ELb0ES3_N6thrust23THRUST_200600_302600_NS16reverse_iteratorIPKiEESD_NSA_IPiEEiN6hipcub16HIPCUB_304000_NS3MaxENSH_8EqualityEiEE10hipError_tPvRmT2_T3_T4_T5_mT6_T7_P12ihipStream_tbENKUlT_T0_E_clISt17integral_constantIbLb0EESZ_IbLb1EEEEDaSV_SW_EUlSV_E_NS1_11comp_targetILNS1_3genE3ELNS1_11target_archE908ELNS1_3gpuE7ELNS1_3repE0EEENS1_30default_config_static_selectorELNS0_4arch9wavefront6targetE0EEEvT1_,comdat
.Lfunc_end87:
	.size	_ZN7rocprim17ROCPRIM_400000_NS6detail17trampoline_kernelINS0_14default_configENS1_27scan_by_key_config_selectorIiiEEZZNS1_16scan_by_key_implILNS1_25lookback_scan_determinismE0ELb0ES3_N6thrust23THRUST_200600_302600_NS16reverse_iteratorIPKiEESD_NSA_IPiEEiN6hipcub16HIPCUB_304000_NS3MaxENSH_8EqualityEiEE10hipError_tPvRmT2_T3_T4_T5_mT6_T7_P12ihipStream_tbENKUlT_T0_E_clISt17integral_constantIbLb0EESZ_IbLb1EEEEDaSV_SW_EUlSV_E_NS1_11comp_targetILNS1_3genE3ELNS1_11target_archE908ELNS1_3gpuE7ELNS1_3repE0EEENS1_30default_config_static_selectorELNS0_4arch9wavefront6targetE0EEEvT1_, .Lfunc_end87-_ZN7rocprim17ROCPRIM_400000_NS6detail17trampoline_kernelINS0_14default_configENS1_27scan_by_key_config_selectorIiiEEZZNS1_16scan_by_key_implILNS1_25lookback_scan_determinismE0ELb0ES3_N6thrust23THRUST_200600_302600_NS16reverse_iteratorIPKiEESD_NSA_IPiEEiN6hipcub16HIPCUB_304000_NS3MaxENSH_8EqualityEiEE10hipError_tPvRmT2_T3_T4_T5_mT6_T7_P12ihipStream_tbENKUlT_T0_E_clISt17integral_constantIbLb0EESZ_IbLb1EEEEDaSV_SW_EUlSV_E_NS1_11comp_targetILNS1_3genE3ELNS1_11target_archE908ELNS1_3gpuE7ELNS1_3repE0EEENS1_30default_config_static_selectorELNS0_4arch9wavefront6targetE0EEEvT1_
                                        ; -- End function
	.set _ZN7rocprim17ROCPRIM_400000_NS6detail17trampoline_kernelINS0_14default_configENS1_27scan_by_key_config_selectorIiiEEZZNS1_16scan_by_key_implILNS1_25lookback_scan_determinismE0ELb0ES3_N6thrust23THRUST_200600_302600_NS16reverse_iteratorIPKiEESD_NSA_IPiEEiN6hipcub16HIPCUB_304000_NS3MaxENSH_8EqualityEiEE10hipError_tPvRmT2_T3_T4_T5_mT6_T7_P12ihipStream_tbENKUlT_T0_E_clISt17integral_constantIbLb0EESZ_IbLb1EEEEDaSV_SW_EUlSV_E_NS1_11comp_targetILNS1_3genE3ELNS1_11target_archE908ELNS1_3gpuE7ELNS1_3repE0EEENS1_30default_config_static_selectorELNS0_4arch9wavefront6targetE0EEEvT1_.num_vgpr, 0
	.set _ZN7rocprim17ROCPRIM_400000_NS6detail17trampoline_kernelINS0_14default_configENS1_27scan_by_key_config_selectorIiiEEZZNS1_16scan_by_key_implILNS1_25lookback_scan_determinismE0ELb0ES3_N6thrust23THRUST_200600_302600_NS16reverse_iteratorIPKiEESD_NSA_IPiEEiN6hipcub16HIPCUB_304000_NS3MaxENSH_8EqualityEiEE10hipError_tPvRmT2_T3_T4_T5_mT6_T7_P12ihipStream_tbENKUlT_T0_E_clISt17integral_constantIbLb0EESZ_IbLb1EEEEDaSV_SW_EUlSV_E_NS1_11comp_targetILNS1_3genE3ELNS1_11target_archE908ELNS1_3gpuE7ELNS1_3repE0EEENS1_30default_config_static_selectorELNS0_4arch9wavefront6targetE0EEEvT1_.num_agpr, 0
	.set _ZN7rocprim17ROCPRIM_400000_NS6detail17trampoline_kernelINS0_14default_configENS1_27scan_by_key_config_selectorIiiEEZZNS1_16scan_by_key_implILNS1_25lookback_scan_determinismE0ELb0ES3_N6thrust23THRUST_200600_302600_NS16reverse_iteratorIPKiEESD_NSA_IPiEEiN6hipcub16HIPCUB_304000_NS3MaxENSH_8EqualityEiEE10hipError_tPvRmT2_T3_T4_T5_mT6_T7_P12ihipStream_tbENKUlT_T0_E_clISt17integral_constantIbLb0EESZ_IbLb1EEEEDaSV_SW_EUlSV_E_NS1_11comp_targetILNS1_3genE3ELNS1_11target_archE908ELNS1_3gpuE7ELNS1_3repE0EEENS1_30default_config_static_selectorELNS0_4arch9wavefront6targetE0EEEvT1_.numbered_sgpr, 0
	.set _ZN7rocprim17ROCPRIM_400000_NS6detail17trampoline_kernelINS0_14default_configENS1_27scan_by_key_config_selectorIiiEEZZNS1_16scan_by_key_implILNS1_25lookback_scan_determinismE0ELb0ES3_N6thrust23THRUST_200600_302600_NS16reverse_iteratorIPKiEESD_NSA_IPiEEiN6hipcub16HIPCUB_304000_NS3MaxENSH_8EqualityEiEE10hipError_tPvRmT2_T3_T4_T5_mT6_T7_P12ihipStream_tbENKUlT_T0_E_clISt17integral_constantIbLb0EESZ_IbLb1EEEEDaSV_SW_EUlSV_E_NS1_11comp_targetILNS1_3genE3ELNS1_11target_archE908ELNS1_3gpuE7ELNS1_3repE0EEENS1_30default_config_static_selectorELNS0_4arch9wavefront6targetE0EEEvT1_.num_named_barrier, 0
	.set _ZN7rocprim17ROCPRIM_400000_NS6detail17trampoline_kernelINS0_14default_configENS1_27scan_by_key_config_selectorIiiEEZZNS1_16scan_by_key_implILNS1_25lookback_scan_determinismE0ELb0ES3_N6thrust23THRUST_200600_302600_NS16reverse_iteratorIPKiEESD_NSA_IPiEEiN6hipcub16HIPCUB_304000_NS3MaxENSH_8EqualityEiEE10hipError_tPvRmT2_T3_T4_T5_mT6_T7_P12ihipStream_tbENKUlT_T0_E_clISt17integral_constantIbLb0EESZ_IbLb1EEEEDaSV_SW_EUlSV_E_NS1_11comp_targetILNS1_3genE3ELNS1_11target_archE908ELNS1_3gpuE7ELNS1_3repE0EEENS1_30default_config_static_selectorELNS0_4arch9wavefront6targetE0EEEvT1_.private_seg_size, 0
	.set _ZN7rocprim17ROCPRIM_400000_NS6detail17trampoline_kernelINS0_14default_configENS1_27scan_by_key_config_selectorIiiEEZZNS1_16scan_by_key_implILNS1_25lookback_scan_determinismE0ELb0ES3_N6thrust23THRUST_200600_302600_NS16reverse_iteratorIPKiEESD_NSA_IPiEEiN6hipcub16HIPCUB_304000_NS3MaxENSH_8EqualityEiEE10hipError_tPvRmT2_T3_T4_T5_mT6_T7_P12ihipStream_tbENKUlT_T0_E_clISt17integral_constantIbLb0EESZ_IbLb1EEEEDaSV_SW_EUlSV_E_NS1_11comp_targetILNS1_3genE3ELNS1_11target_archE908ELNS1_3gpuE7ELNS1_3repE0EEENS1_30default_config_static_selectorELNS0_4arch9wavefront6targetE0EEEvT1_.uses_vcc, 0
	.set _ZN7rocprim17ROCPRIM_400000_NS6detail17trampoline_kernelINS0_14default_configENS1_27scan_by_key_config_selectorIiiEEZZNS1_16scan_by_key_implILNS1_25lookback_scan_determinismE0ELb0ES3_N6thrust23THRUST_200600_302600_NS16reverse_iteratorIPKiEESD_NSA_IPiEEiN6hipcub16HIPCUB_304000_NS3MaxENSH_8EqualityEiEE10hipError_tPvRmT2_T3_T4_T5_mT6_T7_P12ihipStream_tbENKUlT_T0_E_clISt17integral_constantIbLb0EESZ_IbLb1EEEEDaSV_SW_EUlSV_E_NS1_11comp_targetILNS1_3genE3ELNS1_11target_archE908ELNS1_3gpuE7ELNS1_3repE0EEENS1_30default_config_static_selectorELNS0_4arch9wavefront6targetE0EEEvT1_.uses_flat_scratch, 0
	.set _ZN7rocprim17ROCPRIM_400000_NS6detail17trampoline_kernelINS0_14default_configENS1_27scan_by_key_config_selectorIiiEEZZNS1_16scan_by_key_implILNS1_25lookback_scan_determinismE0ELb0ES3_N6thrust23THRUST_200600_302600_NS16reverse_iteratorIPKiEESD_NSA_IPiEEiN6hipcub16HIPCUB_304000_NS3MaxENSH_8EqualityEiEE10hipError_tPvRmT2_T3_T4_T5_mT6_T7_P12ihipStream_tbENKUlT_T0_E_clISt17integral_constantIbLb0EESZ_IbLb1EEEEDaSV_SW_EUlSV_E_NS1_11comp_targetILNS1_3genE3ELNS1_11target_archE908ELNS1_3gpuE7ELNS1_3repE0EEENS1_30default_config_static_selectorELNS0_4arch9wavefront6targetE0EEEvT1_.has_dyn_sized_stack, 0
	.set _ZN7rocprim17ROCPRIM_400000_NS6detail17trampoline_kernelINS0_14default_configENS1_27scan_by_key_config_selectorIiiEEZZNS1_16scan_by_key_implILNS1_25lookback_scan_determinismE0ELb0ES3_N6thrust23THRUST_200600_302600_NS16reverse_iteratorIPKiEESD_NSA_IPiEEiN6hipcub16HIPCUB_304000_NS3MaxENSH_8EqualityEiEE10hipError_tPvRmT2_T3_T4_T5_mT6_T7_P12ihipStream_tbENKUlT_T0_E_clISt17integral_constantIbLb0EESZ_IbLb1EEEEDaSV_SW_EUlSV_E_NS1_11comp_targetILNS1_3genE3ELNS1_11target_archE908ELNS1_3gpuE7ELNS1_3repE0EEENS1_30default_config_static_selectorELNS0_4arch9wavefront6targetE0EEEvT1_.has_recursion, 0
	.set _ZN7rocprim17ROCPRIM_400000_NS6detail17trampoline_kernelINS0_14default_configENS1_27scan_by_key_config_selectorIiiEEZZNS1_16scan_by_key_implILNS1_25lookback_scan_determinismE0ELb0ES3_N6thrust23THRUST_200600_302600_NS16reverse_iteratorIPKiEESD_NSA_IPiEEiN6hipcub16HIPCUB_304000_NS3MaxENSH_8EqualityEiEE10hipError_tPvRmT2_T3_T4_T5_mT6_T7_P12ihipStream_tbENKUlT_T0_E_clISt17integral_constantIbLb0EESZ_IbLb1EEEEDaSV_SW_EUlSV_E_NS1_11comp_targetILNS1_3genE3ELNS1_11target_archE908ELNS1_3gpuE7ELNS1_3repE0EEENS1_30default_config_static_selectorELNS0_4arch9wavefront6targetE0EEEvT1_.has_indirect_call, 0
	.section	.AMDGPU.csdata,"",@progbits
; Kernel info:
; codeLenInByte = 0
; TotalNumSgprs: 0
; NumVgprs: 0
; ScratchSize: 0
; MemoryBound: 0
; FloatMode: 240
; IeeeMode: 1
; LDSByteSize: 0 bytes/workgroup (compile time only)
; SGPRBlocks: 0
; VGPRBlocks: 0
; NumSGPRsForWavesPerEU: 1
; NumVGPRsForWavesPerEU: 1
; Occupancy: 16
; WaveLimiterHint : 0
; COMPUTE_PGM_RSRC2:SCRATCH_EN: 0
; COMPUTE_PGM_RSRC2:USER_SGPR: 6
; COMPUTE_PGM_RSRC2:TRAP_HANDLER: 0
; COMPUTE_PGM_RSRC2:TGID_X_EN: 1
; COMPUTE_PGM_RSRC2:TGID_Y_EN: 0
; COMPUTE_PGM_RSRC2:TGID_Z_EN: 0
; COMPUTE_PGM_RSRC2:TIDIG_COMP_CNT: 0
	.section	.text._ZN7rocprim17ROCPRIM_400000_NS6detail17trampoline_kernelINS0_14default_configENS1_27scan_by_key_config_selectorIiiEEZZNS1_16scan_by_key_implILNS1_25lookback_scan_determinismE0ELb0ES3_N6thrust23THRUST_200600_302600_NS16reverse_iteratorIPKiEESD_NSA_IPiEEiN6hipcub16HIPCUB_304000_NS3MaxENSH_8EqualityEiEE10hipError_tPvRmT2_T3_T4_T5_mT6_T7_P12ihipStream_tbENKUlT_T0_E_clISt17integral_constantIbLb0EESZ_IbLb1EEEEDaSV_SW_EUlSV_E_NS1_11comp_targetILNS1_3genE2ELNS1_11target_archE906ELNS1_3gpuE6ELNS1_3repE0EEENS1_30default_config_static_selectorELNS0_4arch9wavefront6targetE0EEEvT1_,"axG",@progbits,_ZN7rocprim17ROCPRIM_400000_NS6detail17trampoline_kernelINS0_14default_configENS1_27scan_by_key_config_selectorIiiEEZZNS1_16scan_by_key_implILNS1_25lookback_scan_determinismE0ELb0ES3_N6thrust23THRUST_200600_302600_NS16reverse_iteratorIPKiEESD_NSA_IPiEEiN6hipcub16HIPCUB_304000_NS3MaxENSH_8EqualityEiEE10hipError_tPvRmT2_T3_T4_T5_mT6_T7_P12ihipStream_tbENKUlT_T0_E_clISt17integral_constantIbLb0EESZ_IbLb1EEEEDaSV_SW_EUlSV_E_NS1_11comp_targetILNS1_3genE2ELNS1_11target_archE906ELNS1_3gpuE6ELNS1_3repE0EEENS1_30default_config_static_selectorELNS0_4arch9wavefront6targetE0EEEvT1_,comdat
	.protected	_ZN7rocprim17ROCPRIM_400000_NS6detail17trampoline_kernelINS0_14default_configENS1_27scan_by_key_config_selectorIiiEEZZNS1_16scan_by_key_implILNS1_25lookback_scan_determinismE0ELb0ES3_N6thrust23THRUST_200600_302600_NS16reverse_iteratorIPKiEESD_NSA_IPiEEiN6hipcub16HIPCUB_304000_NS3MaxENSH_8EqualityEiEE10hipError_tPvRmT2_T3_T4_T5_mT6_T7_P12ihipStream_tbENKUlT_T0_E_clISt17integral_constantIbLb0EESZ_IbLb1EEEEDaSV_SW_EUlSV_E_NS1_11comp_targetILNS1_3genE2ELNS1_11target_archE906ELNS1_3gpuE6ELNS1_3repE0EEENS1_30default_config_static_selectorELNS0_4arch9wavefront6targetE0EEEvT1_ ; -- Begin function _ZN7rocprim17ROCPRIM_400000_NS6detail17trampoline_kernelINS0_14default_configENS1_27scan_by_key_config_selectorIiiEEZZNS1_16scan_by_key_implILNS1_25lookback_scan_determinismE0ELb0ES3_N6thrust23THRUST_200600_302600_NS16reverse_iteratorIPKiEESD_NSA_IPiEEiN6hipcub16HIPCUB_304000_NS3MaxENSH_8EqualityEiEE10hipError_tPvRmT2_T3_T4_T5_mT6_T7_P12ihipStream_tbENKUlT_T0_E_clISt17integral_constantIbLb0EESZ_IbLb1EEEEDaSV_SW_EUlSV_E_NS1_11comp_targetILNS1_3genE2ELNS1_11target_archE906ELNS1_3gpuE6ELNS1_3repE0EEENS1_30default_config_static_selectorELNS0_4arch9wavefront6targetE0EEEvT1_
	.globl	_ZN7rocprim17ROCPRIM_400000_NS6detail17trampoline_kernelINS0_14default_configENS1_27scan_by_key_config_selectorIiiEEZZNS1_16scan_by_key_implILNS1_25lookback_scan_determinismE0ELb0ES3_N6thrust23THRUST_200600_302600_NS16reverse_iteratorIPKiEESD_NSA_IPiEEiN6hipcub16HIPCUB_304000_NS3MaxENSH_8EqualityEiEE10hipError_tPvRmT2_T3_T4_T5_mT6_T7_P12ihipStream_tbENKUlT_T0_E_clISt17integral_constantIbLb0EESZ_IbLb1EEEEDaSV_SW_EUlSV_E_NS1_11comp_targetILNS1_3genE2ELNS1_11target_archE906ELNS1_3gpuE6ELNS1_3repE0EEENS1_30default_config_static_selectorELNS0_4arch9wavefront6targetE0EEEvT1_
	.p2align	8
	.type	_ZN7rocprim17ROCPRIM_400000_NS6detail17trampoline_kernelINS0_14default_configENS1_27scan_by_key_config_selectorIiiEEZZNS1_16scan_by_key_implILNS1_25lookback_scan_determinismE0ELb0ES3_N6thrust23THRUST_200600_302600_NS16reverse_iteratorIPKiEESD_NSA_IPiEEiN6hipcub16HIPCUB_304000_NS3MaxENSH_8EqualityEiEE10hipError_tPvRmT2_T3_T4_T5_mT6_T7_P12ihipStream_tbENKUlT_T0_E_clISt17integral_constantIbLb0EESZ_IbLb1EEEEDaSV_SW_EUlSV_E_NS1_11comp_targetILNS1_3genE2ELNS1_11target_archE906ELNS1_3gpuE6ELNS1_3repE0EEENS1_30default_config_static_selectorELNS0_4arch9wavefront6targetE0EEEvT1_,@function
_ZN7rocprim17ROCPRIM_400000_NS6detail17trampoline_kernelINS0_14default_configENS1_27scan_by_key_config_selectorIiiEEZZNS1_16scan_by_key_implILNS1_25lookback_scan_determinismE0ELb0ES3_N6thrust23THRUST_200600_302600_NS16reverse_iteratorIPKiEESD_NSA_IPiEEiN6hipcub16HIPCUB_304000_NS3MaxENSH_8EqualityEiEE10hipError_tPvRmT2_T3_T4_T5_mT6_T7_P12ihipStream_tbENKUlT_T0_E_clISt17integral_constantIbLb0EESZ_IbLb1EEEEDaSV_SW_EUlSV_E_NS1_11comp_targetILNS1_3genE2ELNS1_11target_archE906ELNS1_3gpuE6ELNS1_3repE0EEENS1_30default_config_static_selectorELNS0_4arch9wavefront6targetE0EEEvT1_: ; @_ZN7rocprim17ROCPRIM_400000_NS6detail17trampoline_kernelINS0_14default_configENS1_27scan_by_key_config_selectorIiiEEZZNS1_16scan_by_key_implILNS1_25lookback_scan_determinismE0ELb0ES3_N6thrust23THRUST_200600_302600_NS16reverse_iteratorIPKiEESD_NSA_IPiEEiN6hipcub16HIPCUB_304000_NS3MaxENSH_8EqualityEiEE10hipError_tPvRmT2_T3_T4_T5_mT6_T7_P12ihipStream_tbENKUlT_T0_E_clISt17integral_constantIbLb0EESZ_IbLb1EEEEDaSV_SW_EUlSV_E_NS1_11comp_targetILNS1_3genE2ELNS1_11target_archE906ELNS1_3gpuE6ELNS1_3repE0EEENS1_30default_config_static_selectorELNS0_4arch9wavefront6targetE0EEEvT1_
; %bb.0:
	.section	.rodata,"a",@progbits
	.p2align	6, 0x0
	.amdhsa_kernel _ZN7rocprim17ROCPRIM_400000_NS6detail17trampoline_kernelINS0_14default_configENS1_27scan_by_key_config_selectorIiiEEZZNS1_16scan_by_key_implILNS1_25lookback_scan_determinismE0ELb0ES3_N6thrust23THRUST_200600_302600_NS16reverse_iteratorIPKiEESD_NSA_IPiEEiN6hipcub16HIPCUB_304000_NS3MaxENSH_8EqualityEiEE10hipError_tPvRmT2_T3_T4_T5_mT6_T7_P12ihipStream_tbENKUlT_T0_E_clISt17integral_constantIbLb0EESZ_IbLb1EEEEDaSV_SW_EUlSV_E_NS1_11comp_targetILNS1_3genE2ELNS1_11target_archE906ELNS1_3gpuE6ELNS1_3repE0EEENS1_30default_config_static_selectorELNS0_4arch9wavefront6targetE0EEEvT1_
		.amdhsa_group_segment_fixed_size 0
		.amdhsa_private_segment_fixed_size 0
		.amdhsa_kernarg_size 112
		.amdhsa_user_sgpr_count 6
		.amdhsa_user_sgpr_private_segment_buffer 1
		.amdhsa_user_sgpr_dispatch_ptr 0
		.amdhsa_user_sgpr_queue_ptr 0
		.amdhsa_user_sgpr_kernarg_segment_ptr 1
		.amdhsa_user_sgpr_dispatch_id 0
		.amdhsa_user_sgpr_flat_scratch_init 0
		.amdhsa_user_sgpr_private_segment_size 0
		.amdhsa_wavefront_size32 1
		.amdhsa_uses_dynamic_stack 0
		.amdhsa_system_sgpr_private_segment_wavefront_offset 0
		.amdhsa_system_sgpr_workgroup_id_x 1
		.amdhsa_system_sgpr_workgroup_id_y 0
		.amdhsa_system_sgpr_workgroup_id_z 0
		.amdhsa_system_sgpr_workgroup_info 0
		.amdhsa_system_vgpr_workitem_id 0
		.amdhsa_next_free_vgpr 1
		.amdhsa_next_free_sgpr 1
		.amdhsa_reserve_vcc 0
		.amdhsa_reserve_flat_scratch 0
		.amdhsa_float_round_mode_32 0
		.amdhsa_float_round_mode_16_64 0
		.amdhsa_float_denorm_mode_32 3
		.amdhsa_float_denorm_mode_16_64 3
		.amdhsa_dx10_clamp 1
		.amdhsa_ieee_mode 1
		.amdhsa_fp16_overflow 0
		.amdhsa_workgroup_processor_mode 1
		.amdhsa_memory_ordered 1
		.amdhsa_forward_progress 1
		.amdhsa_shared_vgpr_count 0
		.amdhsa_exception_fp_ieee_invalid_op 0
		.amdhsa_exception_fp_denorm_src 0
		.amdhsa_exception_fp_ieee_div_zero 0
		.amdhsa_exception_fp_ieee_overflow 0
		.amdhsa_exception_fp_ieee_underflow 0
		.amdhsa_exception_fp_ieee_inexact 0
		.amdhsa_exception_int_div_zero 0
	.end_amdhsa_kernel
	.section	.text._ZN7rocprim17ROCPRIM_400000_NS6detail17trampoline_kernelINS0_14default_configENS1_27scan_by_key_config_selectorIiiEEZZNS1_16scan_by_key_implILNS1_25lookback_scan_determinismE0ELb0ES3_N6thrust23THRUST_200600_302600_NS16reverse_iteratorIPKiEESD_NSA_IPiEEiN6hipcub16HIPCUB_304000_NS3MaxENSH_8EqualityEiEE10hipError_tPvRmT2_T3_T4_T5_mT6_T7_P12ihipStream_tbENKUlT_T0_E_clISt17integral_constantIbLb0EESZ_IbLb1EEEEDaSV_SW_EUlSV_E_NS1_11comp_targetILNS1_3genE2ELNS1_11target_archE906ELNS1_3gpuE6ELNS1_3repE0EEENS1_30default_config_static_selectorELNS0_4arch9wavefront6targetE0EEEvT1_,"axG",@progbits,_ZN7rocprim17ROCPRIM_400000_NS6detail17trampoline_kernelINS0_14default_configENS1_27scan_by_key_config_selectorIiiEEZZNS1_16scan_by_key_implILNS1_25lookback_scan_determinismE0ELb0ES3_N6thrust23THRUST_200600_302600_NS16reverse_iteratorIPKiEESD_NSA_IPiEEiN6hipcub16HIPCUB_304000_NS3MaxENSH_8EqualityEiEE10hipError_tPvRmT2_T3_T4_T5_mT6_T7_P12ihipStream_tbENKUlT_T0_E_clISt17integral_constantIbLb0EESZ_IbLb1EEEEDaSV_SW_EUlSV_E_NS1_11comp_targetILNS1_3genE2ELNS1_11target_archE906ELNS1_3gpuE6ELNS1_3repE0EEENS1_30default_config_static_selectorELNS0_4arch9wavefront6targetE0EEEvT1_,comdat
.Lfunc_end88:
	.size	_ZN7rocprim17ROCPRIM_400000_NS6detail17trampoline_kernelINS0_14default_configENS1_27scan_by_key_config_selectorIiiEEZZNS1_16scan_by_key_implILNS1_25lookback_scan_determinismE0ELb0ES3_N6thrust23THRUST_200600_302600_NS16reverse_iteratorIPKiEESD_NSA_IPiEEiN6hipcub16HIPCUB_304000_NS3MaxENSH_8EqualityEiEE10hipError_tPvRmT2_T3_T4_T5_mT6_T7_P12ihipStream_tbENKUlT_T0_E_clISt17integral_constantIbLb0EESZ_IbLb1EEEEDaSV_SW_EUlSV_E_NS1_11comp_targetILNS1_3genE2ELNS1_11target_archE906ELNS1_3gpuE6ELNS1_3repE0EEENS1_30default_config_static_selectorELNS0_4arch9wavefront6targetE0EEEvT1_, .Lfunc_end88-_ZN7rocprim17ROCPRIM_400000_NS6detail17trampoline_kernelINS0_14default_configENS1_27scan_by_key_config_selectorIiiEEZZNS1_16scan_by_key_implILNS1_25lookback_scan_determinismE0ELb0ES3_N6thrust23THRUST_200600_302600_NS16reverse_iteratorIPKiEESD_NSA_IPiEEiN6hipcub16HIPCUB_304000_NS3MaxENSH_8EqualityEiEE10hipError_tPvRmT2_T3_T4_T5_mT6_T7_P12ihipStream_tbENKUlT_T0_E_clISt17integral_constantIbLb0EESZ_IbLb1EEEEDaSV_SW_EUlSV_E_NS1_11comp_targetILNS1_3genE2ELNS1_11target_archE906ELNS1_3gpuE6ELNS1_3repE0EEENS1_30default_config_static_selectorELNS0_4arch9wavefront6targetE0EEEvT1_
                                        ; -- End function
	.set _ZN7rocprim17ROCPRIM_400000_NS6detail17trampoline_kernelINS0_14default_configENS1_27scan_by_key_config_selectorIiiEEZZNS1_16scan_by_key_implILNS1_25lookback_scan_determinismE0ELb0ES3_N6thrust23THRUST_200600_302600_NS16reverse_iteratorIPKiEESD_NSA_IPiEEiN6hipcub16HIPCUB_304000_NS3MaxENSH_8EqualityEiEE10hipError_tPvRmT2_T3_T4_T5_mT6_T7_P12ihipStream_tbENKUlT_T0_E_clISt17integral_constantIbLb0EESZ_IbLb1EEEEDaSV_SW_EUlSV_E_NS1_11comp_targetILNS1_3genE2ELNS1_11target_archE906ELNS1_3gpuE6ELNS1_3repE0EEENS1_30default_config_static_selectorELNS0_4arch9wavefront6targetE0EEEvT1_.num_vgpr, 0
	.set _ZN7rocprim17ROCPRIM_400000_NS6detail17trampoline_kernelINS0_14default_configENS1_27scan_by_key_config_selectorIiiEEZZNS1_16scan_by_key_implILNS1_25lookback_scan_determinismE0ELb0ES3_N6thrust23THRUST_200600_302600_NS16reverse_iteratorIPKiEESD_NSA_IPiEEiN6hipcub16HIPCUB_304000_NS3MaxENSH_8EqualityEiEE10hipError_tPvRmT2_T3_T4_T5_mT6_T7_P12ihipStream_tbENKUlT_T0_E_clISt17integral_constantIbLb0EESZ_IbLb1EEEEDaSV_SW_EUlSV_E_NS1_11comp_targetILNS1_3genE2ELNS1_11target_archE906ELNS1_3gpuE6ELNS1_3repE0EEENS1_30default_config_static_selectorELNS0_4arch9wavefront6targetE0EEEvT1_.num_agpr, 0
	.set _ZN7rocprim17ROCPRIM_400000_NS6detail17trampoline_kernelINS0_14default_configENS1_27scan_by_key_config_selectorIiiEEZZNS1_16scan_by_key_implILNS1_25lookback_scan_determinismE0ELb0ES3_N6thrust23THRUST_200600_302600_NS16reverse_iteratorIPKiEESD_NSA_IPiEEiN6hipcub16HIPCUB_304000_NS3MaxENSH_8EqualityEiEE10hipError_tPvRmT2_T3_T4_T5_mT6_T7_P12ihipStream_tbENKUlT_T0_E_clISt17integral_constantIbLb0EESZ_IbLb1EEEEDaSV_SW_EUlSV_E_NS1_11comp_targetILNS1_3genE2ELNS1_11target_archE906ELNS1_3gpuE6ELNS1_3repE0EEENS1_30default_config_static_selectorELNS0_4arch9wavefront6targetE0EEEvT1_.numbered_sgpr, 0
	.set _ZN7rocprim17ROCPRIM_400000_NS6detail17trampoline_kernelINS0_14default_configENS1_27scan_by_key_config_selectorIiiEEZZNS1_16scan_by_key_implILNS1_25lookback_scan_determinismE0ELb0ES3_N6thrust23THRUST_200600_302600_NS16reverse_iteratorIPKiEESD_NSA_IPiEEiN6hipcub16HIPCUB_304000_NS3MaxENSH_8EqualityEiEE10hipError_tPvRmT2_T3_T4_T5_mT6_T7_P12ihipStream_tbENKUlT_T0_E_clISt17integral_constantIbLb0EESZ_IbLb1EEEEDaSV_SW_EUlSV_E_NS1_11comp_targetILNS1_3genE2ELNS1_11target_archE906ELNS1_3gpuE6ELNS1_3repE0EEENS1_30default_config_static_selectorELNS0_4arch9wavefront6targetE0EEEvT1_.num_named_barrier, 0
	.set _ZN7rocprim17ROCPRIM_400000_NS6detail17trampoline_kernelINS0_14default_configENS1_27scan_by_key_config_selectorIiiEEZZNS1_16scan_by_key_implILNS1_25lookback_scan_determinismE0ELb0ES3_N6thrust23THRUST_200600_302600_NS16reverse_iteratorIPKiEESD_NSA_IPiEEiN6hipcub16HIPCUB_304000_NS3MaxENSH_8EqualityEiEE10hipError_tPvRmT2_T3_T4_T5_mT6_T7_P12ihipStream_tbENKUlT_T0_E_clISt17integral_constantIbLb0EESZ_IbLb1EEEEDaSV_SW_EUlSV_E_NS1_11comp_targetILNS1_3genE2ELNS1_11target_archE906ELNS1_3gpuE6ELNS1_3repE0EEENS1_30default_config_static_selectorELNS0_4arch9wavefront6targetE0EEEvT1_.private_seg_size, 0
	.set _ZN7rocprim17ROCPRIM_400000_NS6detail17trampoline_kernelINS0_14default_configENS1_27scan_by_key_config_selectorIiiEEZZNS1_16scan_by_key_implILNS1_25lookback_scan_determinismE0ELb0ES3_N6thrust23THRUST_200600_302600_NS16reverse_iteratorIPKiEESD_NSA_IPiEEiN6hipcub16HIPCUB_304000_NS3MaxENSH_8EqualityEiEE10hipError_tPvRmT2_T3_T4_T5_mT6_T7_P12ihipStream_tbENKUlT_T0_E_clISt17integral_constantIbLb0EESZ_IbLb1EEEEDaSV_SW_EUlSV_E_NS1_11comp_targetILNS1_3genE2ELNS1_11target_archE906ELNS1_3gpuE6ELNS1_3repE0EEENS1_30default_config_static_selectorELNS0_4arch9wavefront6targetE0EEEvT1_.uses_vcc, 0
	.set _ZN7rocprim17ROCPRIM_400000_NS6detail17trampoline_kernelINS0_14default_configENS1_27scan_by_key_config_selectorIiiEEZZNS1_16scan_by_key_implILNS1_25lookback_scan_determinismE0ELb0ES3_N6thrust23THRUST_200600_302600_NS16reverse_iteratorIPKiEESD_NSA_IPiEEiN6hipcub16HIPCUB_304000_NS3MaxENSH_8EqualityEiEE10hipError_tPvRmT2_T3_T4_T5_mT6_T7_P12ihipStream_tbENKUlT_T0_E_clISt17integral_constantIbLb0EESZ_IbLb1EEEEDaSV_SW_EUlSV_E_NS1_11comp_targetILNS1_3genE2ELNS1_11target_archE906ELNS1_3gpuE6ELNS1_3repE0EEENS1_30default_config_static_selectorELNS0_4arch9wavefront6targetE0EEEvT1_.uses_flat_scratch, 0
	.set _ZN7rocprim17ROCPRIM_400000_NS6detail17trampoline_kernelINS0_14default_configENS1_27scan_by_key_config_selectorIiiEEZZNS1_16scan_by_key_implILNS1_25lookback_scan_determinismE0ELb0ES3_N6thrust23THRUST_200600_302600_NS16reverse_iteratorIPKiEESD_NSA_IPiEEiN6hipcub16HIPCUB_304000_NS3MaxENSH_8EqualityEiEE10hipError_tPvRmT2_T3_T4_T5_mT6_T7_P12ihipStream_tbENKUlT_T0_E_clISt17integral_constantIbLb0EESZ_IbLb1EEEEDaSV_SW_EUlSV_E_NS1_11comp_targetILNS1_3genE2ELNS1_11target_archE906ELNS1_3gpuE6ELNS1_3repE0EEENS1_30default_config_static_selectorELNS0_4arch9wavefront6targetE0EEEvT1_.has_dyn_sized_stack, 0
	.set _ZN7rocprim17ROCPRIM_400000_NS6detail17trampoline_kernelINS0_14default_configENS1_27scan_by_key_config_selectorIiiEEZZNS1_16scan_by_key_implILNS1_25lookback_scan_determinismE0ELb0ES3_N6thrust23THRUST_200600_302600_NS16reverse_iteratorIPKiEESD_NSA_IPiEEiN6hipcub16HIPCUB_304000_NS3MaxENSH_8EqualityEiEE10hipError_tPvRmT2_T3_T4_T5_mT6_T7_P12ihipStream_tbENKUlT_T0_E_clISt17integral_constantIbLb0EESZ_IbLb1EEEEDaSV_SW_EUlSV_E_NS1_11comp_targetILNS1_3genE2ELNS1_11target_archE906ELNS1_3gpuE6ELNS1_3repE0EEENS1_30default_config_static_selectorELNS0_4arch9wavefront6targetE0EEEvT1_.has_recursion, 0
	.set _ZN7rocprim17ROCPRIM_400000_NS6detail17trampoline_kernelINS0_14default_configENS1_27scan_by_key_config_selectorIiiEEZZNS1_16scan_by_key_implILNS1_25lookback_scan_determinismE0ELb0ES3_N6thrust23THRUST_200600_302600_NS16reverse_iteratorIPKiEESD_NSA_IPiEEiN6hipcub16HIPCUB_304000_NS3MaxENSH_8EqualityEiEE10hipError_tPvRmT2_T3_T4_T5_mT6_T7_P12ihipStream_tbENKUlT_T0_E_clISt17integral_constantIbLb0EESZ_IbLb1EEEEDaSV_SW_EUlSV_E_NS1_11comp_targetILNS1_3genE2ELNS1_11target_archE906ELNS1_3gpuE6ELNS1_3repE0EEENS1_30default_config_static_selectorELNS0_4arch9wavefront6targetE0EEEvT1_.has_indirect_call, 0
	.section	.AMDGPU.csdata,"",@progbits
; Kernel info:
; codeLenInByte = 0
; TotalNumSgprs: 0
; NumVgprs: 0
; ScratchSize: 0
; MemoryBound: 0
; FloatMode: 240
; IeeeMode: 1
; LDSByteSize: 0 bytes/workgroup (compile time only)
; SGPRBlocks: 0
; VGPRBlocks: 0
; NumSGPRsForWavesPerEU: 1
; NumVGPRsForWavesPerEU: 1
; Occupancy: 16
; WaveLimiterHint : 0
; COMPUTE_PGM_RSRC2:SCRATCH_EN: 0
; COMPUTE_PGM_RSRC2:USER_SGPR: 6
; COMPUTE_PGM_RSRC2:TRAP_HANDLER: 0
; COMPUTE_PGM_RSRC2:TGID_X_EN: 1
; COMPUTE_PGM_RSRC2:TGID_Y_EN: 0
; COMPUTE_PGM_RSRC2:TGID_Z_EN: 0
; COMPUTE_PGM_RSRC2:TIDIG_COMP_CNT: 0
	.section	.text._ZN7rocprim17ROCPRIM_400000_NS6detail17trampoline_kernelINS0_14default_configENS1_27scan_by_key_config_selectorIiiEEZZNS1_16scan_by_key_implILNS1_25lookback_scan_determinismE0ELb0ES3_N6thrust23THRUST_200600_302600_NS16reverse_iteratorIPKiEESD_NSA_IPiEEiN6hipcub16HIPCUB_304000_NS3MaxENSH_8EqualityEiEE10hipError_tPvRmT2_T3_T4_T5_mT6_T7_P12ihipStream_tbENKUlT_T0_E_clISt17integral_constantIbLb0EESZ_IbLb1EEEEDaSV_SW_EUlSV_E_NS1_11comp_targetILNS1_3genE10ELNS1_11target_archE1200ELNS1_3gpuE4ELNS1_3repE0EEENS1_30default_config_static_selectorELNS0_4arch9wavefront6targetE0EEEvT1_,"axG",@progbits,_ZN7rocprim17ROCPRIM_400000_NS6detail17trampoline_kernelINS0_14default_configENS1_27scan_by_key_config_selectorIiiEEZZNS1_16scan_by_key_implILNS1_25lookback_scan_determinismE0ELb0ES3_N6thrust23THRUST_200600_302600_NS16reverse_iteratorIPKiEESD_NSA_IPiEEiN6hipcub16HIPCUB_304000_NS3MaxENSH_8EqualityEiEE10hipError_tPvRmT2_T3_T4_T5_mT6_T7_P12ihipStream_tbENKUlT_T0_E_clISt17integral_constantIbLb0EESZ_IbLb1EEEEDaSV_SW_EUlSV_E_NS1_11comp_targetILNS1_3genE10ELNS1_11target_archE1200ELNS1_3gpuE4ELNS1_3repE0EEENS1_30default_config_static_selectorELNS0_4arch9wavefront6targetE0EEEvT1_,comdat
	.protected	_ZN7rocprim17ROCPRIM_400000_NS6detail17trampoline_kernelINS0_14default_configENS1_27scan_by_key_config_selectorIiiEEZZNS1_16scan_by_key_implILNS1_25lookback_scan_determinismE0ELb0ES3_N6thrust23THRUST_200600_302600_NS16reverse_iteratorIPKiEESD_NSA_IPiEEiN6hipcub16HIPCUB_304000_NS3MaxENSH_8EqualityEiEE10hipError_tPvRmT2_T3_T4_T5_mT6_T7_P12ihipStream_tbENKUlT_T0_E_clISt17integral_constantIbLb0EESZ_IbLb1EEEEDaSV_SW_EUlSV_E_NS1_11comp_targetILNS1_3genE10ELNS1_11target_archE1200ELNS1_3gpuE4ELNS1_3repE0EEENS1_30default_config_static_selectorELNS0_4arch9wavefront6targetE0EEEvT1_ ; -- Begin function _ZN7rocprim17ROCPRIM_400000_NS6detail17trampoline_kernelINS0_14default_configENS1_27scan_by_key_config_selectorIiiEEZZNS1_16scan_by_key_implILNS1_25lookback_scan_determinismE0ELb0ES3_N6thrust23THRUST_200600_302600_NS16reverse_iteratorIPKiEESD_NSA_IPiEEiN6hipcub16HIPCUB_304000_NS3MaxENSH_8EqualityEiEE10hipError_tPvRmT2_T3_T4_T5_mT6_T7_P12ihipStream_tbENKUlT_T0_E_clISt17integral_constantIbLb0EESZ_IbLb1EEEEDaSV_SW_EUlSV_E_NS1_11comp_targetILNS1_3genE10ELNS1_11target_archE1200ELNS1_3gpuE4ELNS1_3repE0EEENS1_30default_config_static_selectorELNS0_4arch9wavefront6targetE0EEEvT1_
	.globl	_ZN7rocprim17ROCPRIM_400000_NS6detail17trampoline_kernelINS0_14default_configENS1_27scan_by_key_config_selectorIiiEEZZNS1_16scan_by_key_implILNS1_25lookback_scan_determinismE0ELb0ES3_N6thrust23THRUST_200600_302600_NS16reverse_iteratorIPKiEESD_NSA_IPiEEiN6hipcub16HIPCUB_304000_NS3MaxENSH_8EqualityEiEE10hipError_tPvRmT2_T3_T4_T5_mT6_T7_P12ihipStream_tbENKUlT_T0_E_clISt17integral_constantIbLb0EESZ_IbLb1EEEEDaSV_SW_EUlSV_E_NS1_11comp_targetILNS1_3genE10ELNS1_11target_archE1200ELNS1_3gpuE4ELNS1_3repE0EEENS1_30default_config_static_selectorELNS0_4arch9wavefront6targetE0EEEvT1_
	.p2align	8
	.type	_ZN7rocprim17ROCPRIM_400000_NS6detail17trampoline_kernelINS0_14default_configENS1_27scan_by_key_config_selectorIiiEEZZNS1_16scan_by_key_implILNS1_25lookback_scan_determinismE0ELb0ES3_N6thrust23THRUST_200600_302600_NS16reverse_iteratorIPKiEESD_NSA_IPiEEiN6hipcub16HIPCUB_304000_NS3MaxENSH_8EqualityEiEE10hipError_tPvRmT2_T3_T4_T5_mT6_T7_P12ihipStream_tbENKUlT_T0_E_clISt17integral_constantIbLb0EESZ_IbLb1EEEEDaSV_SW_EUlSV_E_NS1_11comp_targetILNS1_3genE10ELNS1_11target_archE1200ELNS1_3gpuE4ELNS1_3repE0EEENS1_30default_config_static_selectorELNS0_4arch9wavefront6targetE0EEEvT1_,@function
_ZN7rocprim17ROCPRIM_400000_NS6detail17trampoline_kernelINS0_14default_configENS1_27scan_by_key_config_selectorIiiEEZZNS1_16scan_by_key_implILNS1_25lookback_scan_determinismE0ELb0ES3_N6thrust23THRUST_200600_302600_NS16reverse_iteratorIPKiEESD_NSA_IPiEEiN6hipcub16HIPCUB_304000_NS3MaxENSH_8EqualityEiEE10hipError_tPvRmT2_T3_T4_T5_mT6_T7_P12ihipStream_tbENKUlT_T0_E_clISt17integral_constantIbLb0EESZ_IbLb1EEEEDaSV_SW_EUlSV_E_NS1_11comp_targetILNS1_3genE10ELNS1_11target_archE1200ELNS1_3gpuE4ELNS1_3repE0EEENS1_30default_config_static_selectorELNS0_4arch9wavefront6targetE0EEEvT1_: ; @_ZN7rocprim17ROCPRIM_400000_NS6detail17trampoline_kernelINS0_14default_configENS1_27scan_by_key_config_selectorIiiEEZZNS1_16scan_by_key_implILNS1_25lookback_scan_determinismE0ELb0ES3_N6thrust23THRUST_200600_302600_NS16reverse_iteratorIPKiEESD_NSA_IPiEEiN6hipcub16HIPCUB_304000_NS3MaxENSH_8EqualityEiEE10hipError_tPvRmT2_T3_T4_T5_mT6_T7_P12ihipStream_tbENKUlT_T0_E_clISt17integral_constantIbLb0EESZ_IbLb1EEEEDaSV_SW_EUlSV_E_NS1_11comp_targetILNS1_3genE10ELNS1_11target_archE1200ELNS1_3gpuE4ELNS1_3repE0EEENS1_30default_config_static_selectorELNS0_4arch9wavefront6targetE0EEEvT1_
; %bb.0:
	.section	.rodata,"a",@progbits
	.p2align	6, 0x0
	.amdhsa_kernel _ZN7rocprim17ROCPRIM_400000_NS6detail17trampoline_kernelINS0_14default_configENS1_27scan_by_key_config_selectorIiiEEZZNS1_16scan_by_key_implILNS1_25lookback_scan_determinismE0ELb0ES3_N6thrust23THRUST_200600_302600_NS16reverse_iteratorIPKiEESD_NSA_IPiEEiN6hipcub16HIPCUB_304000_NS3MaxENSH_8EqualityEiEE10hipError_tPvRmT2_T3_T4_T5_mT6_T7_P12ihipStream_tbENKUlT_T0_E_clISt17integral_constantIbLb0EESZ_IbLb1EEEEDaSV_SW_EUlSV_E_NS1_11comp_targetILNS1_3genE10ELNS1_11target_archE1200ELNS1_3gpuE4ELNS1_3repE0EEENS1_30default_config_static_selectorELNS0_4arch9wavefront6targetE0EEEvT1_
		.amdhsa_group_segment_fixed_size 0
		.amdhsa_private_segment_fixed_size 0
		.amdhsa_kernarg_size 112
		.amdhsa_user_sgpr_count 6
		.amdhsa_user_sgpr_private_segment_buffer 1
		.amdhsa_user_sgpr_dispatch_ptr 0
		.amdhsa_user_sgpr_queue_ptr 0
		.amdhsa_user_sgpr_kernarg_segment_ptr 1
		.amdhsa_user_sgpr_dispatch_id 0
		.amdhsa_user_sgpr_flat_scratch_init 0
		.amdhsa_user_sgpr_private_segment_size 0
		.amdhsa_wavefront_size32 1
		.amdhsa_uses_dynamic_stack 0
		.amdhsa_system_sgpr_private_segment_wavefront_offset 0
		.amdhsa_system_sgpr_workgroup_id_x 1
		.amdhsa_system_sgpr_workgroup_id_y 0
		.amdhsa_system_sgpr_workgroup_id_z 0
		.amdhsa_system_sgpr_workgroup_info 0
		.amdhsa_system_vgpr_workitem_id 0
		.amdhsa_next_free_vgpr 1
		.amdhsa_next_free_sgpr 1
		.amdhsa_reserve_vcc 0
		.amdhsa_reserve_flat_scratch 0
		.amdhsa_float_round_mode_32 0
		.amdhsa_float_round_mode_16_64 0
		.amdhsa_float_denorm_mode_32 3
		.amdhsa_float_denorm_mode_16_64 3
		.amdhsa_dx10_clamp 1
		.amdhsa_ieee_mode 1
		.amdhsa_fp16_overflow 0
		.amdhsa_workgroup_processor_mode 1
		.amdhsa_memory_ordered 1
		.amdhsa_forward_progress 1
		.amdhsa_shared_vgpr_count 0
		.amdhsa_exception_fp_ieee_invalid_op 0
		.amdhsa_exception_fp_denorm_src 0
		.amdhsa_exception_fp_ieee_div_zero 0
		.amdhsa_exception_fp_ieee_overflow 0
		.amdhsa_exception_fp_ieee_underflow 0
		.amdhsa_exception_fp_ieee_inexact 0
		.amdhsa_exception_int_div_zero 0
	.end_amdhsa_kernel
	.section	.text._ZN7rocprim17ROCPRIM_400000_NS6detail17trampoline_kernelINS0_14default_configENS1_27scan_by_key_config_selectorIiiEEZZNS1_16scan_by_key_implILNS1_25lookback_scan_determinismE0ELb0ES3_N6thrust23THRUST_200600_302600_NS16reverse_iteratorIPKiEESD_NSA_IPiEEiN6hipcub16HIPCUB_304000_NS3MaxENSH_8EqualityEiEE10hipError_tPvRmT2_T3_T4_T5_mT6_T7_P12ihipStream_tbENKUlT_T0_E_clISt17integral_constantIbLb0EESZ_IbLb1EEEEDaSV_SW_EUlSV_E_NS1_11comp_targetILNS1_3genE10ELNS1_11target_archE1200ELNS1_3gpuE4ELNS1_3repE0EEENS1_30default_config_static_selectorELNS0_4arch9wavefront6targetE0EEEvT1_,"axG",@progbits,_ZN7rocprim17ROCPRIM_400000_NS6detail17trampoline_kernelINS0_14default_configENS1_27scan_by_key_config_selectorIiiEEZZNS1_16scan_by_key_implILNS1_25lookback_scan_determinismE0ELb0ES3_N6thrust23THRUST_200600_302600_NS16reverse_iteratorIPKiEESD_NSA_IPiEEiN6hipcub16HIPCUB_304000_NS3MaxENSH_8EqualityEiEE10hipError_tPvRmT2_T3_T4_T5_mT6_T7_P12ihipStream_tbENKUlT_T0_E_clISt17integral_constantIbLb0EESZ_IbLb1EEEEDaSV_SW_EUlSV_E_NS1_11comp_targetILNS1_3genE10ELNS1_11target_archE1200ELNS1_3gpuE4ELNS1_3repE0EEENS1_30default_config_static_selectorELNS0_4arch9wavefront6targetE0EEEvT1_,comdat
.Lfunc_end89:
	.size	_ZN7rocprim17ROCPRIM_400000_NS6detail17trampoline_kernelINS0_14default_configENS1_27scan_by_key_config_selectorIiiEEZZNS1_16scan_by_key_implILNS1_25lookback_scan_determinismE0ELb0ES3_N6thrust23THRUST_200600_302600_NS16reverse_iteratorIPKiEESD_NSA_IPiEEiN6hipcub16HIPCUB_304000_NS3MaxENSH_8EqualityEiEE10hipError_tPvRmT2_T3_T4_T5_mT6_T7_P12ihipStream_tbENKUlT_T0_E_clISt17integral_constantIbLb0EESZ_IbLb1EEEEDaSV_SW_EUlSV_E_NS1_11comp_targetILNS1_3genE10ELNS1_11target_archE1200ELNS1_3gpuE4ELNS1_3repE0EEENS1_30default_config_static_selectorELNS0_4arch9wavefront6targetE0EEEvT1_, .Lfunc_end89-_ZN7rocprim17ROCPRIM_400000_NS6detail17trampoline_kernelINS0_14default_configENS1_27scan_by_key_config_selectorIiiEEZZNS1_16scan_by_key_implILNS1_25lookback_scan_determinismE0ELb0ES3_N6thrust23THRUST_200600_302600_NS16reverse_iteratorIPKiEESD_NSA_IPiEEiN6hipcub16HIPCUB_304000_NS3MaxENSH_8EqualityEiEE10hipError_tPvRmT2_T3_T4_T5_mT6_T7_P12ihipStream_tbENKUlT_T0_E_clISt17integral_constantIbLb0EESZ_IbLb1EEEEDaSV_SW_EUlSV_E_NS1_11comp_targetILNS1_3genE10ELNS1_11target_archE1200ELNS1_3gpuE4ELNS1_3repE0EEENS1_30default_config_static_selectorELNS0_4arch9wavefront6targetE0EEEvT1_
                                        ; -- End function
	.set _ZN7rocprim17ROCPRIM_400000_NS6detail17trampoline_kernelINS0_14default_configENS1_27scan_by_key_config_selectorIiiEEZZNS1_16scan_by_key_implILNS1_25lookback_scan_determinismE0ELb0ES3_N6thrust23THRUST_200600_302600_NS16reverse_iteratorIPKiEESD_NSA_IPiEEiN6hipcub16HIPCUB_304000_NS3MaxENSH_8EqualityEiEE10hipError_tPvRmT2_T3_T4_T5_mT6_T7_P12ihipStream_tbENKUlT_T0_E_clISt17integral_constantIbLb0EESZ_IbLb1EEEEDaSV_SW_EUlSV_E_NS1_11comp_targetILNS1_3genE10ELNS1_11target_archE1200ELNS1_3gpuE4ELNS1_3repE0EEENS1_30default_config_static_selectorELNS0_4arch9wavefront6targetE0EEEvT1_.num_vgpr, 0
	.set _ZN7rocprim17ROCPRIM_400000_NS6detail17trampoline_kernelINS0_14default_configENS1_27scan_by_key_config_selectorIiiEEZZNS1_16scan_by_key_implILNS1_25lookback_scan_determinismE0ELb0ES3_N6thrust23THRUST_200600_302600_NS16reverse_iteratorIPKiEESD_NSA_IPiEEiN6hipcub16HIPCUB_304000_NS3MaxENSH_8EqualityEiEE10hipError_tPvRmT2_T3_T4_T5_mT6_T7_P12ihipStream_tbENKUlT_T0_E_clISt17integral_constantIbLb0EESZ_IbLb1EEEEDaSV_SW_EUlSV_E_NS1_11comp_targetILNS1_3genE10ELNS1_11target_archE1200ELNS1_3gpuE4ELNS1_3repE0EEENS1_30default_config_static_selectorELNS0_4arch9wavefront6targetE0EEEvT1_.num_agpr, 0
	.set _ZN7rocprim17ROCPRIM_400000_NS6detail17trampoline_kernelINS0_14default_configENS1_27scan_by_key_config_selectorIiiEEZZNS1_16scan_by_key_implILNS1_25lookback_scan_determinismE0ELb0ES3_N6thrust23THRUST_200600_302600_NS16reverse_iteratorIPKiEESD_NSA_IPiEEiN6hipcub16HIPCUB_304000_NS3MaxENSH_8EqualityEiEE10hipError_tPvRmT2_T3_T4_T5_mT6_T7_P12ihipStream_tbENKUlT_T0_E_clISt17integral_constantIbLb0EESZ_IbLb1EEEEDaSV_SW_EUlSV_E_NS1_11comp_targetILNS1_3genE10ELNS1_11target_archE1200ELNS1_3gpuE4ELNS1_3repE0EEENS1_30default_config_static_selectorELNS0_4arch9wavefront6targetE0EEEvT1_.numbered_sgpr, 0
	.set _ZN7rocprim17ROCPRIM_400000_NS6detail17trampoline_kernelINS0_14default_configENS1_27scan_by_key_config_selectorIiiEEZZNS1_16scan_by_key_implILNS1_25lookback_scan_determinismE0ELb0ES3_N6thrust23THRUST_200600_302600_NS16reverse_iteratorIPKiEESD_NSA_IPiEEiN6hipcub16HIPCUB_304000_NS3MaxENSH_8EqualityEiEE10hipError_tPvRmT2_T3_T4_T5_mT6_T7_P12ihipStream_tbENKUlT_T0_E_clISt17integral_constantIbLb0EESZ_IbLb1EEEEDaSV_SW_EUlSV_E_NS1_11comp_targetILNS1_3genE10ELNS1_11target_archE1200ELNS1_3gpuE4ELNS1_3repE0EEENS1_30default_config_static_selectorELNS0_4arch9wavefront6targetE0EEEvT1_.num_named_barrier, 0
	.set _ZN7rocprim17ROCPRIM_400000_NS6detail17trampoline_kernelINS0_14default_configENS1_27scan_by_key_config_selectorIiiEEZZNS1_16scan_by_key_implILNS1_25lookback_scan_determinismE0ELb0ES3_N6thrust23THRUST_200600_302600_NS16reverse_iteratorIPKiEESD_NSA_IPiEEiN6hipcub16HIPCUB_304000_NS3MaxENSH_8EqualityEiEE10hipError_tPvRmT2_T3_T4_T5_mT6_T7_P12ihipStream_tbENKUlT_T0_E_clISt17integral_constantIbLb0EESZ_IbLb1EEEEDaSV_SW_EUlSV_E_NS1_11comp_targetILNS1_3genE10ELNS1_11target_archE1200ELNS1_3gpuE4ELNS1_3repE0EEENS1_30default_config_static_selectorELNS0_4arch9wavefront6targetE0EEEvT1_.private_seg_size, 0
	.set _ZN7rocprim17ROCPRIM_400000_NS6detail17trampoline_kernelINS0_14default_configENS1_27scan_by_key_config_selectorIiiEEZZNS1_16scan_by_key_implILNS1_25lookback_scan_determinismE0ELb0ES3_N6thrust23THRUST_200600_302600_NS16reverse_iteratorIPKiEESD_NSA_IPiEEiN6hipcub16HIPCUB_304000_NS3MaxENSH_8EqualityEiEE10hipError_tPvRmT2_T3_T4_T5_mT6_T7_P12ihipStream_tbENKUlT_T0_E_clISt17integral_constantIbLb0EESZ_IbLb1EEEEDaSV_SW_EUlSV_E_NS1_11comp_targetILNS1_3genE10ELNS1_11target_archE1200ELNS1_3gpuE4ELNS1_3repE0EEENS1_30default_config_static_selectorELNS0_4arch9wavefront6targetE0EEEvT1_.uses_vcc, 0
	.set _ZN7rocprim17ROCPRIM_400000_NS6detail17trampoline_kernelINS0_14default_configENS1_27scan_by_key_config_selectorIiiEEZZNS1_16scan_by_key_implILNS1_25lookback_scan_determinismE0ELb0ES3_N6thrust23THRUST_200600_302600_NS16reverse_iteratorIPKiEESD_NSA_IPiEEiN6hipcub16HIPCUB_304000_NS3MaxENSH_8EqualityEiEE10hipError_tPvRmT2_T3_T4_T5_mT6_T7_P12ihipStream_tbENKUlT_T0_E_clISt17integral_constantIbLb0EESZ_IbLb1EEEEDaSV_SW_EUlSV_E_NS1_11comp_targetILNS1_3genE10ELNS1_11target_archE1200ELNS1_3gpuE4ELNS1_3repE0EEENS1_30default_config_static_selectorELNS0_4arch9wavefront6targetE0EEEvT1_.uses_flat_scratch, 0
	.set _ZN7rocprim17ROCPRIM_400000_NS6detail17trampoline_kernelINS0_14default_configENS1_27scan_by_key_config_selectorIiiEEZZNS1_16scan_by_key_implILNS1_25lookback_scan_determinismE0ELb0ES3_N6thrust23THRUST_200600_302600_NS16reverse_iteratorIPKiEESD_NSA_IPiEEiN6hipcub16HIPCUB_304000_NS3MaxENSH_8EqualityEiEE10hipError_tPvRmT2_T3_T4_T5_mT6_T7_P12ihipStream_tbENKUlT_T0_E_clISt17integral_constantIbLb0EESZ_IbLb1EEEEDaSV_SW_EUlSV_E_NS1_11comp_targetILNS1_3genE10ELNS1_11target_archE1200ELNS1_3gpuE4ELNS1_3repE0EEENS1_30default_config_static_selectorELNS0_4arch9wavefront6targetE0EEEvT1_.has_dyn_sized_stack, 0
	.set _ZN7rocprim17ROCPRIM_400000_NS6detail17trampoline_kernelINS0_14default_configENS1_27scan_by_key_config_selectorIiiEEZZNS1_16scan_by_key_implILNS1_25lookback_scan_determinismE0ELb0ES3_N6thrust23THRUST_200600_302600_NS16reverse_iteratorIPKiEESD_NSA_IPiEEiN6hipcub16HIPCUB_304000_NS3MaxENSH_8EqualityEiEE10hipError_tPvRmT2_T3_T4_T5_mT6_T7_P12ihipStream_tbENKUlT_T0_E_clISt17integral_constantIbLb0EESZ_IbLb1EEEEDaSV_SW_EUlSV_E_NS1_11comp_targetILNS1_3genE10ELNS1_11target_archE1200ELNS1_3gpuE4ELNS1_3repE0EEENS1_30default_config_static_selectorELNS0_4arch9wavefront6targetE0EEEvT1_.has_recursion, 0
	.set _ZN7rocprim17ROCPRIM_400000_NS6detail17trampoline_kernelINS0_14default_configENS1_27scan_by_key_config_selectorIiiEEZZNS1_16scan_by_key_implILNS1_25lookback_scan_determinismE0ELb0ES3_N6thrust23THRUST_200600_302600_NS16reverse_iteratorIPKiEESD_NSA_IPiEEiN6hipcub16HIPCUB_304000_NS3MaxENSH_8EqualityEiEE10hipError_tPvRmT2_T3_T4_T5_mT6_T7_P12ihipStream_tbENKUlT_T0_E_clISt17integral_constantIbLb0EESZ_IbLb1EEEEDaSV_SW_EUlSV_E_NS1_11comp_targetILNS1_3genE10ELNS1_11target_archE1200ELNS1_3gpuE4ELNS1_3repE0EEENS1_30default_config_static_selectorELNS0_4arch9wavefront6targetE0EEEvT1_.has_indirect_call, 0
	.section	.AMDGPU.csdata,"",@progbits
; Kernel info:
; codeLenInByte = 0
; TotalNumSgprs: 0
; NumVgprs: 0
; ScratchSize: 0
; MemoryBound: 0
; FloatMode: 240
; IeeeMode: 1
; LDSByteSize: 0 bytes/workgroup (compile time only)
; SGPRBlocks: 0
; VGPRBlocks: 0
; NumSGPRsForWavesPerEU: 1
; NumVGPRsForWavesPerEU: 1
; Occupancy: 16
; WaveLimiterHint : 0
; COMPUTE_PGM_RSRC2:SCRATCH_EN: 0
; COMPUTE_PGM_RSRC2:USER_SGPR: 6
; COMPUTE_PGM_RSRC2:TRAP_HANDLER: 0
; COMPUTE_PGM_RSRC2:TGID_X_EN: 1
; COMPUTE_PGM_RSRC2:TGID_Y_EN: 0
; COMPUTE_PGM_RSRC2:TGID_Z_EN: 0
; COMPUTE_PGM_RSRC2:TIDIG_COMP_CNT: 0
	.section	.text._ZN7rocprim17ROCPRIM_400000_NS6detail17trampoline_kernelINS0_14default_configENS1_27scan_by_key_config_selectorIiiEEZZNS1_16scan_by_key_implILNS1_25lookback_scan_determinismE0ELb0ES3_N6thrust23THRUST_200600_302600_NS16reverse_iteratorIPKiEESD_NSA_IPiEEiN6hipcub16HIPCUB_304000_NS3MaxENSH_8EqualityEiEE10hipError_tPvRmT2_T3_T4_T5_mT6_T7_P12ihipStream_tbENKUlT_T0_E_clISt17integral_constantIbLb0EESZ_IbLb1EEEEDaSV_SW_EUlSV_E_NS1_11comp_targetILNS1_3genE9ELNS1_11target_archE1100ELNS1_3gpuE3ELNS1_3repE0EEENS1_30default_config_static_selectorELNS0_4arch9wavefront6targetE0EEEvT1_,"axG",@progbits,_ZN7rocprim17ROCPRIM_400000_NS6detail17trampoline_kernelINS0_14default_configENS1_27scan_by_key_config_selectorIiiEEZZNS1_16scan_by_key_implILNS1_25lookback_scan_determinismE0ELb0ES3_N6thrust23THRUST_200600_302600_NS16reverse_iteratorIPKiEESD_NSA_IPiEEiN6hipcub16HIPCUB_304000_NS3MaxENSH_8EqualityEiEE10hipError_tPvRmT2_T3_T4_T5_mT6_T7_P12ihipStream_tbENKUlT_T0_E_clISt17integral_constantIbLb0EESZ_IbLb1EEEEDaSV_SW_EUlSV_E_NS1_11comp_targetILNS1_3genE9ELNS1_11target_archE1100ELNS1_3gpuE3ELNS1_3repE0EEENS1_30default_config_static_selectorELNS0_4arch9wavefront6targetE0EEEvT1_,comdat
	.protected	_ZN7rocprim17ROCPRIM_400000_NS6detail17trampoline_kernelINS0_14default_configENS1_27scan_by_key_config_selectorIiiEEZZNS1_16scan_by_key_implILNS1_25lookback_scan_determinismE0ELb0ES3_N6thrust23THRUST_200600_302600_NS16reverse_iteratorIPKiEESD_NSA_IPiEEiN6hipcub16HIPCUB_304000_NS3MaxENSH_8EqualityEiEE10hipError_tPvRmT2_T3_T4_T5_mT6_T7_P12ihipStream_tbENKUlT_T0_E_clISt17integral_constantIbLb0EESZ_IbLb1EEEEDaSV_SW_EUlSV_E_NS1_11comp_targetILNS1_3genE9ELNS1_11target_archE1100ELNS1_3gpuE3ELNS1_3repE0EEENS1_30default_config_static_selectorELNS0_4arch9wavefront6targetE0EEEvT1_ ; -- Begin function _ZN7rocprim17ROCPRIM_400000_NS6detail17trampoline_kernelINS0_14default_configENS1_27scan_by_key_config_selectorIiiEEZZNS1_16scan_by_key_implILNS1_25lookback_scan_determinismE0ELb0ES3_N6thrust23THRUST_200600_302600_NS16reverse_iteratorIPKiEESD_NSA_IPiEEiN6hipcub16HIPCUB_304000_NS3MaxENSH_8EqualityEiEE10hipError_tPvRmT2_T3_T4_T5_mT6_T7_P12ihipStream_tbENKUlT_T0_E_clISt17integral_constantIbLb0EESZ_IbLb1EEEEDaSV_SW_EUlSV_E_NS1_11comp_targetILNS1_3genE9ELNS1_11target_archE1100ELNS1_3gpuE3ELNS1_3repE0EEENS1_30default_config_static_selectorELNS0_4arch9wavefront6targetE0EEEvT1_
	.globl	_ZN7rocprim17ROCPRIM_400000_NS6detail17trampoline_kernelINS0_14default_configENS1_27scan_by_key_config_selectorIiiEEZZNS1_16scan_by_key_implILNS1_25lookback_scan_determinismE0ELb0ES3_N6thrust23THRUST_200600_302600_NS16reverse_iteratorIPKiEESD_NSA_IPiEEiN6hipcub16HIPCUB_304000_NS3MaxENSH_8EqualityEiEE10hipError_tPvRmT2_T3_T4_T5_mT6_T7_P12ihipStream_tbENKUlT_T0_E_clISt17integral_constantIbLb0EESZ_IbLb1EEEEDaSV_SW_EUlSV_E_NS1_11comp_targetILNS1_3genE9ELNS1_11target_archE1100ELNS1_3gpuE3ELNS1_3repE0EEENS1_30default_config_static_selectorELNS0_4arch9wavefront6targetE0EEEvT1_
	.p2align	8
	.type	_ZN7rocprim17ROCPRIM_400000_NS6detail17trampoline_kernelINS0_14default_configENS1_27scan_by_key_config_selectorIiiEEZZNS1_16scan_by_key_implILNS1_25lookback_scan_determinismE0ELb0ES3_N6thrust23THRUST_200600_302600_NS16reverse_iteratorIPKiEESD_NSA_IPiEEiN6hipcub16HIPCUB_304000_NS3MaxENSH_8EqualityEiEE10hipError_tPvRmT2_T3_T4_T5_mT6_T7_P12ihipStream_tbENKUlT_T0_E_clISt17integral_constantIbLb0EESZ_IbLb1EEEEDaSV_SW_EUlSV_E_NS1_11comp_targetILNS1_3genE9ELNS1_11target_archE1100ELNS1_3gpuE3ELNS1_3repE0EEENS1_30default_config_static_selectorELNS0_4arch9wavefront6targetE0EEEvT1_,@function
_ZN7rocprim17ROCPRIM_400000_NS6detail17trampoline_kernelINS0_14default_configENS1_27scan_by_key_config_selectorIiiEEZZNS1_16scan_by_key_implILNS1_25lookback_scan_determinismE0ELb0ES3_N6thrust23THRUST_200600_302600_NS16reverse_iteratorIPKiEESD_NSA_IPiEEiN6hipcub16HIPCUB_304000_NS3MaxENSH_8EqualityEiEE10hipError_tPvRmT2_T3_T4_T5_mT6_T7_P12ihipStream_tbENKUlT_T0_E_clISt17integral_constantIbLb0EESZ_IbLb1EEEEDaSV_SW_EUlSV_E_NS1_11comp_targetILNS1_3genE9ELNS1_11target_archE1100ELNS1_3gpuE3ELNS1_3repE0EEENS1_30default_config_static_selectorELNS0_4arch9wavefront6targetE0EEEvT1_: ; @_ZN7rocprim17ROCPRIM_400000_NS6detail17trampoline_kernelINS0_14default_configENS1_27scan_by_key_config_selectorIiiEEZZNS1_16scan_by_key_implILNS1_25lookback_scan_determinismE0ELb0ES3_N6thrust23THRUST_200600_302600_NS16reverse_iteratorIPKiEESD_NSA_IPiEEiN6hipcub16HIPCUB_304000_NS3MaxENSH_8EqualityEiEE10hipError_tPvRmT2_T3_T4_T5_mT6_T7_P12ihipStream_tbENKUlT_T0_E_clISt17integral_constantIbLb0EESZ_IbLb1EEEEDaSV_SW_EUlSV_E_NS1_11comp_targetILNS1_3genE9ELNS1_11target_archE1100ELNS1_3gpuE3ELNS1_3repE0EEENS1_30default_config_static_selectorELNS0_4arch9wavefront6targetE0EEEvT1_
; %bb.0:
	.section	.rodata,"a",@progbits
	.p2align	6, 0x0
	.amdhsa_kernel _ZN7rocprim17ROCPRIM_400000_NS6detail17trampoline_kernelINS0_14default_configENS1_27scan_by_key_config_selectorIiiEEZZNS1_16scan_by_key_implILNS1_25lookback_scan_determinismE0ELb0ES3_N6thrust23THRUST_200600_302600_NS16reverse_iteratorIPKiEESD_NSA_IPiEEiN6hipcub16HIPCUB_304000_NS3MaxENSH_8EqualityEiEE10hipError_tPvRmT2_T3_T4_T5_mT6_T7_P12ihipStream_tbENKUlT_T0_E_clISt17integral_constantIbLb0EESZ_IbLb1EEEEDaSV_SW_EUlSV_E_NS1_11comp_targetILNS1_3genE9ELNS1_11target_archE1100ELNS1_3gpuE3ELNS1_3repE0EEENS1_30default_config_static_selectorELNS0_4arch9wavefront6targetE0EEEvT1_
		.amdhsa_group_segment_fixed_size 0
		.amdhsa_private_segment_fixed_size 0
		.amdhsa_kernarg_size 112
		.amdhsa_user_sgpr_count 6
		.amdhsa_user_sgpr_private_segment_buffer 1
		.amdhsa_user_sgpr_dispatch_ptr 0
		.amdhsa_user_sgpr_queue_ptr 0
		.amdhsa_user_sgpr_kernarg_segment_ptr 1
		.amdhsa_user_sgpr_dispatch_id 0
		.amdhsa_user_sgpr_flat_scratch_init 0
		.amdhsa_user_sgpr_private_segment_size 0
		.amdhsa_wavefront_size32 1
		.amdhsa_uses_dynamic_stack 0
		.amdhsa_system_sgpr_private_segment_wavefront_offset 0
		.amdhsa_system_sgpr_workgroup_id_x 1
		.amdhsa_system_sgpr_workgroup_id_y 0
		.amdhsa_system_sgpr_workgroup_id_z 0
		.amdhsa_system_sgpr_workgroup_info 0
		.amdhsa_system_vgpr_workitem_id 0
		.amdhsa_next_free_vgpr 1
		.amdhsa_next_free_sgpr 1
		.amdhsa_reserve_vcc 0
		.amdhsa_reserve_flat_scratch 0
		.amdhsa_float_round_mode_32 0
		.amdhsa_float_round_mode_16_64 0
		.amdhsa_float_denorm_mode_32 3
		.amdhsa_float_denorm_mode_16_64 3
		.amdhsa_dx10_clamp 1
		.amdhsa_ieee_mode 1
		.amdhsa_fp16_overflow 0
		.amdhsa_workgroup_processor_mode 1
		.amdhsa_memory_ordered 1
		.amdhsa_forward_progress 1
		.amdhsa_shared_vgpr_count 0
		.amdhsa_exception_fp_ieee_invalid_op 0
		.amdhsa_exception_fp_denorm_src 0
		.amdhsa_exception_fp_ieee_div_zero 0
		.amdhsa_exception_fp_ieee_overflow 0
		.amdhsa_exception_fp_ieee_underflow 0
		.amdhsa_exception_fp_ieee_inexact 0
		.amdhsa_exception_int_div_zero 0
	.end_amdhsa_kernel
	.section	.text._ZN7rocprim17ROCPRIM_400000_NS6detail17trampoline_kernelINS0_14default_configENS1_27scan_by_key_config_selectorIiiEEZZNS1_16scan_by_key_implILNS1_25lookback_scan_determinismE0ELb0ES3_N6thrust23THRUST_200600_302600_NS16reverse_iteratorIPKiEESD_NSA_IPiEEiN6hipcub16HIPCUB_304000_NS3MaxENSH_8EqualityEiEE10hipError_tPvRmT2_T3_T4_T5_mT6_T7_P12ihipStream_tbENKUlT_T0_E_clISt17integral_constantIbLb0EESZ_IbLb1EEEEDaSV_SW_EUlSV_E_NS1_11comp_targetILNS1_3genE9ELNS1_11target_archE1100ELNS1_3gpuE3ELNS1_3repE0EEENS1_30default_config_static_selectorELNS0_4arch9wavefront6targetE0EEEvT1_,"axG",@progbits,_ZN7rocprim17ROCPRIM_400000_NS6detail17trampoline_kernelINS0_14default_configENS1_27scan_by_key_config_selectorIiiEEZZNS1_16scan_by_key_implILNS1_25lookback_scan_determinismE0ELb0ES3_N6thrust23THRUST_200600_302600_NS16reverse_iteratorIPKiEESD_NSA_IPiEEiN6hipcub16HIPCUB_304000_NS3MaxENSH_8EqualityEiEE10hipError_tPvRmT2_T3_T4_T5_mT6_T7_P12ihipStream_tbENKUlT_T0_E_clISt17integral_constantIbLb0EESZ_IbLb1EEEEDaSV_SW_EUlSV_E_NS1_11comp_targetILNS1_3genE9ELNS1_11target_archE1100ELNS1_3gpuE3ELNS1_3repE0EEENS1_30default_config_static_selectorELNS0_4arch9wavefront6targetE0EEEvT1_,comdat
.Lfunc_end90:
	.size	_ZN7rocprim17ROCPRIM_400000_NS6detail17trampoline_kernelINS0_14default_configENS1_27scan_by_key_config_selectorIiiEEZZNS1_16scan_by_key_implILNS1_25lookback_scan_determinismE0ELb0ES3_N6thrust23THRUST_200600_302600_NS16reverse_iteratorIPKiEESD_NSA_IPiEEiN6hipcub16HIPCUB_304000_NS3MaxENSH_8EqualityEiEE10hipError_tPvRmT2_T3_T4_T5_mT6_T7_P12ihipStream_tbENKUlT_T0_E_clISt17integral_constantIbLb0EESZ_IbLb1EEEEDaSV_SW_EUlSV_E_NS1_11comp_targetILNS1_3genE9ELNS1_11target_archE1100ELNS1_3gpuE3ELNS1_3repE0EEENS1_30default_config_static_selectorELNS0_4arch9wavefront6targetE0EEEvT1_, .Lfunc_end90-_ZN7rocprim17ROCPRIM_400000_NS6detail17trampoline_kernelINS0_14default_configENS1_27scan_by_key_config_selectorIiiEEZZNS1_16scan_by_key_implILNS1_25lookback_scan_determinismE0ELb0ES3_N6thrust23THRUST_200600_302600_NS16reverse_iteratorIPKiEESD_NSA_IPiEEiN6hipcub16HIPCUB_304000_NS3MaxENSH_8EqualityEiEE10hipError_tPvRmT2_T3_T4_T5_mT6_T7_P12ihipStream_tbENKUlT_T0_E_clISt17integral_constantIbLb0EESZ_IbLb1EEEEDaSV_SW_EUlSV_E_NS1_11comp_targetILNS1_3genE9ELNS1_11target_archE1100ELNS1_3gpuE3ELNS1_3repE0EEENS1_30default_config_static_selectorELNS0_4arch9wavefront6targetE0EEEvT1_
                                        ; -- End function
	.set _ZN7rocprim17ROCPRIM_400000_NS6detail17trampoline_kernelINS0_14default_configENS1_27scan_by_key_config_selectorIiiEEZZNS1_16scan_by_key_implILNS1_25lookback_scan_determinismE0ELb0ES3_N6thrust23THRUST_200600_302600_NS16reverse_iteratorIPKiEESD_NSA_IPiEEiN6hipcub16HIPCUB_304000_NS3MaxENSH_8EqualityEiEE10hipError_tPvRmT2_T3_T4_T5_mT6_T7_P12ihipStream_tbENKUlT_T0_E_clISt17integral_constantIbLb0EESZ_IbLb1EEEEDaSV_SW_EUlSV_E_NS1_11comp_targetILNS1_3genE9ELNS1_11target_archE1100ELNS1_3gpuE3ELNS1_3repE0EEENS1_30default_config_static_selectorELNS0_4arch9wavefront6targetE0EEEvT1_.num_vgpr, 0
	.set _ZN7rocprim17ROCPRIM_400000_NS6detail17trampoline_kernelINS0_14default_configENS1_27scan_by_key_config_selectorIiiEEZZNS1_16scan_by_key_implILNS1_25lookback_scan_determinismE0ELb0ES3_N6thrust23THRUST_200600_302600_NS16reverse_iteratorIPKiEESD_NSA_IPiEEiN6hipcub16HIPCUB_304000_NS3MaxENSH_8EqualityEiEE10hipError_tPvRmT2_T3_T4_T5_mT6_T7_P12ihipStream_tbENKUlT_T0_E_clISt17integral_constantIbLb0EESZ_IbLb1EEEEDaSV_SW_EUlSV_E_NS1_11comp_targetILNS1_3genE9ELNS1_11target_archE1100ELNS1_3gpuE3ELNS1_3repE0EEENS1_30default_config_static_selectorELNS0_4arch9wavefront6targetE0EEEvT1_.num_agpr, 0
	.set _ZN7rocprim17ROCPRIM_400000_NS6detail17trampoline_kernelINS0_14default_configENS1_27scan_by_key_config_selectorIiiEEZZNS1_16scan_by_key_implILNS1_25lookback_scan_determinismE0ELb0ES3_N6thrust23THRUST_200600_302600_NS16reverse_iteratorIPKiEESD_NSA_IPiEEiN6hipcub16HIPCUB_304000_NS3MaxENSH_8EqualityEiEE10hipError_tPvRmT2_T3_T4_T5_mT6_T7_P12ihipStream_tbENKUlT_T0_E_clISt17integral_constantIbLb0EESZ_IbLb1EEEEDaSV_SW_EUlSV_E_NS1_11comp_targetILNS1_3genE9ELNS1_11target_archE1100ELNS1_3gpuE3ELNS1_3repE0EEENS1_30default_config_static_selectorELNS0_4arch9wavefront6targetE0EEEvT1_.numbered_sgpr, 0
	.set _ZN7rocprim17ROCPRIM_400000_NS6detail17trampoline_kernelINS0_14default_configENS1_27scan_by_key_config_selectorIiiEEZZNS1_16scan_by_key_implILNS1_25lookback_scan_determinismE0ELb0ES3_N6thrust23THRUST_200600_302600_NS16reverse_iteratorIPKiEESD_NSA_IPiEEiN6hipcub16HIPCUB_304000_NS3MaxENSH_8EqualityEiEE10hipError_tPvRmT2_T3_T4_T5_mT6_T7_P12ihipStream_tbENKUlT_T0_E_clISt17integral_constantIbLb0EESZ_IbLb1EEEEDaSV_SW_EUlSV_E_NS1_11comp_targetILNS1_3genE9ELNS1_11target_archE1100ELNS1_3gpuE3ELNS1_3repE0EEENS1_30default_config_static_selectorELNS0_4arch9wavefront6targetE0EEEvT1_.num_named_barrier, 0
	.set _ZN7rocprim17ROCPRIM_400000_NS6detail17trampoline_kernelINS0_14default_configENS1_27scan_by_key_config_selectorIiiEEZZNS1_16scan_by_key_implILNS1_25lookback_scan_determinismE0ELb0ES3_N6thrust23THRUST_200600_302600_NS16reverse_iteratorIPKiEESD_NSA_IPiEEiN6hipcub16HIPCUB_304000_NS3MaxENSH_8EqualityEiEE10hipError_tPvRmT2_T3_T4_T5_mT6_T7_P12ihipStream_tbENKUlT_T0_E_clISt17integral_constantIbLb0EESZ_IbLb1EEEEDaSV_SW_EUlSV_E_NS1_11comp_targetILNS1_3genE9ELNS1_11target_archE1100ELNS1_3gpuE3ELNS1_3repE0EEENS1_30default_config_static_selectorELNS0_4arch9wavefront6targetE0EEEvT1_.private_seg_size, 0
	.set _ZN7rocprim17ROCPRIM_400000_NS6detail17trampoline_kernelINS0_14default_configENS1_27scan_by_key_config_selectorIiiEEZZNS1_16scan_by_key_implILNS1_25lookback_scan_determinismE0ELb0ES3_N6thrust23THRUST_200600_302600_NS16reverse_iteratorIPKiEESD_NSA_IPiEEiN6hipcub16HIPCUB_304000_NS3MaxENSH_8EqualityEiEE10hipError_tPvRmT2_T3_T4_T5_mT6_T7_P12ihipStream_tbENKUlT_T0_E_clISt17integral_constantIbLb0EESZ_IbLb1EEEEDaSV_SW_EUlSV_E_NS1_11comp_targetILNS1_3genE9ELNS1_11target_archE1100ELNS1_3gpuE3ELNS1_3repE0EEENS1_30default_config_static_selectorELNS0_4arch9wavefront6targetE0EEEvT1_.uses_vcc, 0
	.set _ZN7rocprim17ROCPRIM_400000_NS6detail17trampoline_kernelINS0_14default_configENS1_27scan_by_key_config_selectorIiiEEZZNS1_16scan_by_key_implILNS1_25lookback_scan_determinismE0ELb0ES3_N6thrust23THRUST_200600_302600_NS16reverse_iteratorIPKiEESD_NSA_IPiEEiN6hipcub16HIPCUB_304000_NS3MaxENSH_8EqualityEiEE10hipError_tPvRmT2_T3_T4_T5_mT6_T7_P12ihipStream_tbENKUlT_T0_E_clISt17integral_constantIbLb0EESZ_IbLb1EEEEDaSV_SW_EUlSV_E_NS1_11comp_targetILNS1_3genE9ELNS1_11target_archE1100ELNS1_3gpuE3ELNS1_3repE0EEENS1_30default_config_static_selectorELNS0_4arch9wavefront6targetE0EEEvT1_.uses_flat_scratch, 0
	.set _ZN7rocprim17ROCPRIM_400000_NS6detail17trampoline_kernelINS0_14default_configENS1_27scan_by_key_config_selectorIiiEEZZNS1_16scan_by_key_implILNS1_25lookback_scan_determinismE0ELb0ES3_N6thrust23THRUST_200600_302600_NS16reverse_iteratorIPKiEESD_NSA_IPiEEiN6hipcub16HIPCUB_304000_NS3MaxENSH_8EqualityEiEE10hipError_tPvRmT2_T3_T4_T5_mT6_T7_P12ihipStream_tbENKUlT_T0_E_clISt17integral_constantIbLb0EESZ_IbLb1EEEEDaSV_SW_EUlSV_E_NS1_11comp_targetILNS1_3genE9ELNS1_11target_archE1100ELNS1_3gpuE3ELNS1_3repE0EEENS1_30default_config_static_selectorELNS0_4arch9wavefront6targetE0EEEvT1_.has_dyn_sized_stack, 0
	.set _ZN7rocprim17ROCPRIM_400000_NS6detail17trampoline_kernelINS0_14default_configENS1_27scan_by_key_config_selectorIiiEEZZNS1_16scan_by_key_implILNS1_25lookback_scan_determinismE0ELb0ES3_N6thrust23THRUST_200600_302600_NS16reverse_iteratorIPKiEESD_NSA_IPiEEiN6hipcub16HIPCUB_304000_NS3MaxENSH_8EqualityEiEE10hipError_tPvRmT2_T3_T4_T5_mT6_T7_P12ihipStream_tbENKUlT_T0_E_clISt17integral_constantIbLb0EESZ_IbLb1EEEEDaSV_SW_EUlSV_E_NS1_11comp_targetILNS1_3genE9ELNS1_11target_archE1100ELNS1_3gpuE3ELNS1_3repE0EEENS1_30default_config_static_selectorELNS0_4arch9wavefront6targetE0EEEvT1_.has_recursion, 0
	.set _ZN7rocprim17ROCPRIM_400000_NS6detail17trampoline_kernelINS0_14default_configENS1_27scan_by_key_config_selectorIiiEEZZNS1_16scan_by_key_implILNS1_25lookback_scan_determinismE0ELb0ES3_N6thrust23THRUST_200600_302600_NS16reverse_iteratorIPKiEESD_NSA_IPiEEiN6hipcub16HIPCUB_304000_NS3MaxENSH_8EqualityEiEE10hipError_tPvRmT2_T3_T4_T5_mT6_T7_P12ihipStream_tbENKUlT_T0_E_clISt17integral_constantIbLb0EESZ_IbLb1EEEEDaSV_SW_EUlSV_E_NS1_11comp_targetILNS1_3genE9ELNS1_11target_archE1100ELNS1_3gpuE3ELNS1_3repE0EEENS1_30default_config_static_selectorELNS0_4arch9wavefront6targetE0EEEvT1_.has_indirect_call, 0
	.section	.AMDGPU.csdata,"",@progbits
; Kernel info:
; codeLenInByte = 0
; TotalNumSgprs: 0
; NumVgprs: 0
; ScratchSize: 0
; MemoryBound: 0
; FloatMode: 240
; IeeeMode: 1
; LDSByteSize: 0 bytes/workgroup (compile time only)
; SGPRBlocks: 0
; VGPRBlocks: 0
; NumSGPRsForWavesPerEU: 1
; NumVGPRsForWavesPerEU: 1
; Occupancy: 16
; WaveLimiterHint : 0
; COMPUTE_PGM_RSRC2:SCRATCH_EN: 0
; COMPUTE_PGM_RSRC2:USER_SGPR: 6
; COMPUTE_PGM_RSRC2:TRAP_HANDLER: 0
; COMPUTE_PGM_RSRC2:TGID_X_EN: 1
; COMPUTE_PGM_RSRC2:TGID_Y_EN: 0
; COMPUTE_PGM_RSRC2:TGID_Z_EN: 0
; COMPUTE_PGM_RSRC2:TIDIG_COMP_CNT: 0
	.section	.text._ZN7rocprim17ROCPRIM_400000_NS6detail17trampoline_kernelINS0_14default_configENS1_27scan_by_key_config_selectorIiiEEZZNS1_16scan_by_key_implILNS1_25lookback_scan_determinismE0ELb0ES3_N6thrust23THRUST_200600_302600_NS16reverse_iteratorIPKiEESD_NSA_IPiEEiN6hipcub16HIPCUB_304000_NS3MaxENSH_8EqualityEiEE10hipError_tPvRmT2_T3_T4_T5_mT6_T7_P12ihipStream_tbENKUlT_T0_E_clISt17integral_constantIbLb0EESZ_IbLb1EEEEDaSV_SW_EUlSV_E_NS1_11comp_targetILNS1_3genE8ELNS1_11target_archE1030ELNS1_3gpuE2ELNS1_3repE0EEENS1_30default_config_static_selectorELNS0_4arch9wavefront6targetE0EEEvT1_,"axG",@progbits,_ZN7rocprim17ROCPRIM_400000_NS6detail17trampoline_kernelINS0_14default_configENS1_27scan_by_key_config_selectorIiiEEZZNS1_16scan_by_key_implILNS1_25lookback_scan_determinismE0ELb0ES3_N6thrust23THRUST_200600_302600_NS16reverse_iteratorIPKiEESD_NSA_IPiEEiN6hipcub16HIPCUB_304000_NS3MaxENSH_8EqualityEiEE10hipError_tPvRmT2_T3_T4_T5_mT6_T7_P12ihipStream_tbENKUlT_T0_E_clISt17integral_constantIbLb0EESZ_IbLb1EEEEDaSV_SW_EUlSV_E_NS1_11comp_targetILNS1_3genE8ELNS1_11target_archE1030ELNS1_3gpuE2ELNS1_3repE0EEENS1_30default_config_static_selectorELNS0_4arch9wavefront6targetE0EEEvT1_,comdat
	.protected	_ZN7rocprim17ROCPRIM_400000_NS6detail17trampoline_kernelINS0_14default_configENS1_27scan_by_key_config_selectorIiiEEZZNS1_16scan_by_key_implILNS1_25lookback_scan_determinismE0ELb0ES3_N6thrust23THRUST_200600_302600_NS16reverse_iteratorIPKiEESD_NSA_IPiEEiN6hipcub16HIPCUB_304000_NS3MaxENSH_8EqualityEiEE10hipError_tPvRmT2_T3_T4_T5_mT6_T7_P12ihipStream_tbENKUlT_T0_E_clISt17integral_constantIbLb0EESZ_IbLb1EEEEDaSV_SW_EUlSV_E_NS1_11comp_targetILNS1_3genE8ELNS1_11target_archE1030ELNS1_3gpuE2ELNS1_3repE0EEENS1_30default_config_static_selectorELNS0_4arch9wavefront6targetE0EEEvT1_ ; -- Begin function _ZN7rocprim17ROCPRIM_400000_NS6detail17trampoline_kernelINS0_14default_configENS1_27scan_by_key_config_selectorIiiEEZZNS1_16scan_by_key_implILNS1_25lookback_scan_determinismE0ELb0ES3_N6thrust23THRUST_200600_302600_NS16reverse_iteratorIPKiEESD_NSA_IPiEEiN6hipcub16HIPCUB_304000_NS3MaxENSH_8EqualityEiEE10hipError_tPvRmT2_T3_T4_T5_mT6_T7_P12ihipStream_tbENKUlT_T0_E_clISt17integral_constantIbLb0EESZ_IbLb1EEEEDaSV_SW_EUlSV_E_NS1_11comp_targetILNS1_3genE8ELNS1_11target_archE1030ELNS1_3gpuE2ELNS1_3repE0EEENS1_30default_config_static_selectorELNS0_4arch9wavefront6targetE0EEEvT1_
	.globl	_ZN7rocprim17ROCPRIM_400000_NS6detail17trampoline_kernelINS0_14default_configENS1_27scan_by_key_config_selectorIiiEEZZNS1_16scan_by_key_implILNS1_25lookback_scan_determinismE0ELb0ES3_N6thrust23THRUST_200600_302600_NS16reverse_iteratorIPKiEESD_NSA_IPiEEiN6hipcub16HIPCUB_304000_NS3MaxENSH_8EqualityEiEE10hipError_tPvRmT2_T3_T4_T5_mT6_T7_P12ihipStream_tbENKUlT_T0_E_clISt17integral_constantIbLb0EESZ_IbLb1EEEEDaSV_SW_EUlSV_E_NS1_11comp_targetILNS1_3genE8ELNS1_11target_archE1030ELNS1_3gpuE2ELNS1_3repE0EEENS1_30default_config_static_selectorELNS0_4arch9wavefront6targetE0EEEvT1_
	.p2align	8
	.type	_ZN7rocprim17ROCPRIM_400000_NS6detail17trampoline_kernelINS0_14default_configENS1_27scan_by_key_config_selectorIiiEEZZNS1_16scan_by_key_implILNS1_25lookback_scan_determinismE0ELb0ES3_N6thrust23THRUST_200600_302600_NS16reverse_iteratorIPKiEESD_NSA_IPiEEiN6hipcub16HIPCUB_304000_NS3MaxENSH_8EqualityEiEE10hipError_tPvRmT2_T3_T4_T5_mT6_T7_P12ihipStream_tbENKUlT_T0_E_clISt17integral_constantIbLb0EESZ_IbLb1EEEEDaSV_SW_EUlSV_E_NS1_11comp_targetILNS1_3genE8ELNS1_11target_archE1030ELNS1_3gpuE2ELNS1_3repE0EEENS1_30default_config_static_selectorELNS0_4arch9wavefront6targetE0EEEvT1_,@function
_ZN7rocprim17ROCPRIM_400000_NS6detail17trampoline_kernelINS0_14default_configENS1_27scan_by_key_config_selectorIiiEEZZNS1_16scan_by_key_implILNS1_25lookback_scan_determinismE0ELb0ES3_N6thrust23THRUST_200600_302600_NS16reverse_iteratorIPKiEESD_NSA_IPiEEiN6hipcub16HIPCUB_304000_NS3MaxENSH_8EqualityEiEE10hipError_tPvRmT2_T3_T4_T5_mT6_T7_P12ihipStream_tbENKUlT_T0_E_clISt17integral_constantIbLb0EESZ_IbLb1EEEEDaSV_SW_EUlSV_E_NS1_11comp_targetILNS1_3genE8ELNS1_11target_archE1030ELNS1_3gpuE2ELNS1_3repE0EEENS1_30default_config_static_selectorELNS0_4arch9wavefront6targetE0EEEvT1_: ; @_ZN7rocprim17ROCPRIM_400000_NS6detail17trampoline_kernelINS0_14default_configENS1_27scan_by_key_config_selectorIiiEEZZNS1_16scan_by_key_implILNS1_25lookback_scan_determinismE0ELb0ES3_N6thrust23THRUST_200600_302600_NS16reverse_iteratorIPKiEESD_NSA_IPiEEiN6hipcub16HIPCUB_304000_NS3MaxENSH_8EqualityEiEE10hipError_tPvRmT2_T3_T4_T5_mT6_T7_P12ihipStream_tbENKUlT_T0_E_clISt17integral_constantIbLb0EESZ_IbLb1EEEEDaSV_SW_EUlSV_E_NS1_11comp_targetILNS1_3genE8ELNS1_11target_archE1030ELNS1_3gpuE2ELNS1_3repE0EEENS1_30default_config_static_selectorELNS0_4arch9wavefront6targetE0EEEvT1_
; %bb.0:
	s_clause 0x1
	s_load_dwordx4 s[24:27], s[4:5], 0x28
	s_load_dwordx2 s[28:29], s[4:5], 0x38
	v_cmp_ne_u32_e64 s1, 0, v0
	v_cmp_eq_u32_e64 s0, 0, v0
	s_and_saveexec_b32 s2, s0
	s_cbranch_execz .LBB91_4
; %bb.1:
	s_mov_b32 s6, exec_lo
	s_mov_b32 s3, exec_lo
	v_mbcnt_lo_u32_b32 v1, s6, 0
                                        ; implicit-def: $vgpr2
	v_cmpx_eq_u32_e32 0, v1
	s_cbranch_execz .LBB91_3
; %bb.2:
	s_load_dwordx2 s[8:9], s[4:5], 0x68
	s_bcnt1_i32_b32 s6, s6
	v_mov_b32_e32 v2, 0
	v_mov_b32_e32 v3, s6
	s_waitcnt lgkmcnt(0)
	global_atomic_add v2, v2, v3, s[8:9] glc
.LBB91_3:
	s_or_b32 exec_lo, exec_lo, s3
	s_waitcnt vmcnt(0)
	v_readfirstlane_b32 s3, v2
	v_mov_b32_e32 v2, 0
	v_add_nc_u32_e32 v1, s3, v1
	ds_write_b32 v2, v1
.LBB91_4:
	s_or_b32 exec_lo, exec_lo, s2
	v_mov_b32_e32 v1, 0
	s_clause 0x2
	s_load_dwordx8 s[8:15], s[4:5], 0x0
	s_load_dword s30, s[4:5], 0x40
	s_load_dwordx8 s[16:23], s[4:5], 0x48
	s_waitcnt lgkmcnt(0)
	s_barrier
	buffer_gl0_inv
	ds_read_b32 v1, v1
	s_mov_b32 s3, 0
	s_waitcnt lgkmcnt(0)
	s_barrier
	buffer_gl0_inv
	s_barrier
	buffer_gl0_inv
	s_sub_u32 s6, 0, s10
	s_subb_u32 s7, 0, s11
	s_lshl_b64 s[4:5], s[10:11], 2
	s_mul_i32 s2, s29, s30
	s_sub_u32 s33, s8, s4
	s_mul_hi_u32 s31, s28, s30
	v_readfirstlane_b32 s27, v1
	s_subb_u32 s34, s9, s5
	s_sub_u32 s4, s12, s4
	s_subb_u32 s12, s13, s5
	s_add_i32 s13, s31, s2
	s_cmp_eq_u64 s[20:21], 0
	s_mul_i32 s2, s27, 0x300
	s_cselect_b32 s21, -1, 0
	s_sub_u32 s8, 0, s2
	s_subb_u32 s9, 0, 0
	s_lshl_b64 s[10:11], s[2:3], 2
	s_mul_i32 s2, s28, s30
	s_sub_u32 s30, s33, s10
	s_subb_u32 s31, s34, s11
	s_sub_u32 s5, s4, s10
	s_subb_u32 s20, s12, s11
	s_add_u32 s10, s2, s27
	s_addc_u32 s11, s13, 0
	s_add_u32 s16, s16, -1
	s_addc_u32 s17, s17, -1
	s_mul_i32 s13, s16, 0xfffffd00
	v_cmp_ge_u64_e64 s12, s[10:11], s[16:17]
	s_and_b32 vcc_lo, exec_lo, s12
	s_cbranch_vccz .LBB91_22
; %bb.5:
	v_add_co_u32 v1, s2, -4, s30
	v_add_co_ci_u32_e64 v2, null, -1, s31, s2
	s_add_i32 s16, s13, s26
	s_add_u32 s17, s30, -4
	v_cmp_gt_u32_e32 vcc_lo, s16, v0
	flat_load_dword v1, v[1:2]
	s_addc_u32 s33, s31, -1
	s_waitcnt vmcnt(0) lgkmcnt(0)
	v_mov_b32_e32 v2, v1
	s_and_saveexec_b32 s3, vcc_lo
	s_cbranch_execz .LBB91_7
; %bb.6:
	v_lshlrev_b32_e32 v2, 2, v0
	v_sub_co_u32 v2, s2, s30, v2
	v_sub_co_ci_u32_e64 v3, null, s31, 0, s2
	v_add_co_u32 v2, s2, -4, v2
	v_add_co_ci_u32_e64 v3, null, -1, v3, s2
	flat_load_dword v2, v[2:3]
.LBB91_7:
	s_or_b32 exec_lo, exec_lo, s3
	v_or_b32_e32 v3, 0x100, v0
	v_cmp_gt_u32_e64 s2, s16, v3
	v_lshlrev_b32_e32 v9, 2, v3
	v_mov_b32_e32 v3, v1
	s_and_saveexec_b32 s4, s2
	s_cbranch_execz .LBB91_9
; %bb.8:
	v_sub_co_u32 v3, s3, s30, v9
	v_sub_co_ci_u32_e64 v4, null, s31, 0, s3
	v_add_co_u32 v3, s3, -4, v3
	v_add_co_ci_u32_e64 v4, null, -1, v4, s3
	flat_load_dword v3, v[3:4]
.LBB91_9:
	s_or_b32 exec_lo, exec_lo, s4
	v_or_b32_e32 v4, 0x200, v0
	v_cmp_gt_u32_e64 s3, s16, v4
	v_lshlrev_b32_e32 v8, 2, v4
	s_and_saveexec_b32 s34, s3
	s_cbranch_execz .LBB91_11
; %bb.10:
	v_sub_co_u32 v1, s4, s30, v8
	v_sub_co_ci_u32_e64 v5, null, s31, 0, s4
	v_add_co_u32 v4, s4, -4, v1
	v_add_co_ci_u32_e64 v5, null, -1, v5, s4
	flat_load_dword v1, v[4:5]
.LBB91_11:
	s_or_b32 exec_lo, exec_lo, s34
	s_lshl_b64 s[34:35], s[10:11], 2
	v_lshlrev_b32_e32 v10, 2, v0
	s_add_u32 s4, s22, s34
	s_addc_u32 s34, s23, s35
	s_add_u32 s4, s4, -4
	s_addc_u32 s34, s34, -1
	s_and_b32 s35, s21, exec_lo
	s_cselect_b32 s4, s30, s4
	s_cselect_b32 s34, s31, s34
	s_cmp_eq_u64 s[10:11], 0
	s_waitcnt vmcnt(0) lgkmcnt(0)
	ds_write2st64_b32 v10, v2, v3 offset1:4
	s_cselect_b32 s4, s17, s4
	s_cselect_b32 s17, s33, s34
	v_mov_b32_e32 v2, s4
	v_mov_b32_e32 v3, s17
	ds_write_b32 v10, v1 offset:2048
	s_waitcnt lgkmcnt(0)
	s_barrier
	buffer_gl0_inv
	flat_load_dword v13, v[2:3]
	v_lshlrev_b32_e32 v1, 3, v0
	v_add_nc_u32_e32 v7, v10, v1
	ds_read_b32 v6, v7 offset:8
	ds_read2_b32 v[4:5], v7 offset1:1
	s_waitcnt lgkmcnt(1)
	ds_write_b32 v10, v6 offset:3072
	s_waitcnt vmcnt(0) lgkmcnt(0)
	s_barrier
	buffer_gl0_inv
	s_and_saveexec_b32 s4, s1
; %bb.12:
	v_sub_nc_u32_e32 v1, 0, v1
	v_add_nc_u32_e32 v1, v7, v1
	ds_read_b32 v13, v1 offset:3068
; %bb.13:
	s_or_b32 exec_lo, exec_lo, s4
	v_mov_b32_e32 v1, 0
	s_waitcnt lgkmcnt(0)
	s_barrier
	buffer_gl0_inv
	v_mov_b32_e32 v2, v1
	v_mov_b32_e32 v3, v1
	s_and_saveexec_b32 s4, vcc_lo
	s_cbranch_execnz .LBB91_94
; %bb.14:
	s_or_b32 exec_lo, exec_lo, s4
	s_and_saveexec_b32 s4, s2
	s_cbranch_execnz .LBB91_95
.LBB91_15:
	s_or_b32 exec_lo, exec_lo, s4
	v_mul_u32_u24_e32 v14, 3, v0
	s_and_saveexec_b32 s2, s3
	s_cbranch_execz .LBB91_17
.LBB91_16:
	v_sub_co_u32 v3, s3, s5, v8
	v_sub_co_ci_u32_e64 v9, null, s20, 0, s3
	v_add_co_u32 v8, vcc_lo, -4, v3
	v_add_co_ci_u32_e64 v9, null, -1, v9, vcc_lo
	flat_load_dword v3, v[8:9]
.LBB91_17:
	s_or_b32 exec_lo, exec_lo, s2
	s_waitcnt vmcnt(0) lgkmcnt(0)
	ds_write2st64_b32 v10, v1, v2 offset1:4
	ds_write_b32 v10, v3 offset:2048
	v_mov_b32_e32 v9, 0
	v_mov_b32_e32 v11, 0
	;; [unrolled: 1-line block ×4, first 2 shown]
	s_mov_b32 s17, 0
	s_mov_b32 s3, 0
	s_mov_b32 s33, exec_lo
	s_waitcnt lgkmcnt(0)
	s_barrier
	buffer_gl0_inv
                                        ; implicit-def: $sgpr4
                                        ; implicit-def: $vgpr2
	v_cmpx_gt_u32_e64 s16, v14
	s_cbranch_execz .LBB91_21
; %bb.18:
	ds_read_b32 v9, v7
	v_cmp_ne_u32_e32 vcc_lo, v13, v4
	v_mov_b32_e32 v11, 0
	v_add_nc_u32_e32 v1, 1, v14
	v_mov_b32_e32 v12, 0
	s_mov_b32 s2, 0
	v_cndmask_b32_e64 v10, 0, 1, vcc_lo
	s_mov_b32 s3, exec_lo
                                        ; implicit-def: $sgpr4
                                        ; implicit-def: $vgpr2
	v_cmpx_gt_u32_e64 s16, v1
	s_xor_b32 s3, exec_lo, s3
	s_cbranch_execz .LBB91_20
; %bb.19:
	ds_read2_b32 v[1:2], v7 offset0:1 offset1:2
	v_add_nc_u32_e32 v3, 2, v14
	v_cmp_ne_u32_e64 s2, v4, v5
	v_cmp_ne_u32_e64 s4, v5, v6
	v_cmp_gt_u32_e32 vcc_lo, s16, v3
	v_cndmask_b32_e64 v12, 0, 1, s2
	s_and_b32 s2, vcc_lo, exec_lo
	s_waitcnt lgkmcnt(0)
	v_mov_b32_e32 v11, v1
.LBB91_20:
	s_or_b32 exec_lo, exec_lo, s3
	s_and_b32 s3, s2, exec_lo
.LBB91_21:
	s_or_b32 exec_lo, exec_lo, s33
	v_lshlrev_b32_e32 v18, 2, v0
	v_lshlrev_b32_e32 v19, 3, v0
	s_and_b32 vcc_lo, exec_lo, s17
	s_cbranch_vccnz .LBB91_23
	s_branch .LBB91_26
.LBB91_22:
                                        ; implicit-def: $sgpr4
                                        ; implicit-def: $vgpr2
                                        ; implicit-def: $vgpr9_vgpr10
                                        ; implicit-def: $vgpr11_vgpr12
	v_lshlrev_b32_e32 v18, 2, v0
	v_lshlrev_b32_e32 v19, 3, v0
	s_cbranch_execz .LBB91_26
.LBB91_23:
	v_sub_co_u32 v3, s2, s30, v18
	v_sub_co_ci_u32_e64 v4, null, s31, 0, s2
	s_add_u32 s4, s30, -4
	v_add_co_u32 v1, vcc_lo, v3, 0xfffffbfc
	v_add_co_ci_u32_e64 v2, null, -1, v4, vcc_lo
	v_add_co_u32 v3, vcc_lo, 0xfffff7fc, v3
	v_add_co_ci_u32_e64 v4, null, -1, v4, vcc_lo
	s_clause 0x2
	flat_load_dword v5, v[1:2] offset:1024
	flat_load_dword v6, v[1:2]
	flat_load_dword v3, v[3:4]
	s_addc_u32 s16, s31, -1
	s_lshl_b64 s[2:3], s[10:11], 2
	s_waitcnt vmcnt(1) lgkmcnt(1)
	ds_write2st64_b32 v18, v5, v6 offset1:4
	s_waitcnt vmcnt(0) lgkmcnt(1)
	ds_write_b32 v18, v3 offset:2048
	s_add_u32 s2, s22, s2
	s_addc_u32 s3, s23, s3
	s_add_u32 s2, s2, -4
	s_addc_u32 s3, s3, -1
	s_and_b32 s17, s21, exec_lo
	s_cselect_b32 s2, s30, s2
	s_cselect_b32 s3, s31, s3
	s_cmp_eq_u64 s[10:11], 0
	s_waitcnt lgkmcnt(0)
	s_cselect_b32 s2, s4, s2
	s_cselect_b32 s3, s16, s3
	v_mov_b32_e32 v1, s2
	v_mov_b32_e32 v2, s3
	s_barrier
	buffer_gl0_inv
	v_add_nc_u32_e32 v5, v18, v19
	s_mov_b32 s3, -1
	flat_load_dword v7, v[1:2]
	ds_read_b32 v6, v5 offset:8
	ds_read2_b32 v[3:4], v5 offset1:1
	v_sub_co_u32 v1, s2, 0, v0
	v_sub_co_ci_u32_e64 v2, null, 0, 0, s2
	s_waitcnt lgkmcnt(1)
	ds_write_b32 v18, v6 offset:3072
	s_waitcnt vmcnt(0) lgkmcnt(0)
	s_barrier
	buffer_gl0_inv
	s_and_saveexec_b32 s2, s1
; %bb.24:
	v_sub_nc_u32_e32 v7, 0, v19
	v_add_nc_u32_e32 v7, v5, v7
	ds_read_b32 v7, v7 offset:3068
; %bb.25:
	s_or_b32 exec_lo, exec_lo, s2
	v_lshlrev_b64 v[1:2], 2, v[1:2]
	s_waitcnt lgkmcnt(0)
	s_barrier
	buffer_gl0_inv
	v_cmp_ne_u32_e64 s4, v4, v6
	v_add_co_u32 v8, vcc_lo, s5, v1
	v_add_co_ci_u32_e64 v9, null, s20, v2, vcc_lo
	v_add_co_u32 v1, vcc_lo, v8, 0xfffffbfc
	v_add_co_ci_u32_e64 v2, null, -1, v9, vcc_lo
	v_add_co_u32 v8, vcc_lo, 0xfffff7fc, v8
	v_add_co_ci_u32_e64 v9, null, -1, v9, vcc_lo
	s_clause 0x2
	flat_load_dword v10, v[1:2] offset:1024
	flat_load_dword v1, v[1:2]
	flat_load_dword v2, v[8:9]
	v_cmp_ne_u32_e32 vcc_lo, v7, v3
	s_waitcnt vmcnt(1) lgkmcnt(1)
	ds_write2st64_b32 v18, v10, v1 offset1:4
	s_waitcnt vmcnt(0) lgkmcnt(1)
	ds_write_b32 v18, v2 offset:2048
	s_waitcnt lgkmcnt(0)
	s_barrier
	buffer_gl0_inv
	ds_read2_b32 v[13:14], v5 offset1:1
	ds_read_b32 v2, v5 offset:8
	v_cndmask_b32_e64 v10, 0, 1, vcc_lo
	v_cmp_ne_u32_e32 vcc_lo, v3, v4
	v_cndmask_b32_e64 v12, 0, 1, vcc_lo
	s_waitcnt lgkmcnt(1)
	v_mov_b32_e32 v9, v13
	v_mov_b32_e32 v11, v14
.LBB91_26:
	v_mov_b32_e32 v13, 0
	v_mov_b32_e32 v14, 0
	s_and_saveexec_b32 s2, s3
	s_cbranch_execz .LBB91_28
; %bb.27:
	v_cndmask_b32_e64 v14, 0, 1, s4
	s_waitcnt lgkmcnt(0)
	v_mov_b32_e32 v13, v2
.LBB91_28:
	s_or_b32 exec_lo, exec_lo, s2
	v_or_b32_e32 v23, v12, v14
	v_mbcnt_lo_u32_b32 v20, -1, 0
	v_lshrrev_b32_e32 v21, 5, v0
	v_or_b32_e32 v22, 31, v0
	s_cmp_lg_u32 s27, 0
	s_mov_b32 s4, 0
	s_waitcnt lgkmcnt(0)
	s_barrier
	buffer_gl0_inv
	s_cbranch_scc0 .LBB91_54
; %bb.29:
	v_and_b32_e32 v2, 0xff, v23
	v_mov_b32_e32 v1, 0
	s_mov_b32 s5, 1
	v_max_i32_e32 v3, v11, v9
	v_cmp_gt_u64_e64 s2, s[4:5], v[11:12]
	v_cmp_gt_u64_e64 s3, s[4:5], v[13:14]
	v_cmp_eq_u64_e32 vcc_lo, 0, v[1:2]
	v_and_b32_e32 v8, 15, v20
	s_mov_b32 s5, exec_lo
	v_cndmask_b32_e64 v3, v11, v3, s2
	v_cndmask_b32_e32 v2, 1, v10, vcc_lo
	v_max_i32_e32 v3, v13, v3
	v_and_b32_e32 v4, 0xff, v2
	v_and_b32_e32 v7, 1, v2
	v_cndmask_b32_e64 v3, v13, v3, s3
	v_mov_b32_dpp v5, v4 row_shr:1 row_mask:0xf bank_mask:0xf
	v_cmp_eq_u32_e32 vcc_lo, 1, v7
	v_mov_b32_dpp v6, v3 row_shr:1 row_mask:0xf bank_mask:0xf
	v_and_b32_e32 v5, 1, v5
	v_max_i32_e32 v6, v3, v6
	v_cndmask_b32_e64 v5, v5, 1, vcc_lo
	v_cmp_eq_u16_e32 vcc_lo, 0, v4
	v_cndmask_b32_e32 v6, v3, v6, vcc_lo
	v_cmp_eq_u32_e32 vcc_lo, 0, v8
	v_cndmask_b32_e32 v4, v5, v4, vcc_lo
	v_cndmask_b32_e32 v2, v5, v2, vcc_lo
	;; [unrolled: 1-line block ×3, first 2 shown]
	v_mov_b32_dpp v5, v4 row_shr:2 row_mask:0xf bank_mask:0xf
	v_and_b32_e32 v6, 1, v2
	v_cmp_eq_u16_sdwa s4, v2, v1 src0_sel:BYTE_0 src1_sel:DWORD
	v_and_b32_e32 v5, 1, v5
	v_cmp_eq_u32_e32 vcc_lo, 1, v6
	v_cndmask_b32_e64 v5, v5, 1, vcc_lo
	v_cmp_lt_u32_e32 vcc_lo, 1, v8
	v_cndmask_b32_e32 v6, v2, v5, vcc_lo
	v_cndmask_b32_e32 v4, v4, v5, vcc_lo
	v_mov_b32_dpp v5, v3 row_shr:2 row_mask:0xf bank_mask:0xf
	s_and_b32 vcc_lo, vcc_lo, s4
	v_cmp_eq_u16_sdwa s4, v6, v1 src0_sel:BYTE_0 src1_sel:DWORD
	v_mov_b32_dpp v7, v4 row_shr:4 row_mask:0xf bank_mask:0xf
	v_max_i32_e32 v2, v3, v5
	v_and_b32_e32 v5, 1, v6
	v_and_b32_e32 v7, 1, v7
	v_cndmask_b32_e32 v2, v3, v2, vcc_lo
	v_cmp_eq_u32_e32 vcc_lo, 1, v5
	v_mov_b32_dpp v5, v2 row_shr:4 row_mask:0xf bank_mask:0xf
	v_cndmask_b32_e64 v3, v7, 1, vcc_lo
	v_cmp_lt_u32_e32 vcc_lo, 3, v8
	v_cndmask_b32_e32 v7, v6, v3, vcc_lo
	v_cndmask_b32_e32 v3, v4, v3, vcc_lo
	v_max_i32_e32 v4, v2, v5
	s_and_b32 vcc_lo, vcc_lo, s4
	v_cmp_eq_u16_sdwa s4, v7, v1 src0_sel:BYTE_0 src1_sel:DWORD
	v_mov_b32_dpp v5, v3 row_shr:8 row_mask:0xf bank_mask:0xf
	v_cndmask_b32_e32 v2, v2, v4, vcc_lo
	v_and_b32_e32 v4, 1, v7
	v_and_b32_e32 v5, 1, v5
	v_mov_b32_dpp v6, v2 row_shr:8 row_mask:0xf bank_mask:0xf
	v_cmp_eq_u32_e32 vcc_lo, 1, v4
	v_cndmask_b32_e64 v4, v5, 1, vcc_lo
	v_cmp_lt_u32_e32 vcc_lo, 7, v8
	v_max_i32_e32 v5, v2, v6
	v_and_b32_e32 v8, 16, v20
	v_cndmask_b32_e32 v6, v7, v4, vcc_lo
	v_cndmask_b32_e32 v3, v3, v4, vcc_lo
	s_and_b32 vcc_lo, vcc_lo, s4
	v_cndmask_b32_e32 v2, v2, v5, vcc_lo
	v_and_b32_e32 v7, 1, v6
	ds_swizzle_b32 v4, v3 offset:swizzle(BROADCAST,32,15)
	v_cmp_eq_u16_sdwa s4, v6, v1 src0_sel:BYTE_0 src1_sel:DWORD
	ds_swizzle_b32 v5, v2 offset:swizzle(BROADCAST,32,15)
	v_cmp_eq_u32_e32 vcc_lo, 1, v7
	s_waitcnt lgkmcnt(1)
	v_and_b32_e32 v4, 1, v4
	s_waitcnt lgkmcnt(0)
	v_max_i32_e32 v5, v2, v5
	v_cndmask_b32_e64 v4, v4, 1, vcc_lo
	v_cmp_eq_u32_e32 vcc_lo, 0, v8
	v_cndmask_b32_e64 v1, v2, v5, s4
	v_lshlrev_b32_e32 v5, 3, v21
	v_cndmask_b32_e32 v4, v4, v3, vcc_lo
	v_cndmask_b32_e32 v3, v1, v2, vcc_lo
	v_cmpx_eq_u32_e64 v0, v22
	s_cbranch_execz .LBB91_31
; %bb.30:
	ds_write_b32 v5, v3
	ds_write_b8 v5, v4 offset:4
.LBB91_31:
	s_or_b32 exec_lo, exec_lo, s5
	s_mov_b32 s4, exec_lo
	s_waitcnt lgkmcnt(0)
	s_barrier
	buffer_gl0_inv
	v_cmpx_gt_u32_e32 8, v0
	s_cbranch_execz .LBB91_37
; %bb.32:
	ds_read_b64 v[1:2], v19
	v_and_b32_e32 v6, 7, v20
	s_mov_b32 s5, exec_lo
	s_waitcnt lgkmcnt(0)
	v_and_b32_e32 v7, 0xffffff00, v2
	v_mov_b32_dpp v15, v1 row_shr:1 row_mask:0xf bank_mask:0xf
	v_mov_b32_dpp v16, v2 row_shr:1 row_mask:0xf bank_mask:0xf
	v_mov_b32_e32 v8, v2
	v_cmpx_ne_u32_e32 0, v6
	s_cbranch_execz .LBB91_34
; %bb.33:
	v_and_b32_e32 v8, 1, v2
	v_and_b32_e32 v16, 1, v16
	v_mov_b32_e32 v17, 0
	v_max_i32_e32 v15, v1, v15
	v_cmp_eq_u32_e32 vcc_lo, 1, v8
	v_cndmask_b32_e64 v16, v16, 1, vcc_lo
	v_cmp_eq_u16_sdwa vcc_lo, v2, v17 src0_sel:BYTE_0 src1_sel:DWORD
	v_or_b32_sdwa v8, v7, v16 dst_sel:DWORD dst_unused:UNUSED_PAD src0_sel:DWORD src1_sel:WORD_0
	v_cndmask_b32_e32 v1, v1, v15, vcc_lo
	v_mov_b32_e32 v2, v16
.LBB91_34:
	s_or_b32 exec_lo, exec_lo, s5
	v_mov_b32_dpp v15, v1 row_shr:2 row_mask:0xf bank_mask:0xf
	v_mov_b32_dpp v16, v8 row_shr:2 row_mask:0xf bank_mask:0xf
	s_mov_b32 s5, exec_lo
	v_cmpx_lt_u32_e32 1, v6
	s_cbranch_execz .LBB91_36
; %bb.35:
	v_and_b32_e32 v8, 1, v2
	v_and_b32_e32 v16, 1, v16
	v_mov_b32_e32 v17, 0
	v_max_i32_e32 v15, v1, v15
	v_cmp_eq_u32_e32 vcc_lo, 1, v8
	v_cndmask_b32_e64 v16, v16, 1, vcc_lo
	v_cmp_eq_u16_sdwa vcc_lo, v2, v17 src0_sel:BYTE_0 src1_sel:DWORD
	v_or_b32_sdwa v8, v7, v16 dst_sel:DWORD dst_unused:UNUSED_PAD src0_sel:DWORD src1_sel:WORD_0
	v_cndmask_b32_e32 v1, v1, v15, vcc_lo
	v_mov_b32_e32 v2, v16
.LBB91_36:
	s_or_b32 exec_lo, exec_lo, s5
	v_mov_b32_dpp v7, v8 row_shr:4 row_mask:0xf bank_mask:0xf
	v_and_b32_e32 v15, 1, v2
	v_mov_b32_e32 v8, 0
	v_mov_b32_dpp v16, v1 row_shr:4 row_mask:0xf bank_mask:0xf
	v_and_b32_e32 v7, 1, v7
	v_cmp_eq_u32_e32 vcc_lo, 1, v15
	v_cmp_eq_u16_sdwa s5, v2, v8 src0_sel:BYTE_0 src1_sel:DWORD
	v_cndmask_b32_e64 v7, v7, 1, vcc_lo
	v_cmp_lt_u32_e32 vcc_lo, 3, v6
	v_max_i32_e32 v6, v1, v16
	v_cndmask_b32_e32 v2, v2, v7, vcc_lo
	s_and_b32 vcc_lo, vcc_lo, s5
	v_cndmask_b32_e32 v1, v1, v6, vcc_lo
	ds_write_b32 v19, v1
	ds_write_b8 v19, v2 offset:4
.LBB91_37:
	s_or_b32 exec_lo, exec_lo, s4
	v_mov_b32_e32 v24, 0
	v_mov_b32_e32 v25, 0
	s_mov_b32 s5, exec_lo
	v_cmp_gt_u32_e32 vcc_lo, 32, v0
	s_waitcnt lgkmcnt(0)
	s_barrier
	buffer_gl0_inv
	v_cmpx_lt_u32_e32 31, v0
	s_cbranch_execz .LBB91_39
; %bb.38:
	v_add_nc_u32_e32 v1, -8, v5
	v_and_b32_e32 v2, 1, v4
	v_cmp_eq_u32_e64 s4, 0, v4
	ds_read_b32 v24, v1
	v_add_nc_u32_e32 v1, -4, v5
	ds_read_u8 v25, v1
	s_waitcnt lgkmcnt(1)
	v_max_i32_e32 v1, v3, v24
	v_cndmask_b32_e64 v3, v3, v1, s4
	v_cmp_eq_u32_e64 s4, 1, v2
	s_waitcnt lgkmcnt(0)
	v_cndmask_b32_e64 v4, v25, 1, s4
.LBB91_39:
	s_or_b32 exec_lo, exec_lo, s5
	v_sub_co_u32 v1, s4, v20, 1
	v_cmp_gt_i32_e64 s5, 0, v1
	v_cndmask_b32_e64 v1, v1, v20, s5
	v_lshlrev_b32_e32 v1, 2, v1
	ds_bpermute_b32 v27, v1, v3
	ds_bpermute_b32 v26, v1, v4
	s_and_saveexec_b32 s16, vcc_lo
	s_cbranch_execz .LBB91_59
; %bb.40:
	v_mov_b32_e32 v4, 0
	ds_read_b64 v[1:2], v4 offset:56
	s_and_saveexec_b32 s5, s4
	s_cbranch_execz .LBB91_42
; %bb.41:
	s_add_i32 s10, s27, 32
	s_mov_b32 s11, 0
	v_mov_b32_e32 v3, 1
	s_lshl_b64 s[10:11], s[10:11], 4
	s_add_u32 s10, s24, s10
	s_addc_u32 s11, s25, s11
	v_mov_b32_e32 v5, s10
	v_mov_b32_e32 v6, s11
	s_waitcnt lgkmcnt(0)
	;;#ASMSTART
	global_store_dwordx4 v[5:6], v[1:4] off	
s_waitcnt vmcnt(0)
	;;#ASMEND
.LBB91_42:
	s_or_b32 exec_lo, exec_lo, s5
	v_xad_u32 v15, v20, -1, s27
	s_mov_b32 s10, 0
	v_add_nc_u32_e32 v3, 32, v15
	v_lshlrev_b64 v[5:6], 4, v[3:4]
	v_add_co_u32 v16, vcc_lo, s24, v5
	v_add_co_ci_u32_e64 v17, null, s25, v6, vcc_lo
	;;#ASMSTART
	global_load_dwordx4 v[5:8], v[16:17] off glc dlc	
s_waitcnt vmcnt(0)
	;;#ASMEND
	v_and_b32_e32 v6, 0xff, v6
	v_cmp_eq_u16_sdwa s11, v7, v4 src0_sel:BYTE_0 src1_sel:DWORD
	s_and_saveexec_b32 s5, s11
	s_cbranch_execz .LBB91_46
; %bb.43:
	v_mov_b32_e32 v3, 0
.LBB91_44:                              ; =>This Inner Loop Header: Depth=1
	;;#ASMSTART
	global_load_dwordx4 v[5:8], v[16:17] off glc dlc	
s_waitcnt vmcnt(0)
	;;#ASMEND
	v_cmp_ne_u16_sdwa s11, v7, v3 src0_sel:BYTE_0 src1_sel:DWORD
	s_or_b32 s10, s11, s10
	s_andn2_b32 exec_lo, exec_lo, s10
	s_cbranch_execnz .LBB91_44
; %bb.45:
	s_or_b32 exec_lo, exec_lo, s10
	v_and_b32_e32 v6, 0xff, v6
.LBB91_46:
	s_or_b32 exec_lo, exec_lo, s5
	v_cmp_ne_u32_e32 vcc_lo, 31, v20
	v_mov_b32_e32 v28, 2
	v_lshlrev_b32_e64 v29, v20, -1
	v_and_b32_e32 v8, 1, v6
	s_mov_b32 s10, 0
	v_add_co_ci_u32_e64 v3, null, 0, v20, vcc_lo
	v_cmp_eq_u16_sdwa s5, v7, v28 src0_sel:BYTE_0 src1_sel:DWORD
	v_cmp_eq_u32_e32 vcc_lo, 1, v8
	s_mov_b32 s11, 1
	v_lshlrev_b32_e32 v17, 2, v3
	v_add_nc_u32_e32 v37, 8, v20
	v_and_or_b32 v4, s5, v29, 0x80000000
	v_cmp_gt_u64_e64 s5, s[10:11], v[5:6]
	v_lshl_or_b32 v38, v20, 2, 64
	ds_bpermute_b32 v3, v17, v6
	ds_bpermute_b32 v16, v17, v5
	v_ffbl_b32_e32 v4, v4
	v_add_nc_u32_e32 v39, 16, v20
	s_waitcnt lgkmcnt(1)
	v_and_b32_e32 v3, 1, v3
	s_waitcnt lgkmcnt(0)
	v_max_i32_e32 v16, v5, v16
	v_cndmask_b32_e64 v3, v3, 1, vcc_lo
	v_cmp_gt_u32_e32 vcc_lo, 30, v20
	v_and_b32_e32 v31, 0xffff, v3
	v_cndmask_b32_e64 v8, 0, 2, vcc_lo
	v_cmp_lt_u32_e32 vcc_lo, v20, v4
	v_add_lshl_u32 v30, v8, v20, 2
	v_cndmask_b32_e32 v8, v6, v31, vcc_lo
	v_cndmask_b32_e32 v3, v6, v3, vcc_lo
	s_and_b32 vcc_lo, vcc_lo, s5
	v_add_nc_u32_e32 v31, 2, v20
	v_cndmask_b32_e32 v5, v5, v16, vcc_lo
	ds_bpermute_b32 v6, v30, v8
	v_and_b32_e32 v16, 1, v3
	ds_bpermute_b32 v32, v30, v5
	v_cmp_eq_u32_e32 vcc_lo, 1, v16
	v_mov_b32_e32 v16, 0
	v_cmp_eq_u16_sdwa s5, v3, v16 src0_sel:BYTE_0 src1_sel:DWORD
	s_waitcnt lgkmcnt(1)
	v_and_b32_e32 v6, 1, v6
	s_waitcnt lgkmcnt(0)
	v_max_i32_e32 v35, v5, v32
	v_cndmask_b32_e64 v6, v6, 1, vcc_lo
	v_cmp_gt_u32_e32 vcc_lo, 28, v20
	v_and_b32_e32 v34, 0xffff, v6
	v_cndmask_b32_e64 v33, 0, 4, vcc_lo
	v_cmp_gt_u32_e32 vcc_lo, v31, v4
	v_add_lshl_u32 v32, v33, v20, 2
	v_cndmask_b32_e32 v8, v34, v8, vcc_lo
	v_cndmask_b32_e32 v6, v6, v3, vcc_lo
	v_cndmask_b32_e64 v3, v5, v35, s5
	ds_bpermute_b32 v33, v32, v8
	v_and_b32_e32 v34, 1, v6
	v_cndmask_b32_e32 v3, v3, v5, vcc_lo
	v_cmp_eq_u16_sdwa s5, v6, v16 src0_sel:BYTE_0 src1_sel:DWORD
	v_cmp_eq_u32_e32 vcc_lo, 1, v34
	ds_bpermute_b32 v5, v32, v3
	s_waitcnt lgkmcnt(1)
	v_and_b32_e32 v35, 1, v33
	v_add_nc_u32_e32 v33, 4, v20
	v_cndmask_b32_e64 v35, v35, 1, vcc_lo
	v_cmp_gt_u32_e32 vcc_lo, 24, v20
	s_waitcnt lgkmcnt(0)
	v_max_i32_e32 v5, v3, v5
	v_and_b32_e32 v36, 0xffff, v35
	v_cndmask_b32_e64 v34, 0, 8, vcc_lo
	v_cmp_gt_u32_e32 vcc_lo, v33, v4
	v_cndmask_b32_e64 v5, v3, v5, s5
	v_add_lshl_u32 v34, v34, v20, 2
	v_cndmask_b32_e32 v8, v36, v8, vcc_lo
	v_cndmask_b32_e32 v3, v5, v3, vcc_lo
	;; [unrolled: 1-line block ×3, first 2 shown]
	ds_bpermute_b32 v5, v34, v8
	ds_bpermute_b32 v35, v34, v3
	v_and_b32_e32 v36, 1, v6
	v_cmp_eq_u32_e32 vcc_lo, 1, v36
	s_waitcnt lgkmcnt(1)
	v_and_b32_e32 v5, 1, v5
	s_waitcnt lgkmcnt(0)
	v_max_i32_e32 v35, v3, v35
	v_cndmask_b32_e64 v5, v5, 1, vcc_lo
	v_cmp_eq_u16_sdwa vcc_lo, v6, v16 src0_sel:BYTE_0 src1_sel:DWORD
	v_and_b32_e32 v36, 0xffff, v5
	v_cndmask_b32_e32 v35, v3, v35, vcc_lo
	v_cmp_gt_u32_e32 vcc_lo, v37, v4
	v_cndmask_b32_e32 v3, v35, v3, vcc_lo
	v_cndmask_b32_e32 v5, v5, v6, vcc_lo
	v_cndmask_b32_e32 v6, v36, v8, vcc_lo
	ds_bpermute_b32 v8, v38, v3
	v_and_b32_e32 v35, 1, v5
	ds_bpermute_b32 v6, v38, v6
	v_cmp_eq_u16_sdwa vcc_lo, v5, v16 src0_sel:BYTE_0 src1_sel:DWORD
	s_waitcnt lgkmcnt(1)
	v_max_i32_e32 v8, v3, v8
	s_waitcnt lgkmcnt(0)
	v_and_b32_e32 v6, 1, v6
	v_cndmask_b32_e32 v8, v3, v8, vcc_lo
	v_cmp_eq_u32_e32 vcc_lo, 1, v35
	v_cndmask_b32_e64 v6, v6, 1, vcc_lo
	v_cmp_gt_u32_e32 vcc_lo, v39, v4
	v_cndmask_b32_e32 v4, v6, v5, vcc_lo
	v_cndmask_b32_e32 v3, v8, v3, vcc_lo
	s_branch .LBB91_50
.LBB91_47:                              ;   in Loop: Header=BB91_50 Depth=1
	s_or_b32 exec_lo, exec_lo, s17
	v_and_b32_e32 v6, 0xff, v6
.LBB91_48:                              ;   in Loop: Header=BB91_50 Depth=1
	s_or_b32 exec_lo, exec_lo, s5
	ds_bpermute_b32 v3, v17, v6
	v_cmp_eq_u16_sdwa s5, v7, v28 src0_sel:BYTE_0 src1_sel:DWORD
	v_and_b32_e32 v4, 1, v6
	ds_bpermute_b32 v40, v17, v5
	v_subrev_nc_u32_e32 v15, 32, v15
	v_and_or_b32 v8, s5, v29, 0x80000000
	v_cmp_eq_u32_e32 vcc_lo, 1, v4
	v_cmp_gt_u64_e64 s5, s[10:11], v[5:6]
	v_ffbl_b32_e32 v4, v8
	s_waitcnt lgkmcnt(1)
	v_and_b32_e32 v3, 1, v3
	s_waitcnt lgkmcnt(0)
	v_max_i32_e32 v40, v5, v40
	v_cndmask_b32_e64 v3, v3, 1, vcc_lo
	v_cmp_lt_u32_e32 vcc_lo, v20, v4
	v_and_b32_e32 v8, 0xffff, v3
	v_cndmask_b32_e32 v3, v6, v3, vcc_lo
	v_cndmask_b32_e32 v8, v6, v8, vcc_lo
	s_and_b32 vcc_lo, vcc_lo, s5
	v_and_b32_e32 v41, 1, v3
	v_cndmask_b32_e32 v5, v5, v40, vcc_lo
	v_cmp_eq_u16_sdwa s5, v3, v16 src0_sel:BYTE_0 src1_sel:DWORD
	ds_bpermute_b32 v6, v30, v8
	v_cmp_eq_u32_e32 vcc_lo, 1, v41
	ds_bpermute_b32 v40, v30, v5
	s_waitcnt lgkmcnt(1)
	v_and_b32_e32 v6, 1, v6
	s_waitcnt lgkmcnt(0)
	v_max_i32_e32 v40, v5, v40
	v_cndmask_b32_e64 v6, v6, 1, vcc_lo
	v_cmp_gt_u32_e32 vcc_lo, v31, v4
	v_and_b32_e32 v41, 0xffff, v6
	v_cndmask_b32_e32 v6, v6, v3, vcc_lo
	v_cndmask_b32_e64 v3, v5, v40, s5
	v_cndmask_b32_e32 v8, v41, v8, vcc_lo
	v_and_b32_e32 v41, 1, v6
	v_cndmask_b32_e32 v3, v3, v5, vcc_lo
	v_cmp_eq_u16_sdwa s5, v6, v16 src0_sel:BYTE_0 src1_sel:DWORD
	ds_bpermute_b32 v40, v32, v8
	v_cmp_eq_u32_e32 vcc_lo, 1, v41
	ds_bpermute_b32 v5, v32, v3
	s_waitcnt lgkmcnt(1)
	v_and_b32_e32 v40, 1, v40
	s_waitcnt lgkmcnt(0)
	v_max_i32_e32 v5, v3, v5
	v_cndmask_b32_e64 v40, v40, 1, vcc_lo
	v_cmp_gt_u32_e32 vcc_lo, v33, v4
	v_cndmask_b32_e64 v5, v3, v5, s5
	s_mov_b32 s5, 0
	v_and_b32_e32 v41, 0xffff, v40
	v_cndmask_b32_e32 v6, v40, v6, vcc_lo
	v_cndmask_b32_e32 v3, v5, v3, vcc_lo
	;; [unrolled: 1-line block ×3, first 2 shown]
	v_and_b32_e32 v41, 1, v6
	ds_bpermute_b32 v40, v34, v3
	ds_bpermute_b32 v5, v34, v8
	v_cmp_eq_u32_e32 vcc_lo, 1, v41
	s_waitcnt lgkmcnt(1)
	v_max_i32_e32 v40, v3, v40
	s_waitcnt lgkmcnt(0)
	v_and_b32_e32 v5, 1, v5
	v_cndmask_b32_e64 v5, v5, 1, vcc_lo
	v_cmp_eq_u16_sdwa vcc_lo, v6, v16 src0_sel:BYTE_0 src1_sel:DWORD
	v_and_b32_e32 v41, 0xffff, v5
	v_cndmask_b32_e32 v40, v3, v40, vcc_lo
	v_cmp_gt_u32_e32 vcc_lo, v37, v4
	v_cndmask_b32_e32 v5, v5, v6, vcc_lo
	v_cndmask_b32_e32 v3, v40, v3, vcc_lo
	;; [unrolled: 1-line block ×3, first 2 shown]
	v_and_b32_e32 v40, 1, v5
	ds_bpermute_b32 v8, v38, v3
	ds_bpermute_b32 v6, v38, v6
	v_cmp_eq_u32_e32 vcc_lo, 1, v40
	s_waitcnt lgkmcnt(1)
	v_max_i32_e32 v8, v3, v8
	s_waitcnt lgkmcnt(0)
	v_cndmask_b32_e64 v6, v6, 1, vcc_lo
	v_cmp_eq_u16_sdwa vcc_lo, v5, v16 src0_sel:BYTE_0 src1_sel:DWORD
	v_cndmask_b32_e32 v8, v3, v8, vcc_lo
	v_cmp_gt_u32_e32 vcc_lo, v39, v4
	v_cndmask_b32_e32 v3, v8, v3, vcc_lo
	v_cndmask_b32_e32 v4, v6, v5, vcc_lo
	v_and_b32_e32 v5, 1, v35
	v_cmp_eq_u16_sdwa vcc_lo, v35, v16 src0_sel:BYTE_0 src1_sel:DWORD
	v_max_i32_e32 v3, v36, v3
	v_and_b32_e32 v4, 1, v4
	v_cndmask_b32_e32 v3, v36, v3, vcc_lo
	v_cmp_eq_u32_e32 vcc_lo, 1, v5
	v_cndmask_b32_e64 v4, v4, 1, vcc_lo
.LBB91_49:                              ;   in Loop: Header=BB91_50 Depth=1
	s_and_b32 vcc_lo, exec_lo, s5
	s_cbranch_vccnz .LBB91_55
.LBB91_50:                              ; =>This Loop Header: Depth=1
                                        ;     Child Loop BB91_53 Depth 2
	v_cmp_ne_u16_sdwa s5, v7, v28 src0_sel:BYTE_0 src1_sel:DWORD
	v_mov_b32_e32 v35, v4
	v_mov_b32_e32 v36, v3
                                        ; implicit-def: $vgpr4
                                        ; implicit-def: $vgpr3
                                        ; implicit-def: $vgpr7
	s_cmp_lg_u32 s5, exec_lo
	s_mov_b32 s5, -1
	s_cbranch_scc1 .LBB91_49
; %bb.51:                               ;   in Loop: Header=BB91_50 Depth=1
	v_lshlrev_b64 v[3:4], 4, v[15:16]
	v_add_co_u32 v3, vcc_lo, s24, v3
	v_add_co_ci_u32_e64 v4, null, s25, v4, vcc_lo
	;;#ASMSTART
	global_load_dwordx4 v[5:8], v[3:4] off glc dlc	
s_waitcnt vmcnt(0)
	;;#ASMEND
	v_and_b32_e32 v6, 0xff, v6
	v_cmp_eq_u16_sdwa s17, v7, v16 src0_sel:BYTE_0 src1_sel:DWORD
	s_and_saveexec_b32 s5, s17
	s_cbranch_execz .LBB91_48
; %bb.52:                               ;   in Loop: Header=BB91_50 Depth=1
	s_mov_b32 s17, 0
.LBB91_53:                              ;   Parent Loop BB91_50 Depth=1
                                        ; =>  This Inner Loop Header: Depth=2
	;;#ASMSTART
	global_load_dwordx4 v[5:8], v[3:4] off glc dlc	
s_waitcnt vmcnt(0)
	;;#ASMEND
	v_cmp_ne_u16_sdwa s20, v7, v16 src0_sel:BYTE_0 src1_sel:DWORD
	s_or_b32 s17, s20, s17
	s_andn2_b32 exec_lo, exec_lo, s17
	s_cbranch_execnz .LBB91_53
	s_branch .LBB91_47
.LBB91_54:
                                        ; implicit-def: $vgpr7
                                        ; implicit-def: $vgpr5
                                        ; implicit-def: $vgpr6
	s_cbranch_execnz .LBB91_60
	s_branch .LBB91_77
.LBB91_55:
	s_and_saveexec_b32 s5, s4
	s_cbranch_execz .LBB91_57
; %bb.56:
	v_mov_b32_e32 v4, 0
	v_max_i32_e32 v3, v1, v36
	v_and_b32_e32 v5, 1, v2
	s_mov_b32 s11, 0
	s_add_i32 s10, s27, 32
	v_cmp_eq_u32_sdwa vcc_lo, v2, v4 src0_sel:BYTE_0 src1_sel:DWORD
	v_and_b32_e32 v6, 1, v35
	s_lshl_b64 s[10:11], s[10:11], 4
	s_add_u32 s10, s24, s10
	v_cndmask_b32_e32 v1, v1, v3, vcc_lo
	v_cmp_eq_u32_e32 vcc_lo, 1, v5
	s_addc_u32 s11, s25, s11
	v_mov_b32_e32 v3, 2
	v_cndmask_b32_e64 v2, v6, 1, vcc_lo
	v_mov_b32_e32 v5, s10
	v_mov_b32_e32 v6, s11
	;;#ASMSTART
	global_store_dwordx4 v[5:6], v[1:4] off	
s_waitcnt vmcnt(0)
	;;#ASMEND
.LBB91_57:
	s_or_b32 exec_lo, exec_lo, s5
	s_and_b32 exec_lo, exec_lo, s0
	s_cbranch_execz .LBB91_59
; %bb.58:
	v_mov_b32_e32 v1, 0
	ds_write_b32 v1, v36 offset:56
	ds_write_b8 v1, v35 offset:60
.LBB91_59:
	s_or_b32 exec_lo, exec_lo, s16
	v_mov_b32_e32 v1, 0
	s_waitcnt lgkmcnt(1)
	v_cndmask_b32_e64 v2, v27, v24, s4
	s_waitcnt lgkmcnt(0)
	v_cndmask_b32_e64 v4, v26, v25, s4
	s_mov_b32 s5, 1
	s_mov_b32 s4, 0
	v_cmp_gt_u64_e32 vcc_lo, s[4:5], v[9:10]
	s_barrier
	buffer_gl0_inv
	ds_read_b32 v3, v1 offset:56
	v_max_i32_e32 v2, v9, v2
	v_and_b32_e32 v5, 1, v10
	v_and_b32_e32 v4, 1, v4
	v_cndmask_b32_e32 v2, v9, v2, vcc_lo
	v_cmp_eq_u32_e32 vcc_lo, 1, v5
	v_cndmask_b32_e64 v2, v2, v9, s0
	v_cndmask_b32_e64 v4, v4, 1, vcc_lo
	v_cndmask_b32_e64 v4, v4, v10, s0
	s_waitcnt lgkmcnt(0)
	v_max_i32_e32 v3, v2, v3
	v_cmp_eq_u16_sdwa vcc_lo, v4, v1 src0_sel:BYTE_0 src1_sel:DWORD
	v_cndmask_b32_e32 v7, v2, v3, vcc_lo
	v_max_i32_e32 v1, v11, v7
	v_cndmask_b32_e64 v5, v11, v1, s2
	v_max_i32_e32 v1, v13, v5
	v_cndmask_b32_e64 v6, v13, v1, s3
	s_branch .LBB91_77
.LBB91_60:
	s_cmp_lg_u64 s[28:29], 0
	s_cselect_b32 s2, -1, 0
	s_cmp_lg_u64 s[18:19], 0
	s_cselect_b32 s3, -1, 0
	s_and_b32 s2, s2, s3
	s_and_b32 s3, s0, s2
	s_and_saveexec_b32 s2, s3
	s_cbranch_execz .LBB91_62
; %bb.61:
	v_mov_b32_e32 v1, 0
	s_mov_b32 s4, 0
	s_mov_b32 s5, 1
	v_and_b32_e32 v2, 1, v10
	v_cmp_gt_u64_e32 vcc_lo, s[4:5], v[9:10]
	s_clause 0x1
	global_load_dword v3, v1, s[18:19]
	global_load_ubyte v4, v1, s[18:19] offset:4
	s_waitcnt vmcnt(1)
	v_max_i32_e32 v3, v9, v3
	s_waitcnt vmcnt(0)
	v_and_b32_e32 v4, 1, v4
	v_cndmask_b32_e32 v9, v9, v3, vcc_lo
	v_cmp_eq_u64_e32 vcc_lo, 0, v[1:2]
	v_cndmask_b32_e32 v10, 1, v4, vcc_lo
.LBB91_62:
	s_or_b32 exec_lo, exec_lo, s2
	v_and_b32_e32 v2, 0xff, v23
	v_mov_b32_e32 v1, 0
	s_mov_b32 s4, 0
	s_mov_b32 s5, 1
	v_max_i32_e32 v4, v11, v9
	v_and_b32_e32 v7, 15, v20
	v_cmp_eq_u64_e32 vcc_lo, 0, v[1:2]
	v_cmp_eq_u32_e64 s3, 0, v7
	v_cndmask_b32_e32 v2, 1, v10, vcc_lo
	v_cmp_gt_u64_e32 vcc_lo, s[4:5], v[11:12]
	v_and_b32_e32 v3, 0xff, v2
	v_cndmask_b32_e32 v5, v11, v4, vcc_lo
	v_and_b32_e32 v4, 1, v2
	v_mov_b32_dpp v6, v3 row_shr:1 row_mask:0xf bank_mask:0xf
	v_max_i32_e32 v8, v13, v5
	v_cmp_eq_u32_e64 s2, 1, v4
	v_and_b32_e32 v6, 1, v6
	v_cndmask_b32_e64 v4, v6, 1, s2
	v_cmp_gt_u64_e64 s2, s[4:5], v[13:14]
	v_cmp_eq_u16_e64 s4, 0, v3
	v_cndmask_b32_e64 v2, v4, v2, s3
	v_cndmask_b32_e64 v6, v13, v8, s2
	;; [unrolled: 1-line block ×3, first 2 shown]
	v_and_b32_e32 v14, 1, v2
	v_mov_b32_dpp v12, v6 row_shr:1 row_mask:0xf bank_mask:0xf
	v_mov_b32_dpp v4, v8 row_shr:2 row_mask:0xf bank_mask:0xf
	v_max_i32_e32 v12, v6, v12
	v_and_b32_e32 v4, 1, v4
	v_cndmask_b32_e64 v3, v6, v12, s4
	v_cmp_eq_u32_e64 s4, 1, v14
	v_cndmask_b32_e64 v3, v3, v6, s3
	v_cndmask_b32_e64 v4, v4, 1, s4
	v_cmp_lt_u32_e64 s4, 1, v7
	v_cmp_eq_u16_sdwa s3, v2, v1 src0_sel:BYTE_0 src1_sel:DWORD
	v_cndmask_b32_e64 v12, v2, v4, s4
	v_cndmask_b32_e64 v4, v8, v4, s4
	v_mov_b32_dpp v8, v3 row_shr:2 row_mask:0xf bank_mask:0xf
	s_and_b32 s3, s4, s3
	v_cmp_eq_u16_sdwa s4, v12, v1 src0_sel:BYTE_0 src1_sel:DWORD
	v_mov_b32_dpp v14, v4 row_shr:4 row_mask:0xf bank_mask:0xf
	v_max_i32_e32 v2, v3, v8
	v_and_b32_e32 v8, 1, v12
	v_and_b32_e32 v14, 1, v14
	v_cndmask_b32_e64 v2, v3, v2, s3
	v_cmp_eq_u32_e64 s3, 1, v8
	v_mov_b32_dpp v8, v2 row_shr:4 row_mask:0xf bank_mask:0xf
	v_cndmask_b32_e64 v3, v14, 1, s3
	v_cmp_lt_u32_e64 s3, 3, v7
	v_cndmask_b32_e64 v14, v12, v3, s3
	v_cndmask_b32_e64 v3, v4, v3, s3
	v_max_i32_e32 v4, v2, v8
	s_and_b32 s3, s3, s4
	v_cmp_eq_u16_sdwa s4, v14, v1 src0_sel:BYTE_0 src1_sel:DWORD
	v_mov_b32_dpp v8, v3 row_shr:8 row_mask:0xf bank_mask:0xf
	v_cndmask_b32_e64 v2, v2, v4, s3
	v_and_b32_e32 v4, 1, v14
	v_and_b32_e32 v8, 1, v8
	v_mov_b32_dpp v12, v2 row_shr:8 row_mask:0xf bank_mask:0xf
	v_cmp_eq_u32_e64 s3, 1, v4
	v_cndmask_b32_e64 v4, v8, 1, s3
	v_cmp_lt_u32_e64 s3, 7, v7
	v_max_i32_e32 v7, v2, v12
	s_and_b32 s4, s3, s4
	v_cndmask_b32_e64 v8, v14, v4, s3
	v_cndmask_b32_e64 v2, v2, v7, s4
	;; [unrolled: 1-line block ×3, first 2 shown]
	v_and_b32_e32 v14, 16, v20
	s_mov_b32 s4, exec_lo
	v_and_b32_e32 v12, 1, v8
	ds_swizzle_b32 v4, v2 offset:swizzle(BROADCAST,32,15)
	ds_swizzle_b32 v7, v3 offset:swizzle(BROADCAST,32,15)
	v_cmp_eq_u16_sdwa s3, v8, v1 src0_sel:BYTE_0 src1_sel:DWORD
	s_waitcnt lgkmcnt(1)
	v_max_i32_e32 v4, v2, v4
	s_waitcnt lgkmcnt(0)
	v_and_b32_e32 v7, 1, v7
	v_cndmask_b32_e64 v1, v2, v4, s3
	v_cmp_eq_u32_e64 s3, 1, v12
	v_cndmask_b32_e64 v4, v7, 1, s3
	v_cmp_eq_u32_e64 s3, 0, v14
	v_cndmask_b32_e64 v4, v4, v3, s3
	v_cndmask_b32_e64 v3, v1, v2, s3
	v_cmpx_eq_u32_e64 v0, v22
	s_cbranch_execz .LBB91_64
; %bb.63:
	v_lshlrev_b32_e32 v1, 3, v21
	ds_write_b32 v1, v3
	ds_write_b8 v1, v4 offset:4
.LBB91_64:
	s_or_b32 exec_lo, exec_lo, s4
	s_mov_b32 s4, exec_lo
	s_waitcnt lgkmcnt(0)
	s_barrier
	buffer_gl0_inv
	v_cmpx_gt_u32_e32 8, v0
	s_cbranch_execz .LBB91_70
; %bb.65:
	ds_read_b64 v[1:2], v19
	v_and_b32_e32 v7, 7, v20
	s_mov_b32 s5, exec_lo
	s_waitcnt lgkmcnt(0)
	v_and_b32_e32 v8, 0xffffff00, v2
	v_mov_b32_dpp v14, v1 row_shr:1 row_mask:0xf bank_mask:0xf
	v_mov_b32_dpp v15, v2 row_shr:1 row_mask:0xf bank_mask:0xf
	v_mov_b32_e32 v12, v2
	v_cmpx_ne_u32_e32 0, v7
	s_cbranch_execz .LBB91_67
; %bb.66:
	v_and_b32_e32 v12, 1, v2
	v_and_b32_e32 v15, 1, v15
	v_mov_b32_e32 v16, 0
	v_max_i32_e32 v14, v1, v14
	v_cmp_eq_u32_e64 s3, 1, v12
	v_cndmask_b32_e64 v15, v15, 1, s3
	v_cmp_eq_u16_sdwa s3, v2, v16 src0_sel:BYTE_0 src1_sel:DWORD
	v_or_b32_sdwa v12, v8, v15 dst_sel:DWORD dst_unused:UNUSED_PAD src0_sel:DWORD src1_sel:WORD_0
	v_cndmask_b32_e64 v1, v1, v14, s3
	v_mov_b32_e32 v2, v15
.LBB91_67:
	s_or_b32 exec_lo, exec_lo, s5
	v_mov_b32_dpp v14, v1 row_shr:2 row_mask:0xf bank_mask:0xf
	v_mov_b32_dpp v15, v12 row_shr:2 row_mask:0xf bank_mask:0xf
	s_mov_b32 s5, exec_lo
	v_cmpx_lt_u32_e32 1, v7
	s_cbranch_execz .LBB91_69
; %bb.68:
	v_and_b32_e32 v12, 1, v2
	v_and_b32_e32 v15, 1, v15
	v_mov_b32_e32 v16, 0
	v_max_i32_e32 v14, v1, v14
	v_cmp_eq_u32_e64 s3, 1, v12
	v_cndmask_b32_e64 v15, v15, 1, s3
	v_cmp_eq_u16_sdwa s3, v2, v16 src0_sel:BYTE_0 src1_sel:DWORD
	v_or_b32_sdwa v12, v8, v15 dst_sel:DWORD dst_unused:UNUSED_PAD src0_sel:DWORD src1_sel:WORD_0
	v_cndmask_b32_e64 v1, v1, v14, s3
	v_mov_b32_e32 v2, v15
.LBB91_69:
	s_or_b32 exec_lo, exec_lo, s5
	v_mov_b32_dpp v8, v12 row_shr:4 row_mask:0xf bank_mask:0xf
	v_and_b32_e32 v14, 1, v2
	v_mov_b32_e32 v12, 0
	v_mov_b32_dpp v15, v1 row_shr:4 row_mask:0xf bank_mask:0xf
	v_and_b32_e32 v8, 1, v8
	v_cmp_eq_u32_e64 s3, 1, v14
	v_cmp_eq_u16_sdwa s5, v2, v12 src0_sel:BYTE_0 src1_sel:DWORD
	v_cndmask_b32_e64 v8, v8, 1, s3
	v_cmp_lt_u32_e64 s3, 3, v7
	v_max_i32_e32 v7, v1, v15
	v_cndmask_b32_e64 v2, v2, v8, s3
	s_and_b32 s3, s3, s5
	v_cndmask_b32_e64 v1, v1, v7, s3
	ds_write_b32 v19, v1
	ds_write_b8 v19, v2 offset:4
.LBB91_70:
	s_or_b32 exec_lo, exec_lo, s4
	v_mov_b32_e32 v1, 0
	s_mov_b32 s4, exec_lo
	s_waitcnt lgkmcnt(0)
	s_barrier
	buffer_gl0_inv
	v_cmpx_lt_u32_e32 31, v0
	s_cbranch_execz .LBB91_72
; %bb.71:
	v_lshl_add_u32 v1, v21, 3, -8
	v_cmp_eq_u32_e64 s3, 0, v4
	ds_read_b32 v1, v1
	s_waitcnt lgkmcnt(0)
	v_max_i32_e32 v2, v3, v1
	v_cndmask_b32_e64 v3, v3, v2, s3
.LBB91_72:
	s_or_b32 exec_lo, exec_lo, s4
	v_add_nc_u32_e32 v2, -1, v20
	s_mov_b32 s4, 0
	v_cmp_gt_i32_e64 s3, 0, v2
	v_cndmask_b32_e64 v2, v2, v20, s3
	v_lshlrev_b32_e32 v2, 2, v2
	ds_bpermute_b32 v2, v2, v3
	s_and_saveexec_b32 s3, s1
	s_cbranch_execz .LBB91_74
; %bb.73:
	v_cmp_eq_u32_e64 s1, 0, v20
	s_mov_b32 s5, 1
	;;#ASMSTART
	;;#ASMEND
	s_waitcnt lgkmcnt(0)
	v_cndmask_b32_e64 v1, v2, v1, s1
	v_cmp_gt_u64_e64 s1, s[4:5], v[9:10]
	v_max_i32_e32 v1, v9, v1
	v_cndmask_b32_e64 v9, v9, v1, s1
	v_max_i32_e32 v1, v11, v9
	v_cndmask_b32_e32 v5, v11, v1, vcc_lo
	v_max_i32_e32 v1, v13, v5
	v_cndmask_b32_e64 v6, v13, v1, s2
.LBB91_74:
	s_or_b32 exec_lo, exec_lo, s3
	s_and_saveexec_b32 s1, s0
	s_cbranch_execz .LBB91_76
; %bb.75:
	v_mov_b32_e32 v4, 0
	s_add_u32 s2, s24, 0x200
	s_addc_u32 s3, s25, 0
	v_mov_b32_e32 v3, 2
	v_mov_b32_e32 v8, s3
	ds_read_b32 v1, v4 offset:56
	s_waitcnt lgkmcnt(1)
	ds_read_u8 v2, v4 offset:60
	v_mov_b32_e32 v7, s2
	s_waitcnt lgkmcnt(0)
	;;#ASMSTART
	global_store_dwordx4 v[7:8], v[1:4] off	
s_waitcnt vmcnt(0)
	;;#ASMEND
.LBB91_76:
	s_or_b32 exec_lo, exec_lo, s1
	v_mov_b32_e32 v7, v9
.LBB91_77:
	s_lshl_b64 s[0:1], s[6:7], 2
	s_add_u32 s2, s14, s0
	s_addc_u32 s3, s15, s1
	s_lshl_b64 s[0:1], s[8:9], 2
	s_add_u32 s0, s2, s0
	s_addc_u32 s1, s3, s1
	s_and_b32 vcc_lo, exec_lo, s12
	s_cbranch_vccz .LBB91_89
; %bb.78:
	v_mul_u32_u24_e32 v1, 3, v0
	v_mov_b32_e32 v8, 0
	v_mov_b32_e32 v3, 0
	s_waitcnt lgkmcnt(0)
	v_mov_b32_e32 v2, 0
	s_add_i32 s13, s13, s26
	s_mov_b32 s2, exec_lo
	v_cmpx_gt_u32_e64 s13, v1
	s_cbranch_execz .LBB91_84
; %bb.79:
	v_add_nc_u32_e32 v3, 1, v1
	v_mov_b32_e32 v2, 0
	v_cmp_gt_u32_e32 vcc_lo, s13, v3
	v_mov_b32_e32 v3, 0
	s_and_saveexec_b32 s3, vcc_lo
	s_cbranch_execz .LBB91_83
; %bb.80:
	v_add_nc_u32_e32 v2, 2, v1
	v_cmp_gt_u32_e32 vcc_lo, s13, v2
	v_mov_b32_e32 v2, 0
	s_and_saveexec_b32 s4, vcc_lo
; %bb.81:
	v_mov_b32_e32 v2, v6
; %bb.82:
	s_or_b32 exec_lo, exec_lo, s4
	v_mov_b32_e32 v3, v5
.LBB91_83:
	s_or_b32 exec_lo, exec_lo, s3
	v_mov_b32_e32 v8, v7
.LBB91_84:
	s_or_b32 exec_lo, exec_lo, s2
	v_lshlrev_b32_e32 v4, 2, v1
	s_barrier
	buffer_gl0_inv
	v_sub_nc_u32_e32 v1, v4, v19
	ds_write2_b32 v4, v8, v3 offset1:1
	ds_write_b32 v4, v2 offset:8
	s_waitcnt lgkmcnt(0)
	s_barrier
	buffer_gl0_inv
	ds_read2st64_b32 v[1:2], v1 offset0:4 offset1:8
	v_sub_co_u32 v8, s2, s0, v18
	v_sub_co_ci_u32_e64 v9, null, s1, 0, s2
	s_mov_b32 s2, exec_lo
	v_cmpx_gt_u32_e64 s13, v0
	s_cbranch_execz .LBB91_86
; %bb.85:
	v_sub_nc_u32_e32 v3, 0, v19
	v_add_nc_u32_e32 v3, v4, v3
	ds_read_b32 v10, v3
	v_add_co_u32 v3, vcc_lo, -4, v8
	v_add_co_ci_u32_e64 v4, null, -1, v9, vcc_lo
	s_waitcnt lgkmcnt(0)
	flat_store_dword v[3:4], v10
.LBB91_86:
	s_or_b32 exec_lo, exec_lo, s2
	v_sub_co_u32 v3, s2, 0, v0
	v_or_b32_e32 v10, 0x100, v0
	v_sub_co_ci_u32_e64 v4, null, 0, 0, s2
	s_mov_b32 s2, exec_lo
	v_cmpx_gt_u32_e64 s13, v10
	s_cbranch_execz .LBB91_88
; %bb.87:
	v_add_co_u32 v8, vcc_lo, 0xfffffbfc, v8
	v_add_co_ci_u32_e64 v9, null, -1, v9, vcc_lo
	s_waitcnt lgkmcnt(0)
	flat_store_dword v[8:9], v1
.LBB91_88:
	s_or_b32 exec_lo, exec_lo, s2
	s_waitcnt lgkmcnt(0)
	v_or_b32_e32 v1, 0x200, v0
	v_cmp_gt_u32_e64 s2, s13, v1
	s_branch .LBB91_91
.LBB91_89:
	s_mov_b32 s2, 0
                                        ; implicit-def: $vgpr2
                                        ; implicit-def: $vgpr3_vgpr4
	s_cbranch_execz .LBB91_91
; %bb.90:
	v_mul_u32_u24_e32 v1, 12, v0
	s_waitcnt lgkmcnt(0)
	s_waitcnt_vscnt null, 0x0
	s_barrier
	buffer_gl0_inv
	s_or_b32 s2, s2, exec_lo
	v_sub_nc_u32_e32 v2, v1, v19
	ds_write2_b32 v1, v7, v5 offset1:1
	ds_write_b32 v1, v6 offset:8
	s_waitcnt lgkmcnt(0)
	s_barrier
	buffer_gl0_inv
	ds_read2st64_b32 v[5:6], v2 offset1:4
	ds_read_b32 v2, v2 offset:2048
	v_sub_co_u32 v1, s3, s0, v18
	v_sub_co_ci_u32_e64 v3, null, s1, 0, s3
	v_add_co_u32 v7, vcc_lo, v1, 0xfffffbfc
	v_add_co_ci_u32_e64 v8, null, -1, v3, vcc_lo
	v_sub_co_u32 v3, s3, 0, v0
	v_sub_co_ci_u32_e64 v4, null, 0, 0, s3
	s_waitcnt lgkmcnt(1)
	flat_store_dword v[7:8], v5 offset:1024
	flat_store_dword v[7:8], v6
.LBB91_91:
	s_and_saveexec_b32 s3, s2
	s_cbranch_execnz .LBB91_93
; %bb.92:
	s_endpgm
.LBB91_93:
	v_lshlrev_b64 v[0:1], 2, v[3:4]
	v_add_co_u32 v0, vcc_lo, s0, v0
	v_add_co_ci_u32_e64 v1, null, s1, v1, vcc_lo
	v_add_co_u32 v0, vcc_lo, 0xfffff7fc, v0
	v_add_co_ci_u32_e64 v1, null, -1, v1, vcc_lo
	s_waitcnt lgkmcnt(0)
	flat_store_dword v[0:1], v2
	s_endpgm
.LBB91_94:
	v_sub_co_u32 v2, s17, s5, v10
	v_sub_co_ci_u32_e64 v3, null, s20, 0, s17
	v_mov_b32_e32 v15, v1
	v_add_co_u32 v2, vcc_lo, -4, v2
	v_add_co_ci_u32_e64 v3, null, -1, v3, vcc_lo
	v_mov_b32_e32 v16, v1
	flat_load_dword v14, v[2:3]
	s_waitcnt vmcnt(0) lgkmcnt(0)
	v_mov_b32_e32 v1, v14
	v_mov_b32_e32 v2, v15
	;; [unrolled: 1-line block ×3, first 2 shown]
	s_or_b32 exec_lo, exec_lo, s4
	s_and_saveexec_b32 s4, s2
	s_cbranch_execz .LBB91_15
.LBB91_95:
	v_sub_co_u32 v2, s2, s5, v9
	v_sub_co_ci_u32_e64 v9, null, s20, 0, s2
	v_add_co_u32 v11, vcc_lo, -4, v2
	v_add_co_ci_u32_e64 v12, null, -1, v9, vcc_lo
	flat_load_dword v2, v[11:12]
	s_or_b32 exec_lo, exec_lo, s4
	v_mul_u32_u24_e32 v14, 3, v0
	s_and_saveexec_b32 s2, s3
	s_cbranch_execnz .LBB91_16
	s_branch .LBB91_17
	.section	.rodata,"a",@progbits
	.p2align	6, 0x0
	.amdhsa_kernel _ZN7rocprim17ROCPRIM_400000_NS6detail17trampoline_kernelINS0_14default_configENS1_27scan_by_key_config_selectorIiiEEZZNS1_16scan_by_key_implILNS1_25lookback_scan_determinismE0ELb0ES3_N6thrust23THRUST_200600_302600_NS16reverse_iteratorIPKiEESD_NSA_IPiEEiN6hipcub16HIPCUB_304000_NS3MaxENSH_8EqualityEiEE10hipError_tPvRmT2_T3_T4_T5_mT6_T7_P12ihipStream_tbENKUlT_T0_E_clISt17integral_constantIbLb0EESZ_IbLb1EEEEDaSV_SW_EUlSV_E_NS1_11comp_targetILNS1_3genE8ELNS1_11target_archE1030ELNS1_3gpuE2ELNS1_3repE0EEENS1_30default_config_static_selectorELNS0_4arch9wavefront6targetE0EEEvT1_
		.amdhsa_group_segment_fixed_size 5120
		.amdhsa_private_segment_fixed_size 0
		.amdhsa_kernarg_size 112
		.amdhsa_user_sgpr_count 6
		.amdhsa_user_sgpr_private_segment_buffer 1
		.amdhsa_user_sgpr_dispatch_ptr 0
		.amdhsa_user_sgpr_queue_ptr 0
		.amdhsa_user_sgpr_kernarg_segment_ptr 1
		.amdhsa_user_sgpr_dispatch_id 0
		.amdhsa_user_sgpr_flat_scratch_init 0
		.amdhsa_user_sgpr_private_segment_size 0
		.amdhsa_wavefront_size32 1
		.amdhsa_uses_dynamic_stack 0
		.amdhsa_system_sgpr_private_segment_wavefront_offset 0
		.amdhsa_system_sgpr_workgroup_id_x 1
		.amdhsa_system_sgpr_workgroup_id_y 0
		.amdhsa_system_sgpr_workgroup_id_z 0
		.amdhsa_system_sgpr_workgroup_info 0
		.amdhsa_system_vgpr_workitem_id 0
		.amdhsa_next_free_vgpr 42
		.amdhsa_next_free_sgpr 36
		.amdhsa_reserve_vcc 1
		.amdhsa_reserve_flat_scratch 1
		.amdhsa_float_round_mode_32 0
		.amdhsa_float_round_mode_16_64 0
		.amdhsa_float_denorm_mode_32 3
		.amdhsa_float_denorm_mode_16_64 3
		.amdhsa_dx10_clamp 1
		.amdhsa_ieee_mode 1
		.amdhsa_fp16_overflow 0
		.amdhsa_workgroup_processor_mode 1
		.amdhsa_memory_ordered 1
		.amdhsa_forward_progress 1
		.amdhsa_shared_vgpr_count 0
		.amdhsa_exception_fp_ieee_invalid_op 0
		.amdhsa_exception_fp_denorm_src 0
		.amdhsa_exception_fp_ieee_div_zero 0
		.amdhsa_exception_fp_ieee_overflow 0
		.amdhsa_exception_fp_ieee_underflow 0
		.amdhsa_exception_fp_ieee_inexact 0
		.amdhsa_exception_int_div_zero 0
	.end_amdhsa_kernel
	.section	.text._ZN7rocprim17ROCPRIM_400000_NS6detail17trampoline_kernelINS0_14default_configENS1_27scan_by_key_config_selectorIiiEEZZNS1_16scan_by_key_implILNS1_25lookback_scan_determinismE0ELb0ES3_N6thrust23THRUST_200600_302600_NS16reverse_iteratorIPKiEESD_NSA_IPiEEiN6hipcub16HIPCUB_304000_NS3MaxENSH_8EqualityEiEE10hipError_tPvRmT2_T3_T4_T5_mT6_T7_P12ihipStream_tbENKUlT_T0_E_clISt17integral_constantIbLb0EESZ_IbLb1EEEEDaSV_SW_EUlSV_E_NS1_11comp_targetILNS1_3genE8ELNS1_11target_archE1030ELNS1_3gpuE2ELNS1_3repE0EEENS1_30default_config_static_selectorELNS0_4arch9wavefront6targetE0EEEvT1_,"axG",@progbits,_ZN7rocprim17ROCPRIM_400000_NS6detail17trampoline_kernelINS0_14default_configENS1_27scan_by_key_config_selectorIiiEEZZNS1_16scan_by_key_implILNS1_25lookback_scan_determinismE0ELb0ES3_N6thrust23THRUST_200600_302600_NS16reverse_iteratorIPKiEESD_NSA_IPiEEiN6hipcub16HIPCUB_304000_NS3MaxENSH_8EqualityEiEE10hipError_tPvRmT2_T3_T4_T5_mT6_T7_P12ihipStream_tbENKUlT_T0_E_clISt17integral_constantIbLb0EESZ_IbLb1EEEEDaSV_SW_EUlSV_E_NS1_11comp_targetILNS1_3genE8ELNS1_11target_archE1030ELNS1_3gpuE2ELNS1_3repE0EEENS1_30default_config_static_selectorELNS0_4arch9wavefront6targetE0EEEvT1_,comdat
.Lfunc_end91:
	.size	_ZN7rocprim17ROCPRIM_400000_NS6detail17trampoline_kernelINS0_14default_configENS1_27scan_by_key_config_selectorIiiEEZZNS1_16scan_by_key_implILNS1_25lookback_scan_determinismE0ELb0ES3_N6thrust23THRUST_200600_302600_NS16reverse_iteratorIPKiEESD_NSA_IPiEEiN6hipcub16HIPCUB_304000_NS3MaxENSH_8EqualityEiEE10hipError_tPvRmT2_T3_T4_T5_mT6_T7_P12ihipStream_tbENKUlT_T0_E_clISt17integral_constantIbLb0EESZ_IbLb1EEEEDaSV_SW_EUlSV_E_NS1_11comp_targetILNS1_3genE8ELNS1_11target_archE1030ELNS1_3gpuE2ELNS1_3repE0EEENS1_30default_config_static_selectorELNS0_4arch9wavefront6targetE0EEEvT1_, .Lfunc_end91-_ZN7rocprim17ROCPRIM_400000_NS6detail17trampoline_kernelINS0_14default_configENS1_27scan_by_key_config_selectorIiiEEZZNS1_16scan_by_key_implILNS1_25lookback_scan_determinismE0ELb0ES3_N6thrust23THRUST_200600_302600_NS16reverse_iteratorIPKiEESD_NSA_IPiEEiN6hipcub16HIPCUB_304000_NS3MaxENSH_8EqualityEiEE10hipError_tPvRmT2_T3_T4_T5_mT6_T7_P12ihipStream_tbENKUlT_T0_E_clISt17integral_constantIbLb0EESZ_IbLb1EEEEDaSV_SW_EUlSV_E_NS1_11comp_targetILNS1_3genE8ELNS1_11target_archE1030ELNS1_3gpuE2ELNS1_3repE0EEENS1_30default_config_static_selectorELNS0_4arch9wavefront6targetE0EEEvT1_
                                        ; -- End function
	.set _ZN7rocprim17ROCPRIM_400000_NS6detail17trampoline_kernelINS0_14default_configENS1_27scan_by_key_config_selectorIiiEEZZNS1_16scan_by_key_implILNS1_25lookback_scan_determinismE0ELb0ES3_N6thrust23THRUST_200600_302600_NS16reverse_iteratorIPKiEESD_NSA_IPiEEiN6hipcub16HIPCUB_304000_NS3MaxENSH_8EqualityEiEE10hipError_tPvRmT2_T3_T4_T5_mT6_T7_P12ihipStream_tbENKUlT_T0_E_clISt17integral_constantIbLb0EESZ_IbLb1EEEEDaSV_SW_EUlSV_E_NS1_11comp_targetILNS1_3genE8ELNS1_11target_archE1030ELNS1_3gpuE2ELNS1_3repE0EEENS1_30default_config_static_selectorELNS0_4arch9wavefront6targetE0EEEvT1_.num_vgpr, 42
	.set _ZN7rocprim17ROCPRIM_400000_NS6detail17trampoline_kernelINS0_14default_configENS1_27scan_by_key_config_selectorIiiEEZZNS1_16scan_by_key_implILNS1_25lookback_scan_determinismE0ELb0ES3_N6thrust23THRUST_200600_302600_NS16reverse_iteratorIPKiEESD_NSA_IPiEEiN6hipcub16HIPCUB_304000_NS3MaxENSH_8EqualityEiEE10hipError_tPvRmT2_T3_T4_T5_mT6_T7_P12ihipStream_tbENKUlT_T0_E_clISt17integral_constantIbLb0EESZ_IbLb1EEEEDaSV_SW_EUlSV_E_NS1_11comp_targetILNS1_3genE8ELNS1_11target_archE1030ELNS1_3gpuE2ELNS1_3repE0EEENS1_30default_config_static_selectorELNS0_4arch9wavefront6targetE0EEEvT1_.num_agpr, 0
	.set _ZN7rocprim17ROCPRIM_400000_NS6detail17trampoline_kernelINS0_14default_configENS1_27scan_by_key_config_selectorIiiEEZZNS1_16scan_by_key_implILNS1_25lookback_scan_determinismE0ELb0ES3_N6thrust23THRUST_200600_302600_NS16reverse_iteratorIPKiEESD_NSA_IPiEEiN6hipcub16HIPCUB_304000_NS3MaxENSH_8EqualityEiEE10hipError_tPvRmT2_T3_T4_T5_mT6_T7_P12ihipStream_tbENKUlT_T0_E_clISt17integral_constantIbLb0EESZ_IbLb1EEEEDaSV_SW_EUlSV_E_NS1_11comp_targetILNS1_3genE8ELNS1_11target_archE1030ELNS1_3gpuE2ELNS1_3repE0EEENS1_30default_config_static_selectorELNS0_4arch9wavefront6targetE0EEEvT1_.numbered_sgpr, 36
	.set _ZN7rocprim17ROCPRIM_400000_NS6detail17trampoline_kernelINS0_14default_configENS1_27scan_by_key_config_selectorIiiEEZZNS1_16scan_by_key_implILNS1_25lookback_scan_determinismE0ELb0ES3_N6thrust23THRUST_200600_302600_NS16reverse_iteratorIPKiEESD_NSA_IPiEEiN6hipcub16HIPCUB_304000_NS3MaxENSH_8EqualityEiEE10hipError_tPvRmT2_T3_T4_T5_mT6_T7_P12ihipStream_tbENKUlT_T0_E_clISt17integral_constantIbLb0EESZ_IbLb1EEEEDaSV_SW_EUlSV_E_NS1_11comp_targetILNS1_3genE8ELNS1_11target_archE1030ELNS1_3gpuE2ELNS1_3repE0EEENS1_30default_config_static_selectorELNS0_4arch9wavefront6targetE0EEEvT1_.num_named_barrier, 0
	.set _ZN7rocprim17ROCPRIM_400000_NS6detail17trampoline_kernelINS0_14default_configENS1_27scan_by_key_config_selectorIiiEEZZNS1_16scan_by_key_implILNS1_25lookback_scan_determinismE0ELb0ES3_N6thrust23THRUST_200600_302600_NS16reverse_iteratorIPKiEESD_NSA_IPiEEiN6hipcub16HIPCUB_304000_NS3MaxENSH_8EqualityEiEE10hipError_tPvRmT2_T3_T4_T5_mT6_T7_P12ihipStream_tbENKUlT_T0_E_clISt17integral_constantIbLb0EESZ_IbLb1EEEEDaSV_SW_EUlSV_E_NS1_11comp_targetILNS1_3genE8ELNS1_11target_archE1030ELNS1_3gpuE2ELNS1_3repE0EEENS1_30default_config_static_selectorELNS0_4arch9wavefront6targetE0EEEvT1_.private_seg_size, 0
	.set _ZN7rocprim17ROCPRIM_400000_NS6detail17trampoline_kernelINS0_14default_configENS1_27scan_by_key_config_selectorIiiEEZZNS1_16scan_by_key_implILNS1_25lookback_scan_determinismE0ELb0ES3_N6thrust23THRUST_200600_302600_NS16reverse_iteratorIPKiEESD_NSA_IPiEEiN6hipcub16HIPCUB_304000_NS3MaxENSH_8EqualityEiEE10hipError_tPvRmT2_T3_T4_T5_mT6_T7_P12ihipStream_tbENKUlT_T0_E_clISt17integral_constantIbLb0EESZ_IbLb1EEEEDaSV_SW_EUlSV_E_NS1_11comp_targetILNS1_3genE8ELNS1_11target_archE1030ELNS1_3gpuE2ELNS1_3repE0EEENS1_30default_config_static_selectorELNS0_4arch9wavefront6targetE0EEEvT1_.uses_vcc, 1
	.set _ZN7rocprim17ROCPRIM_400000_NS6detail17trampoline_kernelINS0_14default_configENS1_27scan_by_key_config_selectorIiiEEZZNS1_16scan_by_key_implILNS1_25lookback_scan_determinismE0ELb0ES3_N6thrust23THRUST_200600_302600_NS16reverse_iteratorIPKiEESD_NSA_IPiEEiN6hipcub16HIPCUB_304000_NS3MaxENSH_8EqualityEiEE10hipError_tPvRmT2_T3_T4_T5_mT6_T7_P12ihipStream_tbENKUlT_T0_E_clISt17integral_constantIbLb0EESZ_IbLb1EEEEDaSV_SW_EUlSV_E_NS1_11comp_targetILNS1_3genE8ELNS1_11target_archE1030ELNS1_3gpuE2ELNS1_3repE0EEENS1_30default_config_static_selectorELNS0_4arch9wavefront6targetE0EEEvT1_.uses_flat_scratch, 1
	.set _ZN7rocprim17ROCPRIM_400000_NS6detail17trampoline_kernelINS0_14default_configENS1_27scan_by_key_config_selectorIiiEEZZNS1_16scan_by_key_implILNS1_25lookback_scan_determinismE0ELb0ES3_N6thrust23THRUST_200600_302600_NS16reverse_iteratorIPKiEESD_NSA_IPiEEiN6hipcub16HIPCUB_304000_NS3MaxENSH_8EqualityEiEE10hipError_tPvRmT2_T3_T4_T5_mT6_T7_P12ihipStream_tbENKUlT_T0_E_clISt17integral_constantIbLb0EESZ_IbLb1EEEEDaSV_SW_EUlSV_E_NS1_11comp_targetILNS1_3genE8ELNS1_11target_archE1030ELNS1_3gpuE2ELNS1_3repE0EEENS1_30default_config_static_selectorELNS0_4arch9wavefront6targetE0EEEvT1_.has_dyn_sized_stack, 0
	.set _ZN7rocprim17ROCPRIM_400000_NS6detail17trampoline_kernelINS0_14default_configENS1_27scan_by_key_config_selectorIiiEEZZNS1_16scan_by_key_implILNS1_25lookback_scan_determinismE0ELb0ES3_N6thrust23THRUST_200600_302600_NS16reverse_iteratorIPKiEESD_NSA_IPiEEiN6hipcub16HIPCUB_304000_NS3MaxENSH_8EqualityEiEE10hipError_tPvRmT2_T3_T4_T5_mT6_T7_P12ihipStream_tbENKUlT_T0_E_clISt17integral_constantIbLb0EESZ_IbLb1EEEEDaSV_SW_EUlSV_E_NS1_11comp_targetILNS1_3genE8ELNS1_11target_archE1030ELNS1_3gpuE2ELNS1_3repE0EEENS1_30default_config_static_selectorELNS0_4arch9wavefront6targetE0EEEvT1_.has_recursion, 0
	.set _ZN7rocprim17ROCPRIM_400000_NS6detail17trampoline_kernelINS0_14default_configENS1_27scan_by_key_config_selectorIiiEEZZNS1_16scan_by_key_implILNS1_25lookback_scan_determinismE0ELb0ES3_N6thrust23THRUST_200600_302600_NS16reverse_iteratorIPKiEESD_NSA_IPiEEiN6hipcub16HIPCUB_304000_NS3MaxENSH_8EqualityEiEE10hipError_tPvRmT2_T3_T4_T5_mT6_T7_P12ihipStream_tbENKUlT_T0_E_clISt17integral_constantIbLb0EESZ_IbLb1EEEEDaSV_SW_EUlSV_E_NS1_11comp_targetILNS1_3genE8ELNS1_11target_archE1030ELNS1_3gpuE2ELNS1_3repE0EEENS1_30default_config_static_selectorELNS0_4arch9wavefront6targetE0EEEvT1_.has_indirect_call, 0
	.section	.AMDGPU.csdata,"",@progbits
; Kernel info:
; codeLenInByte = 6544
; TotalNumSgprs: 38
; NumVgprs: 42
; ScratchSize: 0
; MemoryBound: 0
; FloatMode: 240
; IeeeMode: 1
; LDSByteSize: 5120 bytes/workgroup (compile time only)
; SGPRBlocks: 0
; VGPRBlocks: 5
; NumSGPRsForWavesPerEU: 38
; NumVGPRsForWavesPerEU: 42
; Occupancy: 16
; WaveLimiterHint : 1
; COMPUTE_PGM_RSRC2:SCRATCH_EN: 0
; COMPUTE_PGM_RSRC2:USER_SGPR: 6
; COMPUTE_PGM_RSRC2:TRAP_HANDLER: 0
; COMPUTE_PGM_RSRC2:TGID_X_EN: 1
; COMPUTE_PGM_RSRC2:TGID_Y_EN: 0
; COMPUTE_PGM_RSRC2:TGID_Z_EN: 0
; COMPUTE_PGM_RSRC2:TIDIG_COMP_CNT: 0
	.section	.text._ZN7rocprim17ROCPRIM_400000_NS6detail30init_device_scan_by_key_kernelINS1_19lookback_scan_stateINS0_5tupleIJlbEEELb0ELb0EEEPKljNS1_16block_id_wrapperIjLb0EEEEEvT_jjPNSB_10value_typeET0_PNSt15iterator_traitsISE_E10value_typeEmT1_T2_,"axG",@progbits,_ZN7rocprim17ROCPRIM_400000_NS6detail30init_device_scan_by_key_kernelINS1_19lookback_scan_stateINS0_5tupleIJlbEEELb0ELb0EEEPKljNS1_16block_id_wrapperIjLb0EEEEEvT_jjPNSB_10value_typeET0_PNSt15iterator_traitsISE_E10value_typeEmT1_T2_,comdat
	.protected	_ZN7rocprim17ROCPRIM_400000_NS6detail30init_device_scan_by_key_kernelINS1_19lookback_scan_stateINS0_5tupleIJlbEEELb0ELb0EEEPKljNS1_16block_id_wrapperIjLb0EEEEEvT_jjPNSB_10value_typeET0_PNSt15iterator_traitsISE_E10value_typeEmT1_T2_ ; -- Begin function _ZN7rocprim17ROCPRIM_400000_NS6detail30init_device_scan_by_key_kernelINS1_19lookback_scan_stateINS0_5tupleIJlbEEELb0ELb0EEEPKljNS1_16block_id_wrapperIjLb0EEEEEvT_jjPNSB_10value_typeET0_PNSt15iterator_traitsISE_E10value_typeEmT1_T2_
	.globl	_ZN7rocprim17ROCPRIM_400000_NS6detail30init_device_scan_by_key_kernelINS1_19lookback_scan_stateINS0_5tupleIJlbEEELb0ELb0EEEPKljNS1_16block_id_wrapperIjLb0EEEEEvT_jjPNSB_10value_typeET0_PNSt15iterator_traitsISE_E10value_typeEmT1_T2_
	.p2align	8
	.type	_ZN7rocprim17ROCPRIM_400000_NS6detail30init_device_scan_by_key_kernelINS1_19lookback_scan_stateINS0_5tupleIJlbEEELb0ELb0EEEPKljNS1_16block_id_wrapperIjLb0EEEEEvT_jjPNSB_10value_typeET0_PNSt15iterator_traitsISE_E10value_typeEmT1_T2_,@function
_ZN7rocprim17ROCPRIM_400000_NS6detail30init_device_scan_by_key_kernelINS1_19lookback_scan_stateINS0_5tupleIJlbEEELb0ELb0EEEPKljNS1_16block_id_wrapperIjLb0EEEEEvT_jjPNSB_10value_typeET0_PNSt15iterator_traitsISE_E10value_typeEmT1_T2_: ; @_ZN7rocprim17ROCPRIM_400000_NS6detail30init_device_scan_by_key_kernelINS1_19lookback_scan_stateINS0_5tupleIJlbEEELb0ELb0EEEPKljNS1_16block_id_wrapperIjLb0EEEEEvT_jjPNSB_10value_typeET0_PNSt15iterator_traitsISE_E10value_typeEmT1_T2_
; %bb.0:
	s_clause 0x2
	s_load_dword s0, s[4:5], 0x54
	s_load_dwordx8 s[8:15], s[4:5], 0x10
	s_load_dword s18, s[4:5], 0x48
	s_waitcnt lgkmcnt(0)
	s_and_b32 s19, s0, 0xffff
	s_cmp_eq_u64 s[12:13], 0
	v_mad_u64_u32 v[0:1], null, s6, s19, v[0:1]
	s_cbranch_scc1 .LBB92_6
; %bb.1:
	s_cmp_lt_u32 s11, s10
	s_mov_b32 s7, 0
	s_cselect_b32 s0, s11, 0
	s_mov_b32 s20, exec_lo
	v_cmpx_eq_u32_e64 s0, v0
	s_cbranch_execz .LBB92_5
; %bb.2:
	s_add_i32 s6, s11, 32
	s_load_dwordx4 s[0:3], s[4:5], 0x0
	v_mov_b32_e32 v1, s6
	s_add_u32 s16, s8, s6
	s_addc_u32 s17, s9, 0
	global_load_ubyte v2, v1, s[8:9] glc dlc
	v_mov_b32_e32 v1, 0
	s_waitcnt vmcnt(0)
	v_cmp_ne_u32_sdwa s21, v2, v1 src0_sel:WORD_0 src1_sel:DWORD
	v_readfirstlane_b32 s11, v2
	s_and_b32 vcc_lo, exec_lo, s21
	s_cbranch_vccnz .LBB92_4
.LBB92_3:                               ; =>This Inner Loop Header: Depth=1
	global_load_ubyte v2, v1, s[16:17] glc dlc
	s_waitcnt vmcnt(0)
	v_cmp_eq_u32_sdwa s21, v2, v1 src0_sel:WORD_0 src1_sel:DWORD
	v_readfirstlane_b32 s11, v2
	s_and_b32 vcc_lo, exec_lo, s21
	s_cbranch_vccnz .LBB92_3
.LBB92_4:
	s_and_b32 s11, 0xffff, s11
	v_mov_b32_e32 v3, 0
	s_cmp_eq_u32 s11, 1
	s_waitcnt lgkmcnt(0)
	buffer_gl1_inv
	buffer_gl0_inv
	s_cselect_b32 s3, s1, s3
	s_cselect_b32 s2, s0, s2
	s_lshl_b64 s[0:1], s[6:7], 4
	s_add_u32 s0, s2, s0
	s_addc_u32 s1, s3, s1
	s_clause 0x1
	global_load_dwordx2 v[1:2], v3, s[0:1]
	global_load_ubyte v4, v3, s[0:1] offset:8
	s_waitcnt vmcnt(1)
	global_store_dwordx2 v3, v[1:2], s[12:13]
	s_waitcnt vmcnt(0)
	global_store_byte v3, v4, s[12:13] offset:8
.LBB92_5:
	s_or_b32 exec_lo, exec_lo, s20
.LBB92_6:
	s_mov_b32 s0, exec_lo
	v_cmpx_gt_u32_e64 s10, v0
	s_cbranch_execz .LBB92_8
; %bb.7:
	v_add_nc_u32_e32 v1, 32, v0
	v_mov_b32_e32 v2, 0
	global_store_byte v1, v2, s[8:9]
.LBB92_8:
	s_or_b32 exec_lo, exec_lo, s0
	v_mov_b32_e32 v1, 0
	s_mov_b32 s0, exec_lo
	v_cmpx_gt_u32_e32 32, v0
	s_cbranch_execz .LBB92_10
; %bb.9:
	v_add_co_u32 v2, s1, s8, v0
	v_add_co_ci_u32_e64 v3, null, s9, 0, s1
	v_mov_b32_e32 v4, 0xff
	global_store_byte v[2:3], v4, off
.LBB92_10:
	s_or_b32 exec_lo, exec_lo, s0
	s_load_dwordx2 s[2:3], s[4:5], 0x38
	s_mov_b32 s0, exec_lo
	s_waitcnt lgkmcnt(0)
	v_cmpx_gt_u64_e64 s[2:3], v[0:1]
	s_cbranch_execz .LBB92_13
; %bb.11:
	s_clause 0x1
	s_load_dword s8, s[4:5], 0x40
	s_load_dwordx2 s[6:7], s[4:5], 0x30
	s_mov_b32 s1, 0
	v_lshlrev_b64 v[4:5], 3, v[0:1]
	s_mul_i32 s4, s18, s19
	s_waitcnt lgkmcnt(0)
	v_mad_u64_u32 v[2:3], null, s8, v0, 0
	s_add_i32 s0, s8, -1
	s_mul_hi_u32 s9, s8, s4
	s_lshl_b64 s[10:11], s[0:1], 3
	s_mul_i32 s8, s8, s4
	s_add_u32 s0, s14, s10
	s_addc_u32 s5, s15, s11
	v_lshlrev_b64 v[2:3], 3, v[2:3]
	v_add_co_u32 v2, vcc_lo, s0, v2
	v_add_co_ci_u32_e64 v3, null, s5, v3, vcc_lo
	v_add_co_u32 v4, vcc_lo, s6, v4
	v_add_co_ci_u32_e64 v5, null, s7, v5, vcc_lo
	s_mov_b32 s5, s1
	s_lshl_b64 s[6:7], s[8:9], 3
	s_lshl_b64 s[8:9], s[4:5], 3
	.p2align	6
.LBB92_12:                              ; =>This Inner Loop Header: Depth=1
	global_load_dwordx2 v[6:7], v[2:3], off
	v_add_co_u32 v0, vcc_lo, v0, s4
	v_add_co_ci_u32_e64 v1, null, 0, v1, vcc_lo
	v_add_co_u32 v2, vcc_lo, v2, s6
	v_add_co_ci_u32_e64 v3, null, s7, v3, vcc_lo
	v_cmp_le_u64_e32 vcc_lo, s[2:3], v[0:1]
	s_or_b32 s1, vcc_lo, s1
	s_waitcnt vmcnt(0)
	global_store_dwordx2 v[4:5], v[6:7], off
	v_add_co_u32 v4, s0, v4, s8
	v_add_co_ci_u32_e64 v5, null, s9, v5, s0
	s_andn2_b32 exec_lo, exec_lo, s1
	s_cbranch_execnz .LBB92_12
.LBB92_13:
	s_endpgm
	.section	.rodata,"a",@progbits
	.p2align	6, 0x0
	.amdhsa_kernel _ZN7rocprim17ROCPRIM_400000_NS6detail30init_device_scan_by_key_kernelINS1_19lookback_scan_stateINS0_5tupleIJlbEEELb0ELb0EEEPKljNS1_16block_id_wrapperIjLb0EEEEEvT_jjPNSB_10value_typeET0_PNSt15iterator_traitsISE_E10value_typeEmT1_T2_
		.amdhsa_group_segment_fixed_size 0
		.amdhsa_private_segment_fixed_size 0
		.amdhsa_kernarg_size 328
		.amdhsa_user_sgpr_count 6
		.amdhsa_user_sgpr_private_segment_buffer 1
		.amdhsa_user_sgpr_dispatch_ptr 0
		.amdhsa_user_sgpr_queue_ptr 0
		.amdhsa_user_sgpr_kernarg_segment_ptr 1
		.amdhsa_user_sgpr_dispatch_id 0
		.amdhsa_user_sgpr_flat_scratch_init 0
		.amdhsa_user_sgpr_private_segment_size 0
		.amdhsa_wavefront_size32 1
		.amdhsa_uses_dynamic_stack 0
		.amdhsa_system_sgpr_private_segment_wavefront_offset 0
		.amdhsa_system_sgpr_workgroup_id_x 1
		.amdhsa_system_sgpr_workgroup_id_y 0
		.amdhsa_system_sgpr_workgroup_id_z 0
		.amdhsa_system_sgpr_workgroup_info 0
		.amdhsa_system_vgpr_workitem_id 0
		.amdhsa_next_free_vgpr 8
		.amdhsa_next_free_sgpr 22
		.amdhsa_reserve_vcc 1
		.amdhsa_reserve_flat_scratch 0
		.amdhsa_float_round_mode_32 0
		.amdhsa_float_round_mode_16_64 0
		.amdhsa_float_denorm_mode_32 3
		.amdhsa_float_denorm_mode_16_64 3
		.amdhsa_dx10_clamp 1
		.amdhsa_ieee_mode 1
		.amdhsa_fp16_overflow 0
		.amdhsa_workgroup_processor_mode 1
		.amdhsa_memory_ordered 1
		.amdhsa_forward_progress 1
		.amdhsa_shared_vgpr_count 0
		.amdhsa_exception_fp_ieee_invalid_op 0
		.amdhsa_exception_fp_denorm_src 0
		.amdhsa_exception_fp_ieee_div_zero 0
		.amdhsa_exception_fp_ieee_overflow 0
		.amdhsa_exception_fp_ieee_underflow 0
		.amdhsa_exception_fp_ieee_inexact 0
		.amdhsa_exception_int_div_zero 0
	.end_amdhsa_kernel
	.section	.text._ZN7rocprim17ROCPRIM_400000_NS6detail30init_device_scan_by_key_kernelINS1_19lookback_scan_stateINS0_5tupleIJlbEEELb0ELb0EEEPKljNS1_16block_id_wrapperIjLb0EEEEEvT_jjPNSB_10value_typeET0_PNSt15iterator_traitsISE_E10value_typeEmT1_T2_,"axG",@progbits,_ZN7rocprim17ROCPRIM_400000_NS6detail30init_device_scan_by_key_kernelINS1_19lookback_scan_stateINS0_5tupleIJlbEEELb0ELb0EEEPKljNS1_16block_id_wrapperIjLb0EEEEEvT_jjPNSB_10value_typeET0_PNSt15iterator_traitsISE_E10value_typeEmT1_T2_,comdat
.Lfunc_end92:
	.size	_ZN7rocprim17ROCPRIM_400000_NS6detail30init_device_scan_by_key_kernelINS1_19lookback_scan_stateINS0_5tupleIJlbEEELb0ELb0EEEPKljNS1_16block_id_wrapperIjLb0EEEEEvT_jjPNSB_10value_typeET0_PNSt15iterator_traitsISE_E10value_typeEmT1_T2_, .Lfunc_end92-_ZN7rocprim17ROCPRIM_400000_NS6detail30init_device_scan_by_key_kernelINS1_19lookback_scan_stateINS0_5tupleIJlbEEELb0ELb0EEEPKljNS1_16block_id_wrapperIjLb0EEEEEvT_jjPNSB_10value_typeET0_PNSt15iterator_traitsISE_E10value_typeEmT1_T2_
                                        ; -- End function
	.set _ZN7rocprim17ROCPRIM_400000_NS6detail30init_device_scan_by_key_kernelINS1_19lookback_scan_stateINS0_5tupleIJlbEEELb0ELb0EEEPKljNS1_16block_id_wrapperIjLb0EEEEEvT_jjPNSB_10value_typeET0_PNSt15iterator_traitsISE_E10value_typeEmT1_T2_.num_vgpr, 8
	.set _ZN7rocprim17ROCPRIM_400000_NS6detail30init_device_scan_by_key_kernelINS1_19lookback_scan_stateINS0_5tupleIJlbEEELb0ELb0EEEPKljNS1_16block_id_wrapperIjLb0EEEEEvT_jjPNSB_10value_typeET0_PNSt15iterator_traitsISE_E10value_typeEmT1_T2_.num_agpr, 0
	.set _ZN7rocprim17ROCPRIM_400000_NS6detail30init_device_scan_by_key_kernelINS1_19lookback_scan_stateINS0_5tupleIJlbEEELb0ELb0EEEPKljNS1_16block_id_wrapperIjLb0EEEEEvT_jjPNSB_10value_typeET0_PNSt15iterator_traitsISE_E10value_typeEmT1_T2_.numbered_sgpr, 22
	.set _ZN7rocprim17ROCPRIM_400000_NS6detail30init_device_scan_by_key_kernelINS1_19lookback_scan_stateINS0_5tupleIJlbEEELb0ELb0EEEPKljNS1_16block_id_wrapperIjLb0EEEEEvT_jjPNSB_10value_typeET0_PNSt15iterator_traitsISE_E10value_typeEmT1_T2_.num_named_barrier, 0
	.set _ZN7rocprim17ROCPRIM_400000_NS6detail30init_device_scan_by_key_kernelINS1_19lookback_scan_stateINS0_5tupleIJlbEEELb0ELb0EEEPKljNS1_16block_id_wrapperIjLb0EEEEEvT_jjPNSB_10value_typeET0_PNSt15iterator_traitsISE_E10value_typeEmT1_T2_.private_seg_size, 0
	.set _ZN7rocprim17ROCPRIM_400000_NS6detail30init_device_scan_by_key_kernelINS1_19lookback_scan_stateINS0_5tupleIJlbEEELb0ELb0EEEPKljNS1_16block_id_wrapperIjLb0EEEEEvT_jjPNSB_10value_typeET0_PNSt15iterator_traitsISE_E10value_typeEmT1_T2_.uses_vcc, 1
	.set _ZN7rocprim17ROCPRIM_400000_NS6detail30init_device_scan_by_key_kernelINS1_19lookback_scan_stateINS0_5tupleIJlbEEELb0ELb0EEEPKljNS1_16block_id_wrapperIjLb0EEEEEvT_jjPNSB_10value_typeET0_PNSt15iterator_traitsISE_E10value_typeEmT1_T2_.uses_flat_scratch, 0
	.set _ZN7rocprim17ROCPRIM_400000_NS6detail30init_device_scan_by_key_kernelINS1_19lookback_scan_stateINS0_5tupleIJlbEEELb0ELb0EEEPKljNS1_16block_id_wrapperIjLb0EEEEEvT_jjPNSB_10value_typeET0_PNSt15iterator_traitsISE_E10value_typeEmT1_T2_.has_dyn_sized_stack, 0
	.set _ZN7rocprim17ROCPRIM_400000_NS6detail30init_device_scan_by_key_kernelINS1_19lookback_scan_stateINS0_5tupleIJlbEEELb0ELb0EEEPKljNS1_16block_id_wrapperIjLb0EEEEEvT_jjPNSB_10value_typeET0_PNSt15iterator_traitsISE_E10value_typeEmT1_T2_.has_recursion, 0
	.set _ZN7rocprim17ROCPRIM_400000_NS6detail30init_device_scan_by_key_kernelINS1_19lookback_scan_stateINS0_5tupleIJlbEEELb0ELb0EEEPKljNS1_16block_id_wrapperIjLb0EEEEEvT_jjPNSB_10value_typeET0_PNSt15iterator_traitsISE_E10value_typeEmT1_T2_.has_indirect_call, 0
	.section	.AMDGPU.csdata,"",@progbits
; Kernel info:
; codeLenInByte = 664
; TotalNumSgprs: 24
; NumVgprs: 8
; ScratchSize: 0
; MemoryBound: 0
; FloatMode: 240
; IeeeMode: 1
; LDSByteSize: 0 bytes/workgroup (compile time only)
; SGPRBlocks: 0
; VGPRBlocks: 0
; NumSGPRsForWavesPerEU: 24
; NumVGPRsForWavesPerEU: 8
; Occupancy: 16
; WaveLimiterHint : 0
; COMPUTE_PGM_RSRC2:SCRATCH_EN: 0
; COMPUTE_PGM_RSRC2:USER_SGPR: 6
; COMPUTE_PGM_RSRC2:TRAP_HANDLER: 0
; COMPUTE_PGM_RSRC2:TGID_X_EN: 1
; COMPUTE_PGM_RSRC2:TGID_Y_EN: 0
; COMPUTE_PGM_RSRC2:TGID_Z_EN: 0
; COMPUTE_PGM_RSRC2:TIDIG_COMP_CNT: 0
	.section	.text._ZN7rocprim17ROCPRIM_400000_NS6detail30init_device_scan_by_key_kernelINS1_19lookback_scan_stateINS0_5tupleIJlbEEELb0ELb0EEENS1_16block_id_wrapperIjLb0EEEEEvT_jjPNS9_10value_typeET0_,"axG",@progbits,_ZN7rocprim17ROCPRIM_400000_NS6detail30init_device_scan_by_key_kernelINS1_19lookback_scan_stateINS0_5tupleIJlbEEELb0ELb0EEENS1_16block_id_wrapperIjLb0EEEEEvT_jjPNS9_10value_typeET0_,comdat
	.protected	_ZN7rocprim17ROCPRIM_400000_NS6detail30init_device_scan_by_key_kernelINS1_19lookback_scan_stateINS0_5tupleIJlbEEELb0ELb0EEENS1_16block_id_wrapperIjLb0EEEEEvT_jjPNS9_10value_typeET0_ ; -- Begin function _ZN7rocprim17ROCPRIM_400000_NS6detail30init_device_scan_by_key_kernelINS1_19lookback_scan_stateINS0_5tupleIJlbEEELb0ELb0EEENS1_16block_id_wrapperIjLb0EEEEEvT_jjPNS9_10value_typeET0_
	.globl	_ZN7rocprim17ROCPRIM_400000_NS6detail30init_device_scan_by_key_kernelINS1_19lookback_scan_stateINS0_5tupleIJlbEEELb0ELb0EEENS1_16block_id_wrapperIjLb0EEEEEvT_jjPNS9_10value_typeET0_
	.p2align	8
	.type	_ZN7rocprim17ROCPRIM_400000_NS6detail30init_device_scan_by_key_kernelINS1_19lookback_scan_stateINS0_5tupleIJlbEEELb0ELb0EEENS1_16block_id_wrapperIjLb0EEEEEvT_jjPNS9_10value_typeET0_,@function
_ZN7rocprim17ROCPRIM_400000_NS6detail30init_device_scan_by_key_kernelINS1_19lookback_scan_stateINS0_5tupleIJlbEEELb0ELb0EEENS1_16block_id_wrapperIjLb0EEEEEvT_jjPNS9_10value_typeET0_: ; @_ZN7rocprim17ROCPRIM_400000_NS6detail30init_device_scan_by_key_kernelINS1_19lookback_scan_stateINS0_5tupleIJlbEEELb0ELb0EEENS1_16block_id_wrapperIjLb0EEEEEvT_jjPNS9_10value_typeET0_
; %bb.0:
	s_clause 0x2
	s_load_dword s7, s[4:5], 0x3c
	s_load_dwordx2 s[8:9], s[4:5], 0x20
	s_load_dwordx4 s[0:3], s[4:5], 0x10
	s_waitcnt lgkmcnt(0)
	s_and_b32 s7, s7, 0xffff
	s_cmp_eq_u64 s[8:9], 0
	v_mad_u64_u32 v[0:1], null, s6, s7, v[0:1]
	s_cbranch_scc1 .LBB93_6
; %bb.1:
	s_cmp_lt_u32 s3, s2
	s_mov_b32 s11, 0
	s_cselect_b32 s6, s3, 0
	s_mov_b32 s14, exec_lo
	v_cmpx_eq_u32_e64 s6, v0
	s_cbranch_execz .LBB93_5
; %bb.2:
	s_add_i32 s10, s3, 32
	s_load_dwordx4 s[4:7], s[4:5], 0x0
	v_mov_b32_e32 v1, s10
	s_add_u32 s12, s0, s10
	s_addc_u32 s13, s1, 0
	global_load_ubyte v2, v1, s[0:1] glc dlc
	v_mov_b32_e32 v1, 0
	s_waitcnt vmcnt(0)
	v_cmp_ne_u32_sdwa s15, v2, v1 src0_sel:WORD_0 src1_sel:DWORD
	v_readfirstlane_b32 s3, v2
	s_and_b32 vcc_lo, exec_lo, s15
	s_cbranch_vccnz .LBB93_4
.LBB93_3:                               ; =>This Inner Loop Header: Depth=1
	global_load_ubyte v2, v1, s[12:13] glc dlc
	s_waitcnt vmcnt(0)
	v_cmp_eq_u32_sdwa s15, v2, v1 src0_sel:WORD_0 src1_sel:DWORD
	v_readfirstlane_b32 s3, v2
	s_and_b32 vcc_lo, exec_lo, s15
	s_cbranch_vccnz .LBB93_3
.LBB93_4:
	s_and_b32 s3, 0xffff, s3
	v_mov_b32_e32 v3, 0
	s_cmp_eq_u32 s3, 1
	s_waitcnt lgkmcnt(0)
	buffer_gl1_inv
	buffer_gl0_inv
	s_cselect_b32 s3, s5, s7
	s_cselect_b32 s6, s4, s6
	s_lshl_b64 s[4:5], s[10:11], 4
	s_add_u32 s4, s6, s4
	s_addc_u32 s5, s3, s5
	s_clause 0x1
	global_load_dwordx2 v[1:2], v3, s[4:5]
	global_load_ubyte v4, v3, s[4:5] offset:8
	s_waitcnt vmcnt(1)
	global_store_dwordx2 v3, v[1:2], s[8:9]
	s_waitcnt vmcnt(0)
	global_store_byte v3, v4, s[8:9] offset:8
.LBB93_5:
	s_or_b32 exec_lo, exec_lo, s14
.LBB93_6:
	v_cmp_gt_u32_e32 vcc_lo, s2, v0
	s_and_saveexec_b32 s2, vcc_lo
	s_cbranch_execz .LBB93_8
; %bb.7:
	v_add_nc_u32_e32 v1, 32, v0
	v_mov_b32_e32 v2, 0
	global_store_byte v1, v2, s[0:1]
.LBB93_8:
	s_or_b32 exec_lo, exec_lo, s2
	s_mov_b32 s2, exec_lo
	v_cmpx_gt_u32_e32 32, v0
	s_cbranch_execz .LBB93_10
; %bb.9:
	v_mov_b32_e32 v1, 0xff
	global_store_byte v0, v1, s[0:1]
.LBB93_10:
	s_endpgm
	.section	.rodata,"a",@progbits
	.p2align	6, 0x0
	.amdhsa_kernel _ZN7rocprim17ROCPRIM_400000_NS6detail30init_device_scan_by_key_kernelINS1_19lookback_scan_stateINS0_5tupleIJlbEEELb0ELb0EEENS1_16block_id_wrapperIjLb0EEEEEvT_jjPNS9_10value_typeET0_
		.amdhsa_group_segment_fixed_size 0
		.amdhsa_private_segment_fixed_size 0
		.amdhsa_kernarg_size 304
		.amdhsa_user_sgpr_count 6
		.amdhsa_user_sgpr_private_segment_buffer 1
		.amdhsa_user_sgpr_dispatch_ptr 0
		.amdhsa_user_sgpr_queue_ptr 0
		.amdhsa_user_sgpr_kernarg_segment_ptr 1
		.amdhsa_user_sgpr_dispatch_id 0
		.amdhsa_user_sgpr_flat_scratch_init 0
		.amdhsa_user_sgpr_private_segment_size 0
		.amdhsa_wavefront_size32 1
		.amdhsa_uses_dynamic_stack 0
		.amdhsa_system_sgpr_private_segment_wavefront_offset 0
		.amdhsa_system_sgpr_workgroup_id_x 1
		.amdhsa_system_sgpr_workgroup_id_y 0
		.amdhsa_system_sgpr_workgroup_id_z 0
		.amdhsa_system_sgpr_workgroup_info 0
		.amdhsa_system_vgpr_workitem_id 0
		.amdhsa_next_free_vgpr 5
		.amdhsa_next_free_sgpr 16
		.amdhsa_reserve_vcc 1
		.amdhsa_reserve_flat_scratch 0
		.amdhsa_float_round_mode_32 0
		.amdhsa_float_round_mode_16_64 0
		.amdhsa_float_denorm_mode_32 3
		.amdhsa_float_denorm_mode_16_64 3
		.amdhsa_dx10_clamp 1
		.amdhsa_ieee_mode 1
		.amdhsa_fp16_overflow 0
		.amdhsa_workgroup_processor_mode 1
		.amdhsa_memory_ordered 1
		.amdhsa_forward_progress 1
		.amdhsa_shared_vgpr_count 0
		.amdhsa_exception_fp_ieee_invalid_op 0
		.amdhsa_exception_fp_denorm_src 0
		.amdhsa_exception_fp_ieee_div_zero 0
		.amdhsa_exception_fp_ieee_overflow 0
		.amdhsa_exception_fp_ieee_underflow 0
		.amdhsa_exception_fp_ieee_inexact 0
		.amdhsa_exception_int_div_zero 0
	.end_amdhsa_kernel
	.section	.text._ZN7rocprim17ROCPRIM_400000_NS6detail30init_device_scan_by_key_kernelINS1_19lookback_scan_stateINS0_5tupleIJlbEEELb0ELb0EEENS1_16block_id_wrapperIjLb0EEEEEvT_jjPNS9_10value_typeET0_,"axG",@progbits,_ZN7rocprim17ROCPRIM_400000_NS6detail30init_device_scan_by_key_kernelINS1_19lookback_scan_stateINS0_5tupleIJlbEEELb0ELb0EEENS1_16block_id_wrapperIjLb0EEEEEvT_jjPNS9_10value_typeET0_,comdat
.Lfunc_end93:
	.size	_ZN7rocprim17ROCPRIM_400000_NS6detail30init_device_scan_by_key_kernelINS1_19lookback_scan_stateINS0_5tupleIJlbEEELb0ELb0EEENS1_16block_id_wrapperIjLb0EEEEEvT_jjPNS9_10value_typeET0_, .Lfunc_end93-_ZN7rocprim17ROCPRIM_400000_NS6detail30init_device_scan_by_key_kernelINS1_19lookback_scan_stateINS0_5tupleIJlbEEELb0ELb0EEENS1_16block_id_wrapperIjLb0EEEEEvT_jjPNS9_10value_typeET0_
                                        ; -- End function
	.set _ZN7rocprim17ROCPRIM_400000_NS6detail30init_device_scan_by_key_kernelINS1_19lookback_scan_stateINS0_5tupleIJlbEEELb0ELb0EEENS1_16block_id_wrapperIjLb0EEEEEvT_jjPNS9_10value_typeET0_.num_vgpr, 5
	.set _ZN7rocprim17ROCPRIM_400000_NS6detail30init_device_scan_by_key_kernelINS1_19lookback_scan_stateINS0_5tupleIJlbEEELb0ELb0EEENS1_16block_id_wrapperIjLb0EEEEEvT_jjPNS9_10value_typeET0_.num_agpr, 0
	.set _ZN7rocprim17ROCPRIM_400000_NS6detail30init_device_scan_by_key_kernelINS1_19lookback_scan_stateINS0_5tupleIJlbEEELb0ELb0EEENS1_16block_id_wrapperIjLb0EEEEEvT_jjPNS9_10value_typeET0_.numbered_sgpr, 16
	.set _ZN7rocprim17ROCPRIM_400000_NS6detail30init_device_scan_by_key_kernelINS1_19lookback_scan_stateINS0_5tupleIJlbEEELb0ELb0EEENS1_16block_id_wrapperIjLb0EEEEEvT_jjPNS9_10value_typeET0_.num_named_barrier, 0
	.set _ZN7rocprim17ROCPRIM_400000_NS6detail30init_device_scan_by_key_kernelINS1_19lookback_scan_stateINS0_5tupleIJlbEEELb0ELb0EEENS1_16block_id_wrapperIjLb0EEEEEvT_jjPNS9_10value_typeET0_.private_seg_size, 0
	.set _ZN7rocprim17ROCPRIM_400000_NS6detail30init_device_scan_by_key_kernelINS1_19lookback_scan_stateINS0_5tupleIJlbEEELb0ELb0EEENS1_16block_id_wrapperIjLb0EEEEEvT_jjPNS9_10value_typeET0_.uses_vcc, 1
	.set _ZN7rocprim17ROCPRIM_400000_NS6detail30init_device_scan_by_key_kernelINS1_19lookback_scan_stateINS0_5tupleIJlbEEELb0ELb0EEENS1_16block_id_wrapperIjLb0EEEEEvT_jjPNS9_10value_typeET0_.uses_flat_scratch, 0
	.set _ZN7rocprim17ROCPRIM_400000_NS6detail30init_device_scan_by_key_kernelINS1_19lookback_scan_stateINS0_5tupleIJlbEEELb0ELb0EEENS1_16block_id_wrapperIjLb0EEEEEvT_jjPNS9_10value_typeET0_.has_dyn_sized_stack, 0
	.set _ZN7rocprim17ROCPRIM_400000_NS6detail30init_device_scan_by_key_kernelINS1_19lookback_scan_stateINS0_5tupleIJlbEEELb0ELb0EEENS1_16block_id_wrapperIjLb0EEEEEvT_jjPNS9_10value_typeET0_.has_recursion, 0
	.set _ZN7rocprim17ROCPRIM_400000_NS6detail30init_device_scan_by_key_kernelINS1_19lookback_scan_stateINS0_5tupleIJlbEEELb0ELb0EEENS1_16block_id_wrapperIjLb0EEEEEvT_jjPNS9_10value_typeET0_.has_indirect_call, 0
	.section	.AMDGPU.csdata,"",@progbits
; Kernel info:
; codeLenInByte = 344
; TotalNumSgprs: 18
; NumVgprs: 5
; ScratchSize: 0
; MemoryBound: 0
; FloatMode: 240
; IeeeMode: 1
; LDSByteSize: 0 bytes/workgroup (compile time only)
; SGPRBlocks: 0
; VGPRBlocks: 0
; NumSGPRsForWavesPerEU: 18
; NumVGPRsForWavesPerEU: 5
; Occupancy: 16
; WaveLimiterHint : 0
; COMPUTE_PGM_RSRC2:SCRATCH_EN: 0
; COMPUTE_PGM_RSRC2:USER_SGPR: 6
; COMPUTE_PGM_RSRC2:TRAP_HANDLER: 0
; COMPUTE_PGM_RSRC2:TGID_X_EN: 1
; COMPUTE_PGM_RSRC2:TGID_Y_EN: 0
; COMPUTE_PGM_RSRC2:TGID_Z_EN: 0
; COMPUTE_PGM_RSRC2:TIDIG_COMP_CNT: 0
	.section	.text._ZN7rocprim17ROCPRIM_400000_NS6detail17trampoline_kernelINS0_14default_configENS1_27scan_by_key_config_selectorIllEEZZNS1_16scan_by_key_implILNS1_25lookback_scan_determinismE0ELb0ES3_PKlN6hipcub16HIPCUB_304000_NS21ConstantInputIteratorIllEEPllNSB_3SumENSB_8EqualityElEE10hipError_tPvRmT2_T3_T4_T5_mT6_T7_P12ihipStream_tbENKUlT_T0_E_clISt17integral_constantIbLb0EESX_EEDaSS_ST_EUlSS_E_NS1_11comp_targetILNS1_3genE0ELNS1_11target_archE4294967295ELNS1_3gpuE0ELNS1_3repE0EEENS1_30default_config_static_selectorELNS0_4arch9wavefront6targetE0EEEvT1_,"axG",@progbits,_ZN7rocprim17ROCPRIM_400000_NS6detail17trampoline_kernelINS0_14default_configENS1_27scan_by_key_config_selectorIllEEZZNS1_16scan_by_key_implILNS1_25lookback_scan_determinismE0ELb0ES3_PKlN6hipcub16HIPCUB_304000_NS21ConstantInputIteratorIllEEPllNSB_3SumENSB_8EqualityElEE10hipError_tPvRmT2_T3_T4_T5_mT6_T7_P12ihipStream_tbENKUlT_T0_E_clISt17integral_constantIbLb0EESX_EEDaSS_ST_EUlSS_E_NS1_11comp_targetILNS1_3genE0ELNS1_11target_archE4294967295ELNS1_3gpuE0ELNS1_3repE0EEENS1_30default_config_static_selectorELNS0_4arch9wavefront6targetE0EEEvT1_,comdat
	.protected	_ZN7rocprim17ROCPRIM_400000_NS6detail17trampoline_kernelINS0_14default_configENS1_27scan_by_key_config_selectorIllEEZZNS1_16scan_by_key_implILNS1_25lookback_scan_determinismE0ELb0ES3_PKlN6hipcub16HIPCUB_304000_NS21ConstantInputIteratorIllEEPllNSB_3SumENSB_8EqualityElEE10hipError_tPvRmT2_T3_T4_T5_mT6_T7_P12ihipStream_tbENKUlT_T0_E_clISt17integral_constantIbLb0EESX_EEDaSS_ST_EUlSS_E_NS1_11comp_targetILNS1_3genE0ELNS1_11target_archE4294967295ELNS1_3gpuE0ELNS1_3repE0EEENS1_30default_config_static_selectorELNS0_4arch9wavefront6targetE0EEEvT1_ ; -- Begin function _ZN7rocprim17ROCPRIM_400000_NS6detail17trampoline_kernelINS0_14default_configENS1_27scan_by_key_config_selectorIllEEZZNS1_16scan_by_key_implILNS1_25lookback_scan_determinismE0ELb0ES3_PKlN6hipcub16HIPCUB_304000_NS21ConstantInputIteratorIllEEPllNSB_3SumENSB_8EqualityElEE10hipError_tPvRmT2_T3_T4_T5_mT6_T7_P12ihipStream_tbENKUlT_T0_E_clISt17integral_constantIbLb0EESX_EEDaSS_ST_EUlSS_E_NS1_11comp_targetILNS1_3genE0ELNS1_11target_archE4294967295ELNS1_3gpuE0ELNS1_3repE0EEENS1_30default_config_static_selectorELNS0_4arch9wavefront6targetE0EEEvT1_
	.globl	_ZN7rocprim17ROCPRIM_400000_NS6detail17trampoline_kernelINS0_14default_configENS1_27scan_by_key_config_selectorIllEEZZNS1_16scan_by_key_implILNS1_25lookback_scan_determinismE0ELb0ES3_PKlN6hipcub16HIPCUB_304000_NS21ConstantInputIteratorIllEEPllNSB_3SumENSB_8EqualityElEE10hipError_tPvRmT2_T3_T4_T5_mT6_T7_P12ihipStream_tbENKUlT_T0_E_clISt17integral_constantIbLb0EESX_EEDaSS_ST_EUlSS_E_NS1_11comp_targetILNS1_3genE0ELNS1_11target_archE4294967295ELNS1_3gpuE0ELNS1_3repE0EEENS1_30default_config_static_selectorELNS0_4arch9wavefront6targetE0EEEvT1_
	.p2align	8
	.type	_ZN7rocprim17ROCPRIM_400000_NS6detail17trampoline_kernelINS0_14default_configENS1_27scan_by_key_config_selectorIllEEZZNS1_16scan_by_key_implILNS1_25lookback_scan_determinismE0ELb0ES3_PKlN6hipcub16HIPCUB_304000_NS21ConstantInputIteratorIllEEPllNSB_3SumENSB_8EqualityElEE10hipError_tPvRmT2_T3_T4_T5_mT6_T7_P12ihipStream_tbENKUlT_T0_E_clISt17integral_constantIbLb0EESX_EEDaSS_ST_EUlSS_E_NS1_11comp_targetILNS1_3genE0ELNS1_11target_archE4294967295ELNS1_3gpuE0ELNS1_3repE0EEENS1_30default_config_static_selectorELNS0_4arch9wavefront6targetE0EEEvT1_,@function
_ZN7rocprim17ROCPRIM_400000_NS6detail17trampoline_kernelINS0_14default_configENS1_27scan_by_key_config_selectorIllEEZZNS1_16scan_by_key_implILNS1_25lookback_scan_determinismE0ELb0ES3_PKlN6hipcub16HIPCUB_304000_NS21ConstantInputIteratorIllEEPllNSB_3SumENSB_8EqualityElEE10hipError_tPvRmT2_T3_T4_T5_mT6_T7_P12ihipStream_tbENKUlT_T0_E_clISt17integral_constantIbLb0EESX_EEDaSS_ST_EUlSS_E_NS1_11comp_targetILNS1_3genE0ELNS1_11target_archE4294967295ELNS1_3gpuE0ELNS1_3repE0EEENS1_30default_config_static_selectorELNS0_4arch9wavefront6targetE0EEEvT1_: ; @_ZN7rocprim17ROCPRIM_400000_NS6detail17trampoline_kernelINS0_14default_configENS1_27scan_by_key_config_selectorIllEEZZNS1_16scan_by_key_implILNS1_25lookback_scan_determinismE0ELb0ES3_PKlN6hipcub16HIPCUB_304000_NS21ConstantInputIteratorIllEEPllNSB_3SumENSB_8EqualityElEE10hipError_tPvRmT2_T3_T4_T5_mT6_T7_P12ihipStream_tbENKUlT_T0_E_clISt17integral_constantIbLb0EESX_EEDaSS_ST_EUlSS_E_NS1_11comp_targetILNS1_3genE0ELNS1_11target_archE4294967295ELNS1_3gpuE0ELNS1_3repE0EEENS1_30default_config_static_selectorELNS0_4arch9wavefront6targetE0EEEvT1_
; %bb.0:
	.section	.rodata,"a",@progbits
	.p2align	6, 0x0
	.amdhsa_kernel _ZN7rocprim17ROCPRIM_400000_NS6detail17trampoline_kernelINS0_14default_configENS1_27scan_by_key_config_selectorIllEEZZNS1_16scan_by_key_implILNS1_25lookback_scan_determinismE0ELb0ES3_PKlN6hipcub16HIPCUB_304000_NS21ConstantInputIteratorIllEEPllNSB_3SumENSB_8EqualityElEE10hipError_tPvRmT2_T3_T4_T5_mT6_T7_P12ihipStream_tbENKUlT_T0_E_clISt17integral_constantIbLb0EESX_EEDaSS_ST_EUlSS_E_NS1_11comp_targetILNS1_3genE0ELNS1_11target_archE4294967295ELNS1_3gpuE0ELNS1_3repE0EEENS1_30default_config_static_selectorELNS0_4arch9wavefront6targetE0EEEvT1_
		.amdhsa_group_segment_fixed_size 0
		.amdhsa_private_segment_fixed_size 0
		.amdhsa_kernarg_size 144
		.amdhsa_user_sgpr_count 6
		.amdhsa_user_sgpr_private_segment_buffer 1
		.amdhsa_user_sgpr_dispatch_ptr 0
		.amdhsa_user_sgpr_queue_ptr 0
		.amdhsa_user_sgpr_kernarg_segment_ptr 1
		.amdhsa_user_sgpr_dispatch_id 0
		.amdhsa_user_sgpr_flat_scratch_init 0
		.amdhsa_user_sgpr_private_segment_size 0
		.amdhsa_wavefront_size32 1
		.amdhsa_uses_dynamic_stack 0
		.amdhsa_system_sgpr_private_segment_wavefront_offset 0
		.amdhsa_system_sgpr_workgroup_id_x 1
		.amdhsa_system_sgpr_workgroup_id_y 0
		.amdhsa_system_sgpr_workgroup_id_z 0
		.amdhsa_system_sgpr_workgroup_info 0
		.amdhsa_system_vgpr_workitem_id 0
		.amdhsa_next_free_vgpr 1
		.amdhsa_next_free_sgpr 1
		.amdhsa_reserve_vcc 0
		.amdhsa_reserve_flat_scratch 0
		.amdhsa_float_round_mode_32 0
		.amdhsa_float_round_mode_16_64 0
		.amdhsa_float_denorm_mode_32 3
		.amdhsa_float_denorm_mode_16_64 3
		.amdhsa_dx10_clamp 1
		.amdhsa_ieee_mode 1
		.amdhsa_fp16_overflow 0
		.amdhsa_workgroup_processor_mode 1
		.amdhsa_memory_ordered 1
		.amdhsa_forward_progress 1
		.amdhsa_shared_vgpr_count 0
		.amdhsa_exception_fp_ieee_invalid_op 0
		.amdhsa_exception_fp_denorm_src 0
		.amdhsa_exception_fp_ieee_div_zero 0
		.amdhsa_exception_fp_ieee_overflow 0
		.amdhsa_exception_fp_ieee_underflow 0
		.amdhsa_exception_fp_ieee_inexact 0
		.amdhsa_exception_int_div_zero 0
	.end_amdhsa_kernel
	.section	.text._ZN7rocprim17ROCPRIM_400000_NS6detail17trampoline_kernelINS0_14default_configENS1_27scan_by_key_config_selectorIllEEZZNS1_16scan_by_key_implILNS1_25lookback_scan_determinismE0ELb0ES3_PKlN6hipcub16HIPCUB_304000_NS21ConstantInputIteratorIllEEPllNSB_3SumENSB_8EqualityElEE10hipError_tPvRmT2_T3_T4_T5_mT6_T7_P12ihipStream_tbENKUlT_T0_E_clISt17integral_constantIbLb0EESX_EEDaSS_ST_EUlSS_E_NS1_11comp_targetILNS1_3genE0ELNS1_11target_archE4294967295ELNS1_3gpuE0ELNS1_3repE0EEENS1_30default_config_static_selectorELNS0_4arch9wavefront6targetE0EEEvT1_,"axG",@progbits,_ZN7rocprim17ROCPRIM_400000_NS6detail17trampoline_kernelINS0_14default_configENS1_27scan_by_key_config_selectorIllEEZZNS1_16scan_by_key_implILNS1_25lookback_scan_determinismE0ELb0ES3_PKlN6hipcub16HIPCUB_304000_NS21ConstantInputIteratorIllEEPllNSB_3SumENSB_8EqualityElEE10hipError_tPvRmT2_T3_T4_T5_mT6_T7_P12ihipStream_tbENKUlT_T0_E_clISt17integral_constantIbLb0EESX_EEDaSS_ST_EUlSS_E_NS1_11comp_targetILNS1_3genE0ELNS1_11target_archE4294967295ELNS1_3gpuE0ELNS1_3repE0EEENS1_30default_config_static_selectorELNS0_4arch9wavefront6targetE0EEEvT1_,comdat
.Lfunc_end94:
	.size	_ZN7rocprim17ROCPRIM_400000_NS6detail17trampoline_kernelINS0_14default_configENS1_27scan_by_key_config_selectorIllEEZZNS1_16scan_by_key_implILNS1_25lookback_scan_determinismE0ELb0ES3_PKlN6hipcub16HIPCUB_304000_NS21ConstantInputIteratorIllEEPllNSB_3SumENSB_8EqualityElEE10hipError_tPvRmT2_T3_T4_T5_mT6_T7_P12ihipStream_tbENKUlT_T0_E_clISt17integral_constantIbLb0EESX_EEDaSS_ST_EUlSS_E_NS1_11comp_targetILNS1_3genE0ELNS1_11target_archE4294967295ELNS1_3gpuE0ELNS1_3repE0EEENS1_30default_config_static_selectorELNS0_4arch9wavefront6targetE0EEEvT1_, .Lfunc_end94-_ZN7rocprim17ROCPRIM_400000_NS6detail17trampoline_kernelINS0_14default_configENS1_27scan_by_key_config_selectorIllEEZZNS1_16scan_by_key_implILNS1_25lookback_scan_determinismE0ELb0ES3_PKlN6hipcub16HIPCUB_304000_NS21ConstantInputIteratorIllEEPllNSB_3SumENSB_8EqualityElEE10hipError_tPvRmT2_T3_T4_T5_mT6_T7_P12ihipStream_tbENKUlT_T0_E_clISt17integral_constantIbLb0EESX_EEDaSS_ST_EUlSS_E_NS1_11comp_targetILNS1_3genE0ELNS1_11target_archE4294967295ELNS1_3gpuE0ELNS1_3repE0EEENS1_30default_config_static_selectorELNS0_4arch9wavefront6targetE0EEEvT1_
                                        ; -- End function
	.set _ZN7rocprim17ROCPRIM_400000_NS6detail17trampoline_kernelINS0_14default_configENS1_27scan_by_key_config_selectorIllEEZZNS1_16scan_by_key_implILNS1_25lookback_scan_determinismE0ELb0ES3_PKlN6hipcub16HIPCUB_304000_NS21ConstantInputIteratorIllEEPllNSB_3SumENSB_8EqualityElEE10hipError_tPvRmT2_T3_T4_T5_mT6_T7_P12ihipStream_tbENKUlT_T0_E_clISt17integral_constantIbLb0EESX_EEDaSS_ST_EUlSS_E_NS1_11comp_targetILNS1_3genE0ELNS1_11target_archE4294967295ELNS1_3gpuE0ELNS1_3repE0EEENS1_30default_config_static_selectorELNS0_4arch9wavefront6targetE0EEEvT1_.num_vgpr, 0
	.set _ZN7rocprim17ROCPRIM_400000_NS6detail17trampoline_kernelINS0_14default_configENS1_27scan_by_key_config_selectorIllEEZZNS1_16scan_by_key_implILNS1_25lookback_scan_determinismE0ELb0ES3_PKlN6hipcub16HIPCUB_304000_NS21ConstantInputIteratorIllEEPllNSB_3SumENSB_8EqualityElEE10hipError_tPvRmT2_T3_T4_T5_mT6_T7_P12ihipStream_tbENKUlT_T0_E_clISt17integral_constantIbLb0EESX_EEDaSS_ST_EUlSS_E_NS1_11comp_targetILNS1_3genE0ELNS1_11target_archE4294967295ELNS1_3gpuE0ELNS1_3repE0EEENS1_30default_config_static_selectorELNS0_4arch9wavefront6targetE0EEEvT1_.num_agpr, 0
	.set _ZN7rocprim17ROCPRIM_400000_NS6detail17trampoline_kernelINS0_14default_configENS1_27scan_by_key_config_selectorIllEEZZNS1_16scan_by_key_implILNS1_25lookback_scan_determinismE0ELb0ES3_PKlN6hipcub16HIPCUB_304000_NS21ConstantInputIteratorIllEEPllNSB_3SumENSB_8EqualityElEE10hipError_tPvRmT2_T3_T4_T5_mT6_T7_P12ihipStream_tbENKUlT_T0_E_clISt17integral_constantIbLb0EESX_EEDaSS_ST_EUlSS_E_NS1_11comp_targetILNS1_3genE0ELNS1_11target_archE4294967295ELNS1_3gpuE0ELNS1_3repE0EEENS1_30default_config_static_selectorELNS0_4arch9wavefront6targetE0EEEvT1_.numbered_sgpr, 0
	.set _ZN7rocprim17ROCPRIM_400000_NS6detail17trampoline_kernelINS0_14default_configENS1_27scan_by_key_config_selectorIllEEZZNS1_16scan_by_key_implILNS1_25lookback_scan_determinismE0ELb0ES3_PKlN6hipcub16HIPCUB_304000_NS21ConstantInputIteratorIllEEPllNSB_3SumENSB_8EqualityElEE10hipError_tPvRmT2_T3_T4_T5_mT6_T7_P12ihipStream_tbENKUlT_T0_E_clISt17integral_constantIbLb0EESX_EEDaSS_ST_EUlSS_E_NS1_11comp_targetILNS1_3genE0ELNS1_11target_archE4294967295ELNS1_3gpuE0ELNS1_3repE0EEENS1_30default_config_static_selectorELNS0_4arch9wavefront6targetE0EEEvT1_.num_named_barrier, 0
	.set _ZN7rocprim17ROCPRIM_400000_NS6detail17trampoline_kernelINS0_14default_configENS1_27scan_by_key_config_selectorIllEEZZNS1_16scan_by_key_implILNS1_25lookback_scan_determinismE0ELb0ES3_PKlN6hipcub16HIPCUB_304000_NS21ConstantInputIteratorIllEEPllNSB_3SumENSB_8EqualityElEE10hipError_tPvRmT2_T3_T4_T5_mT6_T7_P12ihipStream_tbENKUlT_T0_E_clISt17integral_constantIbLb0EESX_EEDaSS_ST_EUlSS_E_NS1_11comp_targetILNS1_3genE0ELNS1_11target_archE4294967295ELNS1_3gpuE0ELNS1_3repE0EEENS1_30default_config_static_selectorELNS0_4arch9wavefront6targetE0EEEvT1_.private_seg_size, 0
	.set _ZN7rocprim17ROCPRIM_400000_NS6detail17trampoline_kernelINS0_14default_configENS1_27scan_by_key_config_selectorIllEEZZNS1_16scan_by_key_implILNS1_25lookback_scan_determinismE0ELb0ES3_PKlN6hipcub16HIPCUB_304000_NS21ConstantInputIteratorIllEEPllNSB_3SumENSB_8EqualityElEE10hipError_tPvRmT2_T3_T4_T5_mT6_T7_P12ihipStream_tbENKUlT_T0_E_clISt17integral_constantIbLb0EESX_EEDaSS_ST_EUlSS_E_NS1_11comp_targetILNS1_3genE0ELNS1_11target_archE4294967295ELNS1_3gpuE0ELNS1_3repE0EEENS1_30default_config_static_selectorELNS0_4arch9wavefront6targetE0EEEvT1_.uses_vcc, 0
	.set _ZN7rocprim17ROCPRIM_400000_NS6detail17trampoline_kernelINS0_14default_configENS1_27scan_by_key_config_selectorIllEEZZNS1_16scan_by_key_implILNS1_25lookback_scan_determinismE0ELb0ES3_PKlN6hipcub16HIPCUB_304000_NS21ConstantInputIteratorIllEEPllNSB_3SumENSB_8EqualityElEE10hipError_tPvRmT2_T3_T4_T5_mT6_T7_P12ihipStream_tbENKUlT_T0_E_clISt17integral_constantIbLb0EESX_EEDaSS_ST_EUlSS_E_NS1_11comp_targetILNS1_3genE0ELNS1_11target_archE4294967295ELNS1_3gpuE0ELNS1_3repE0EEENS1_30default_config_static_selectorELNS0_4arch9wavefront6targetE0EEEvT1_.uses_flat_scratch, 0
	.set _ZN7rocprim17ROCPRIM_400000_NS6detail17trampoline_kernelINS0_14default_configENS1_27scan_by_key_config_selectorIllEEZZNS1_16scan_by_key_implILNS1_25lookback_scan_determinismE0ELb0ES3_PKlN6hipcub16HIPCUB_304000_NS21ConstantInputIteratorIllEEPllNSB_3SumENSB_8EqualityElEE10hipError_tPvRmT2_T3_T4_T5_mT6_T7_P12ihipStream_tbENKUlT_T0_E_clISt17integral_constantIbLb0EESX_EEDaSS_ST_EUlSS_E_NS1_11comp_targetILNS1_3genE0ELNS1_11target_archE4294967295ELNS1_3gpuE0ELNS1_3repE0EEENS1_30default_config_static_selectorELNS0_4arch9wavefront6targetE0EEEvT1_.has_dyn_sized_stack, 0
	.set _ZN7rocprim17ROCPRIM_400000_NS6detail17trampoline_kernelINS0_14default_configENS1_27scan_by_key_config_selectorIllEEZZNS1_16scan_by_key_implILNS1_25lookback_scan_determinismE0ELb0ES3_PKlN6hipcub16HIPCUB_304000_NS21ConstantInputIteratorIllEEPllNSB_3SumENSB_8EqualityElEE10hipError_tPvRmT2_T3_T4_T5_mT6_T7_P12ihipStream_tbENKUlT_T0_E_clISt17integral_constantIbLb0EESX_EEDaSS_ST_EUlSS_E_NS1_11comp_targetILNS1_3genE0ELNS1_11target_archE4294967295ELNS1_3gpuE0ELNS1_3repE0EEENS1_30default_config_static_selectorELNS0_4arch9wavefront6targetE0EEEvT1_.has_recursion, 0
	.set _ZN7rocprim17ROCPRIM_400000_NS6detail17trampoline_kernelINS0_14default_configENS1_27scan_by_key_config_selectorIllEEZZNS1_16scan_by_key_implILNS1_25lookback_scan_determinismE0ELb0ES3_PKlN6hipcub16HIPCUB_304000_NS21ConstantInputIteratorIllEEPllNSB_3SumENSB_8EqualityElEE10hipError_tPvRmT2_T3_T4_T5_mT6_T7_P12ihipStream_tbENKUlT_T0_E_clISt17integral_constantIbLb0EESX_EEDaSS_ST_EUlSS_E_NS1_11comp_targetILNS1_3genE0ELNS1_11target_archE4294967295ELNS1_3gpuE0ELNS1_3repE0EEENS1_30default_config_static_selectorELNS0_4arch9wavefront6targetE0EEEvT1_.has_indirect_call, 0
	.section	.AMDGPU.csdata,"",@progbits
; Kernel info:
; codeLenInByte = 0
; TotalNumSgprs: 0
; NumVgprs: 0
; ScratchSize: 0
; MemoryBound: 0
; FloatMode: 240
; IeeeMode: 1
; LDSByteSize: 0 bytes/workgroup (compile time only)
; SGPRBlocks: 0
; VGPRBlocks: 0
; NumSGPRsForWavesPerEU: 1
; NumVGPRsForWavesPerEU: 1
; Occupancy: 16
; WaveLimiterHint : 0
; COMPUTE_PGM_RSRC2:SCRATCH_EN: 0
; COMPUTE_PGM_RSRC2:USER_SGPR: 6
; COMPUTE_PGM_RSRC2:TRAP_HANDLER: 0
; COMPUTE_PGM_RSRC2:TGID_X_EN: 1
; COMPUTE_PGM_RSRC2:TGID_Y_EN: 0
; COMPUTE_PGM_RSRC2:TGID_Z_EN: 0
; COMPUTE_PGM_RSRC2:TIDIG_COMP_CNT: 0
	.section	.text._ZN7rocprim17ROCPRIM_400000_NS6detail17trampoline_kernelINS0_14default_configENS1_27scan_by_key_config_selectorIllEEZZNS1_16scan_by_key_implILNS1_25lookback_scan_determinismE0ELb0ES3_PKlN6hipcub16HIPCUB_304000_NS21ConstantInputIteratorIllEEPllNSB_3SumENSB_8EqualityElEE10hipError_tPvRmT2_T3_T4_T5_mT6_T7_P12ihipStream_tbENKUlT_T0_E_clISt17integral_constantIbLb0EESX_EEDaSS_ST_EUlSS_E_NS1_11comp_targetILNS1_3genE10ELNS1_11target_archE1201ELNS1_3gpuE5ELNS1_3repE0EEENS1_30default_config_static_selectorELNS0_4arch9wavefront6targetE0EEEvT1_,"axG",@progbits,_ZN7rocprim17ROCPRIM_400000_NS6detail17trampoline_kernelINS0_14default_configENS1_27scan_by_key_config_selectorIllEEZZNS1_16scan_by_key_implILNS1_25lookback_scan_determinismE0ELb0ES3_PKlN6hipcub16HIPCUB_304000_NS21ConstantInputIteratorIllEEPllNSB_3SumENSB_8EqualityElEE10hipError_tPvRmT2_T3_T4_T5_mT6_T7_P12ihipStream_tbENKUlT_T0_E_clISt17integral_constantIbLb0EESX_EEDaSS_ST_EUlSS_E_NS1_11comp_targetILNS1_3genE10ELNS1_11target_archE1201ELNS1_3gpuE5ELNS1_3repE0EEENS1_30default_config_static_selectorELNS0_4arch9wavefront6targetE0EEEvT1_,comdat
	.protected	_ZN7rocprim17ROCPRIM_400000_NS6detail17trampoline_kernelINS0_14default_configENS1_27scan_by_key_config_selectorIllEEZZNS1_16scan_by_key_implILNS1_25lookback_scan_determinismE0ELb0ES3_PKlN6hipcub16HIPCUB_304000_NS21ConstantInputIteratorIllEEPllNSB_3SumENSB_8EqualityElEE10hipError_tPvRmT2_T3_T4_T5_mT6_T7_P12ihipStream_tbENKUlT_T0_E_clISt17integral_constantIbLb0EESX_EEDaSS_ST_EUlSS_E_NS1_11comp_targetILNS1_3genE10ELNS1_11target_archE1201ELNS1_3gpuE5ELNS1_3repE0EEENS1_30default_config_static_selectorELNS0_4arch9wavefront6targetE0EEEvT1_ ; -- Begin function _ZN7rocprim17ROCPRIM_400000_NS6detail17trampoline_kernelINS0_14default_configENS1_27scan_by_key_config_selectorIllEEZZNS1_16scan_by_key_implILNS1_25lookback_scan_determinismE0ELb0ES3_PKlN6hipcub16HIPCUB_304000_NS21ConstantInputIteratorIllEEPllNSB_3SumENSB_8EqualityElEE10hipError_tPvRmT2_T3_T4_T5_mT6_T7_P12ihipStream_tbENKUlT_T0_E_clISt17integral_constantIbLb0EESX_EEDaSS_ST_EUlSS_E_NS1_11comp_targetILNS1_3genE10ELNS1_11target_archE1201ELNS1_3gpuE5ELNS1_3repE0EEENS1_30default_config_static_selectorELNS0_4arch9wavefront6targetE0EEEvT1_
	.globl	_ZN7rocprim17ROCPRIM_400000_NS6detail17trampoline_kernelINS0_14default_configENS1_27scan_by_key_config_selectorIllEEZZNS1_16scan_by_key_implILNS1_25lookback_scan_determinismE0ELb0ES3_PKlN6hipcub16HIPCUB_304000_NS21ConstantInputIteratorIllEEPllNSB_3SumENSB_8EqualityElEE10hipError_tPvRmT2_T3_T4_T5_mT6_T7_P12ihipStream_tbENKUlT_T0_E_clISt17integral_constantIbLb0EESX_EEDaSS_ST_EUlSS_E_NS1_11comp_targetILNS1_3genE10ELNS1_11target_archE1201ELNS1_3gpuE5ELNS1_3repE0EEENS1_30default_config_static_selectorELNS0_4arch9wavefront6targetE0EEEvT1_
	.p2align	8
	.type	_ZN7rocprim17ROCPRIM_400000_NS6detail17trampoline_kernelINS0_14default_configENS1_27scan_by_key_config_selectorIllEEZZNS1_16scan_by_key_implILNS1_25lookback_scan_determinismE0ELb0ES3_PKlN6hipcub16HIPCUB_304000_NS21ConstantInputIteratorIllEEPllNSB_3SumENSB_8EqualityElEE10hipError_tPvRmT2_T3_T4_T5_mT6_T7_P12ihipStream_tbENKUlT_T0_E_clISt17integral_constantIbLb0EESX_EEDaSS_ST_EUlSS_E_NS1_11comp_targetILNS1_3genE10ELNS1_11target_archE1201ELNS1_3gpuE5ELNS1_3repE0EEENS1_30default_config_static_selectorELNS0_4arch9wavefront6targetE0EEEvT1_,@function
_ZN7rocprim17ROCPRIM_400000_NS6detail17trampoline_kernelINS0_14default_configENS1_27scan_by_key_config_selectorIllEEZZNS1_16scan_by_key_implILNS1_25lookback_scan_determinismE0ELb0ES3_PKlN6hipcub16HIPCUB_304000_NS21ConstantInputIteratorIllEEPllNSB_3SumENSB_8EqualityElEE10hipError_tPvRmT2_T3_T4_T5_mT6_T7_P12ihipStream_tbENKUlT_T0_E_clISt17integral_constantIbLb0EESX_EEDaSS_ST_EUlSS_E_NS1_11comp_targetILNS1_3genE10ELNS1_11target_archE1201ELNS1_3gpuE5ELNS1_3repE0EEENS1_30default_config_static_selectorELNS0_4arch9wavefront6targetE0EEEvT1_: ; @_ZN7rocprim17ROCPRIM_400000_NS6detail17trampoline_kernelINS0_14default_configENS1_27scan_by_key_config_selectorIllEEZZNS1_16scan_by_key_implILNS1_25lookback_scan_determinismE0ELb0ES3_PKlN6hipcub16HIPCUB_304000_NS21ConstantInputIteratorIllEEPllNSB_3SumENSB_8EqualityElEE10hipError_tPvRmT2_T3_T4_T5_mT6_T7_P12ihipStream_tbENKUlT_T0_E_clISt17integral_constantIbLb0EESX_EEDaSS_ST_EUlSS_E_NS1_11comp_targetILNS1_3genE10ELNS1_11target_archE1201ELNS1_3gpuE5ELNS1_3repE0EEENS1_30default_config_static_selectorELNS0_4arch9wavefront6targetE0EEEvT1_
; %bb.0:
	.section	.rodata,"a",@progbits
	.p2align	6, 0x0
	.amdhsa_kernel _ZN7rocprim17ROCPRIM_400000_NS6detail17trampoline_kernelINS0_14default_configENS1_27scan_by_key_config_selectorIllEEZZNS1_16scan_by_key_implILNS1_25lookback_scan_determinismE0ELb0ES3_PKlN6hipcub16HIPCUB_304000_NS21ConstantInputIteratorIllEEPllNSB_3SumENSB_8EqualityElEE10hipError_tPvRmT2_T3_T4_T5_mT6_T7_P12ihipStream_tbENKUlT_T0_E_clISt17integral_constantIbLb0EESX_EEDaSS_ST_EUlSS_E_NS1_11comp_targetILNS1_3genE10ELNS1_11target_archE1201ELNS1_3gpuE5ELNS1_3repE0EEENS1_30default_config_static_selectorELNS0_4arch9wavefront6targetE0EEEvT1_
		.amdhsa_group_segment_fixed_size 0
		.amdhsa_private_segment_fixed_size 0
		.amdhsa_kernarg_size 144
		.amdhsa_user_sgpr_count 6
		.amdhsa_user_sgpr_private_segment_buffer 1
		.amdhsa_user_sgpr_dispatch_ptr 0
		.amdhsa_user_sgpr_queue_ptr 0
		.amdhsa_user_sgpr_kernarg_segment_ptr 1
		.amdhsa_user_sgpr_dispatch_id 0
		.amdhsa_user_sgpr_flat_scratch_init 0
		.amdhsa_user_sgpr_private_segment_size 0
		.amdhsa_wavefront_size32 1
		.amdhsa_uses_dynamic_stack 0
		.amdhsa_system_sgpr_private_segment_wavefront_offset 0
		.amdhsa_system_sgpr_workgroup_id_x 1
		.amdhsa_system_sgpr_workgroup_id_y 0
		.amdhsa_system_sgpr_workgroup_id_z 0
		.amdhsa_system_sgpr_workgroup_info 0
		.amdhsa_system_vgpr_workitem_id 0
		.amdhsa_next_free_vgpr 1
		.amdhsa_next_free_sgpr 1
		.amdhsa_reserve_vcc 0
		.amdhsa_reserve_flat_scratch 0
		.amdhsa_float_round_mode_32 0
		.amdhsa_float_round_mode_16_64 0
		.amdhsa_float_denorm_mode_32 3
		.amdhsa_float_denorm_mode_16_64 3
		.amdhsa_dx10_clamp 1
		.amdhsa_ieee_mode 1
		.amdhsa_fp16_overflow 0
		.amdhsa_workgroup_processor_mode 1
		.amdhsa_memory_ordered 1
		.amdhsa_forward_progress 1
		.amdhsa_shared_vgpr_count 0
		.amdhsa_exception_fp_ieee_invalid_op 0
		.amdhsa_exception_fp_denorm_src 0
		.amdhsa_exception_fp_ieee_div_zero 0
		.amdhsa_exception_fp_ieee_overflow 0
		.amdhsa_exception_fp_ieee_underflow 0
		.amdhsa_exception_fp_ieee_inexact 0
		.amdhsa_exception_int_div_zero 0
	.end_amdhsa_kernel
	.section	.text._ZN7rocprim17ROCPRIM_400000_NS6detail17trampoline_kernelINS0_14default_configENS1_27scan_by_key_config_selectorIllEEZZNS1_16scan_by_key_implILNS1_25lookback_scan_determinismE0ELb0ES3_PKlN6hipcub16HIPCUB_304000_NS21ConstantInputIteratorIllEEPllNSB_3SumENSB_8EqualityElEE10hipError_tPvRmT2_T3_T4_T5_mT6_T7_P12ihipStream_tbENKUlT_T0_E_clISt17integral_constantIbLb0EESX_EEDaSS_ST_EUlSS_E_NS1_11comp_targetILNS1_3genE10ELNS1_11target_archE1201ELNS1_3gpuE5ELNS1_3repE0EEENS1_30default_config_static_selectorELNS0_4arch9wavefront6targetE0EEEvT1_,"axG",@progbits,_ZN7rocprim17ROCPRIM_400000_NS6detail17trampoline_kernelINS0_14default_configENS1_27scan_by_key_config_selectorIllEEZZNS1_16scan_by_key_implILNS1_25lookback_scan_determinismE0ELb0ES3_PKlN6hipcub16HIPCUB_304000_NS21ConstantInputIteratorIllEEPllNSB_3SumENSB_8EqualityElEE10hipError_tPvRmT2_T3_T4_T5_mT6_T7_P12ihipStream_tbENKUlT_T0_E_clISt17integral_constantIbLb0EESX_EEDaSS_ST_EUlSS_E_NS1_11comp_targetILNS1_3genE10ELNS1_11target_archE1201ELNS1_3gpuE5ELNS1_3repE0EEENS1_30default_config_static_selectorELNS0_4arch9wavefront6targetE0EEEvT1_,comdat
.Lfunc_end95:
	.size	_ZN7rocprim17ROCPRIM_400000_NS6detail17trampoline_kernelINS0_14default_configENS1_27scan_by_key_config_selectorIllEEZZNS1_16scan_by_key_implILNS1_25lookback_scan_determinismE0ELb0ES3_PKlN6hipcub16HIPCUB_304000_NS21ConstantInputIteratorIllEEPllNSB_3SumENSB_8EqualityElEE10hipError_tPvRmT2_T3_T4_T5_mT6_T7_P12ihipStream_tbENKUlT_T0_E_clISt17integral_constantIbLb0EESX_EEDaSS_ST_EUlSS_E_NS1_11comp_targetILNS1_3genE10ELNS1_11target_archE1201ELNS1_3gpuE5ELNS1_3repE0EEENS1_30default_config_static_selectorELNS0_4arch9wavefront6targetE0EEEvT1_, .Lfunc_end95-_ZN7rocprim17ROCPRIM_400000_NS6detail17trampoline_kernelINS0_14default_configENS1_27scan_by_key_config_selectorIllEEZZNS1_16scan_by_key_implILNS1_25lookback_scan_determinismE0ELb0ES3_PKlN6hipcub16HIPCUB_304000_NS21ConstantInputIteratorIllEEPllNSB_3SumENSB_8EqualityElEE10hipError_tPvRmT2_T3_T4_T5_mT6_T7_P12ihipStream_tbENKUlT_T0_E_clISt17integral_constantIbLb0EESX_EEDaSS_ST_EUlSS_E_NS1_11comp_targetILNS1_3genE10ELNS1_11target_archE1201ELNS1_3gpuE5ELNS1_3repE0EEENS1_30default_config_static_selectorELNS0_4arch9wavefront6targetE0EEEvT1_
                                        ; -- End function
	.set _ZN7rocprim17ROCPRIM_400000_NS6detail17trampoline_kernelINS0_14default_configENS1_27scan_by_key_config_selectorIllEEZZNS1_16scan_by_key_implILNS1_25lookback_scan_determinismE0ELb0ES3_PKlN6hipcub16HIPCUB_304000_NS21ConstantInputIteratorIllEEPllNSB_3SumENSB_8EqualityElEE10hipError_tPvRmT2_T3_T4_T5_mT6_T7_P12ihipStream_tbENKUlT_T0_E_clISt17integral_constantIbLb0EESX_EEDaSS_ST_EUlSS_E_NS1_11comp_targetILNS1_3genE10ELNS1_11target_archE1201ELNS1_3gpuE5ELNS1_3repE0EEENS1_30default_config_static_selectorELNS0_4arch9wavefront6targetE0EEEvT1_.num_vgpr, 0
	.set _ZN7rocprim17ROCPRIM_400000_NS6detail17trampoline_kernelINS0_14default_configENS1_27scan_by_key_config_selectorIllEEZZNS1_16scan_by_key_implILNS1_25lookback_scan_determinismE0ELb0ES3_PKlN6hipcub16HIPCUB_304000_NS21ConstantInputIteratorIllEEPllNSB_3SumENSB_8EqualityElEE10hipError_tPvRmT2_T3_T4_T5_mT6_T7_P12ihipStream_tbENKUlT_T0_E_clISt17integral_constantIbLb0EESX_EEDaSS_ST_EUlSS_E_NS1_11comp_targetILNS1_3genE10ELNS1_11target_archE1201ELNS1_3gpuE5ELNS1_3repE0EEENS1_30default_config_static_selectorELNS0_4arch9wavefront6targetE0EEEvT1_.num_agpr, 0
	.set _ZN7rocprim17ROCPRIM_400000_NS6detail17trampoline_kernelINS0_14default_configENS1_27scan_by_key_config_selectorIllEEZZNS1_16scan_by_key_implILNS1_25lookback_scan_determinismE0ELb0ES3_PKlN6hipcub16HIPCUB_304000_NS21ConstantInputIteratorIllEEPllNSB_3SumENSB_8EqualityElEE10hipError_tPvRmT2_T3_T4_T5_mT6_T7_P12ihipStream_tbENKUlT_T0_E_clISt17integral_constantIbLb0EESX_EEDaSS_ST_EUlSS_E_NS1_11comp_targetILNS1_3genE10ELNS1_11target_archE1201ELNS1_3gpuE5ELNS1_3repE0EEENS1_30default_config_static_selectorELNS0_4arch9wavefront6targetE0EEEvT1_.numbered_sgpr, 0
	.set _ZN7rocprim17ROCPRIM_400000_NS6detail17trampoline_kernelINS0_14default_configENS1_27scan_by_key_config_selectorIllEEZZNS1_16scan_by_key_implILNS1_25lookback_scan_determinismE0ELb0ES3_PKlN6hipcub16HIPCUB_304000_NS21ConstantInputIteratorIllEEPllNSB_3SumENSB_8EqualityElEE10hipError_tPvRmT2_T3_T4_T5_mT6_T7_P12ihipStream_tbENKUlT_T0_E_clISt17integral_constantIbLb0EESX_EEDaSS_ST_EUlSS_E_NS1_11comp_targetILNS1_3genE10ELNS1_11target_archE1201ELNS1_3gpuE5ELNS1_3repE0EEENS1_30default_config_static_selectorELNS0_4arch9wavefront6targetE0EEEvT1_.num_named_barrier, 0
	.set _ZN7rocprim17ROCPRIM_400000_NS6detail17trampoline_kernelINS0_14default_configENS1_27scan_by_key_config_selectorIllEEZZNS1_16scan_by_key_implILNS1_25lookback_scan_determinismE0ELb0ES3_PKlN6hipcub16HIPCUB_304000_NS21ConstantInputIteratorIllEEPllNSB_3SumENSB_8EqualityElEE10hipError_tPvRmT2_T3_T4_T5_mT6_T7_P12ihipStream_tbENKUlT_T0_E_clISt17integral_constantIbLb0EESX_EEDaSS_ST_EUlSS_E_NS1_11comp_targetILNS1_3genE10ELNS1_11target_archE1201ELNS1_3gpuE5ELNS1_3repE0EEENS1_30default_config_static_selectorELNS0_4arch9wavefront6targetE0EEEvT1_.private_seg_size, 0
	.set _ZN7rocprim17ROCPRIM_400000_NS6detail17trampoline_kernelINS0_14default_configENS1_27scan_by_key_config_selectorIllEEZZNS1_16scan_by_key_implILNS1_25lookback_scan_determinismE0ELb0ES3_PKlN6hipcub16HIPCUB_304000_NS21ConstantInputIteratorIllEEPllNSB_3SumENSB_8EqualityElEE10hipError_tPvRmT2_T3_T4_T5_mT6_T7_P12ihipStream_tbENKUlT_T0_E_clISt17integral_constantIbLb0EESX_EEDaSS_ST_EUlSS_E_NS1_11comp_targetILNS1_3genE10ELNS1_11target_archE1201ELNS1_3gpuE5ELNS1_3repE0EEENS1_30default_config_static_selectorELNS0_4arch9wavefront6targetE0EEEvT1_.uses_vcc, 0
	.set _ZN7rocprim17ROCPRIM_400000_NS6detail17trampoline_kernelINS0_14default_configENS1_27scan_by_key_config_selectorIllEEZZNS1_16scan_by_key_implILNS1_25lookback_scan_determinismE0ELb0ES3_PKlN6hipcub16HIPCUB_304000_NS21ConstantInputIteratorIllEEPllNSB_3SumENSB_8EqualityElEE10hipError_tPvRmT2_T3_T4_T5_mT6_T7_P12ihipStream_tbENKUlT_T0_E_clISt17integral_constantIbLb0EESX_EEDaSS_ST_EUlSS_E_NS1_11comp_targetILNS1_3genE10ELNS1_11target_archE1201ELNS1_3gpuE5ELNS1_3repE0EEENS1_30default_config_static_selectorELNS0_4arch9wavefront6targetE0EEEvT1_.uses_flat_scratch, 0
	.set _ZN7rocprim17ROCPRIM_400000_NS6detail17trampoline_kernelINS0_14default_configENS1_27scan_by_key_config_selectorIllEEZZNS1_16scan_by_key_implILNS1_25lookback_scan_determinismE0ELb0ES3_PKlN6hipcub16HIPCUB_304000_NS21ConstantInputIteratorIllEEPllNSB_3SumENSB_8EqualityElEE10hipError_tPvRmT2_T3_T4_T5_mT6_T7_P12ihipStream_tbENKUlT_T0_E_clISt17integral_constantIbLb0EESX_EEDaSS_ST_EUlSS_E_NS1_11comp_targetILNS1_3genE10ELNS1_11target_archE1201ELNS1_3gpuE5ELNS1_3repE0EEENS1_30default_config_static_selectorELNS0_4arch9wavefront6targetE0EEEvT1_.has_dyn_sized_stack, 0
	.set _ZN7rocprim17ROCPRIM_400000_NS6detail17trampoline_kernelINS0_14default_configENS1_27scan_by_key_config_selectorIllEEZZNS1_16scan_by_key_implILNS1_25lookback_scan_determinismE0ELb0ES3_PKlN6hipcub16HIPCUB_304000_NS21ConstantInputIteratorIllEEPllNSB_3SumENSB_8EqualityElEE10hipError_tPvRmT2_T3_T4_T5_mT6_T7_P12ihipStream_tbENKUlT_T0_E_clISt17integral_constantIbLb0EESX_EEDaSS_ST_EUlSS_E_NS1_11comp_targetILNS1_3genE10ELNS1_11target_archE1201ELNS1_3gpuE5ELNS1_3repE0EEENS1_30default_config_static_selectorELNS0_4arch9wavefront6targetE0EEEvT1_.has_recursion, 0
	.set _ZN7rocprim17ROCPRIM_400000_NS6detail17trampoline_kernelINS0_14default_configENS1_27scan_by_key_config_selectorIllEEZZNS1_16scan_by_key_implILNS1_25lookback_scan_determinismE0ELb0ES3_PKlN6hipcub16HIPCUB_304000_NS21ConstantInputIteratorIllEEPllNSB_3SumENSB_8EqualityElEE10hipError_tPvRmT2_T3_T4_T5_mT6_T7_P12ihipStream_tbENKUlT_T0_E_clISt17integral_constantIbLb0EESX_EEDaSS_ST_EUlSS_E_NS1_11comp_targetILNS1_3genE10ELNS1_11target_archE1201ELNS1_3gpuE5ELNS1_3repE0EEENS1_30default_config_static_selectorELNS0_4arch9wavefront6targetE0EEEvT1_.has_indirect_call, 0
	.section	.AMDGPU.csdata,"",@progbits
; Kernel info:
; codeLenInByte = 0
; TotalNumSgprs: 0
; NumVgprs: 0
; ScratchSize: 0
; MemoryBound: 0
; FloatMode: 240
; IeeeMode: 1
; LDSByteSize: 0 bytes/workgroup (compile time only)
; SGPRBlocks: 0
; VGPRBlocks: 0
; NumSGPRsForWavesPerEU: 1
; NumVGPRsForWavesPerEU: 1
; Occupancy: 16
; WaveLimiterHint : 0
; COMPUTE_PGM_RSRC2:SCRATCH_EN: 0
; COMPUTE_PGM_RSRC2:USER_SGPR: 6
; COMPUTE_PGM_RSRC2:TRAP_HANDLER: 0
; COMPUTE_PGM_RSRC2:TGID_X_EN: 1
; COMPUTE_PGM_RSRC2:TGID_Y_EN: 0
; COMPUTE_PGM_RSRC2:TGID_Z_EN: 0
; COMPUTE_PGM_RSRC2:TIDIG_COMP_CNT: 0
	.section	.text._ZN7rocprim17ROCPRIM_400000_NS6detail17trampoline_kernelINS0_14default_configENS1_27scan_by_key_config_selectorIllEEZZNS1_16scan_by_key_implILNS1_25lookback_scan_determinismE0ELb0ES3_PKlN6hipcub16HIPCUB_304000_NS21ConstantInputIteratorIllEEPllNSB_3SumENSB_8EqualityElEE10hipError_tPvRmT2_T3_T4_T5_mT6_T7_P12ihipStream_tbENKUlT_T0_E_clISt17integral_constantIbLb0EESX_EEDaSS_ST_EUlSS_E_NS1_11comp_targetILNS1_3genE5ELNS1_11target_archE942ELNS1_3gpuE9ELNS1_3repE0EEENS1_30default_config_static_selectorELNS0_4arch9wavefront6targetE0EEEvT1_,"axG",@progbits,_ZN7rocprim17ROCPRIM_400000_NS6detail17trampoline_kernelINS0_14default_configENS1_27scan_by_key_config_selectorIllEEZZNS1_16scan_by_key_implILNS1_25lookback_scan_determinismE0ELb0ES3_PKlN6hipcub16HIPCUB_304000_NS21ConstantInputIteratorIllEEPllNSB_3SumENSB_8EqualityElEE10hipError_tPvRmT2_T3_T4_T5_mT6_T7_P12ihipStream_tbENKUlT_T0_E_clISt17integral_constantIbLb0EESX_EEDaSS_ST_EUlSS_E_NS1_11comp_targetILNS1_3genE5ELNS1_11target_archE942ELNS1_3gpuE9ELNS1_3repE0EEENS1_30default_config_static_selectorELNS0_4arch9wavefront6targetE0EEEvT1_,comdat
	.protected	_ZN7rocprim17ROCPRIM_400000_NS6detail17trampoline_kernelINS0_14default_configENS1_27scan_by_key_config_selectorIllEEZZNS1_16scan_by_key_implILNS1_25lookback_scan_determinismE0ELb0ES3_PKlN6hipcub16HIPCUB_304000_NS21ConstantInputIteratorIllEEPllNSB_3SumENSB_8EqualityElEE10hipError_tPvRmT2_T3_T4_T5_mT6_T7_P12ihipStream_tbENKUlT_T0_E_clISt17integral_constantIbLb0EESX_EEDaSS_ST_EUlSS_E_NS1_11comp_targetILNS1_3genE5ELNS1_11target_archE942ELNS1_3gpuE9ELNS1_3repE0EEENS1_30default_config_static_selectorELNS0_4arch9wavefront6targetE0EEEvT1_ ; -- Begin function _ZN7rocprim17ROCPRIM_400000_NS6detail17trampoline_kernelINS0_14default_configENS1_27scan_by_key_config_selectorIllEEZZNS1_16scan_by_key_implILNS1_25lookback_scan_determinismE0ELb0ES3_PKlN6hipcub16HIPCUB_304000_NS21ConstantInputIteratorIllEEPllNSB_3SumENSB_8EqualityElEE10hipError_tPvRmT2_T3_T4_T5_mT6_T7_P12ihipStream_tbENKUlT_T0_E_clISt17integral_constantIbLb0EESX_EEDaSS_ST_EUlSS_E_NS1_11comp_targetILNS1_3genE5ELNS1_11target_archE942ELNS1_3gpuE9ELNS1_3repE0EEENS1_30default_config_static_selectorELNS0_4arch9wavefront6targetE0EEEvT1_
	.globl	_ZN7rocprim17ROCPRIM_400000_NS6detail17trampoline_kernelINS0_14default_configENS1_27scan_by_key_config_selectorIllEEZZNS1_16scan_by_key_implILNS1_25lookback_scan_determinismE0ELb0ES3_PKlN6hipcub16HIPCUB_304000_NS21ConstantInputIteratorIllEEPllNSB_3SumENSB_8EqualityElEE10hipError_tPvRmT2_T3_T4_T5_mT6_T7_P12ihipStream_tbENKUlT_T0_E_clISt17integral_constantIbLb0EESX_EEDaSS_ST_EUlSS_E_NS1_11comp_targetILNS1_3genE5ELNS1_11target_archE942ELNS1_3gpuE9ELNS1_3repE0EEENS1_30default_config_static_selectorELNS0_4arch9wavefront6targetE0EEEvT1_
	.p2align	8
	.type	_ZN7rocprim17ROCPRIM_400000_NS6detail17trampoline_kernelINS0_14default_configENS1_27scan_by_key_config_selectorIllEEZZNS1_16scan_by_key_implILNS1_25lookback_scan_determinismE0ELb0ES3_PKlN6hipcub16HIPCUB_304000_NS21ConstantInputIteratorIllEEPllNSB_3SumENSB_8EqualityElEE10hipError_tPvRmT2_T3_T4_T5_mT6_T7_P12ihipStream_tbENKUlT_T0_E_clISt17integral_constantIbLb0EESX_EEDaSS_ST_EUlSS_E_NS1_11comp_targetILNS1_3genE5ELNS1_11target_archE942ELNS1_3gpuE9ELNS1_3repE0EEENS1_30default_config_static_selectorELNS0_4arch9wavefront6targetE0EEEvT1_,@function
_ZN7rocprim17ROCPRIM_400000_NS6detail17trampoline_kernelINS0_14default_configENS1_27scan_by_key_config_selectorIllEEZZNS1_16scan_by_key_implILNS1_25lookback_scan_determinismE0ELb0ES3_PKlN6hipcub16HIPCUB_304000_NS21ConstantInputIteratorIllEEPllNSB_3SumENSB_8EqualityElEE10hipError_tPvRmT2_T3_T4_T5_mT6_T7_P12ihipStream_tbENKUlT_T0_E_clISt17integral_constantIbLb0EESX_EEDaSS_ST_EUlSS_E_NS1_11comp_targetILNS1_3genE5ELNS1_11target_archE942ELNS1_3gpuE9ELNS1_3repE0EEENS1_30default_config_static_selectorELNS0_4arch9wavefront6targetE0EEEvT1_: ; @_ZN7rocprim17ROCPRIM_400000_NS6detail17trampoline_kernelINS0_14default_configENS1_27scan_by_key_config_selectorIllEEZZNS1_16scan_by_key_implILNS1_25lookback_scan_determinismE0ELb0ES3_PKlN6hipcub16HIPCUB_304000_NS21ConstantInputIteratorIllEEPllNSB_3SumENSB_8EqualityElEE10hipError_tPvRmT2_T3_T4_T5_mT6_T7_P12ihipStream_tbENKUlT_T0_E_clISt17integral_constantIbLb0EESX_EEDaSS_ST_EUlSS_E_NS1_11comp_targetILNS1_3genE5ELNS1_11target_archE942ELNS1_3gpuE9ELNS1_3repE0EEENS1_30default_config_static_selectorELNS0_4arch9wavefront6targetE0EEEvT1_
; %bb.0:
	.section	.rodata,"a",@progbits
	.p2align	6, 0x0
	.amdhsa_kernel _ZN7rocprim17ROCPRIM_400000_NS6detail17trampoline_kernelINS0_14default_configENS1_27scan_by_key_config_selectorIllEEZZNS1_16scan_by_key_implILNS1_25lookback_scan_determinismE0ELb0ES3_PKlN6hipcub16HIPCUB_304000_NS21ConstantInputIteratorIllEEPllNSB_3SumENSB_8EqualityElEE10hipError_tPvRmT2_T3_T4_T5_mT6_T7_P12ihipStream_tbENKUlT_T0_E_clISt17integral_constantIbLb0EESX_EEDaSS_ST_EUlSS_E_NS1_11comp_targetILNS1_3genE5ELNS1_11target_archE942ELNS1_3gpuE9ELNS1_3repE0EEENS1_30default_config_static_selectorELNS0_4arch9wavefront6targetE0EEEvT1_
		.amdhsa_group_segment_fixed_size 0
		.amdhsa_private_segment_fixed_size 0
		.amdhsa_kernarg_size 144
		.amdhsa_user_sgpr_count 6
		.amdhsa_user_sgpr_private_segment_buffer 1
		.amdhsa_user_sgpr_dispatch_ptr 0
		.amdhsa_user_sgpr_queue_ptr 0
		.amdhsa_user_sgpr_kernarg_segment_ptr 1
		.amdhsa_user_sgpr_dispatch_id 0
		.amdhsa_user_sgpr_flat_scratch_init 0
		.amdhsa_user_sgpr_private_segment_size 0
		.amdhsa_wavefront_size32 1
		.amdhsa_uses_dynamic_stack 0
		.amdhsa_system_sgpr_private_segment_wavefront_offset 0
		.amdhsa_system_sgpr_workgroup_id_x 1
		.amdhsa_system_sgpr_workgroup_id_y 0
		.amdhsa_system_sgpr_workgroup_id_z 0
		.amdhsa_system_sgpr_workgroup_info 0
		.amdhsa_system_vgpr_workitem_id 0
		.amdhsa_next_free_vgpr 1
		.amdhsa_next_free_sgpr 1
		.amdhsa_reserve_vcc 0
		.amdhsa_reserve_flat_scratch 0
		.amdhsa_float_round_mode_32 0
		.amdhsa_float_round_mode_16_64 0
		.amdhsa_float_denorm_mode_32 3
		.amdhsa_float_denorm_mode_16_64 3
		.amdhsa_dx10_clamp 1
		.amdhsa_ieee_mode 1
		.amdhsa_fp16_overflow 0
		.amdhsa_workgroup_processor_mode 1
		.amdhsa_memory_ordered 1
		.amdhsa_forward_progress 1
		.amdhsa_shared_vgpr_count 0
		.amdhsa_exception_fp_ieee_invalid_op 0
		.amdhsa_exception_fp_denorm_src 0
		.amdhsa_exception_fp_ieee_div_zero 0
		.amdhsa_exception_fp_ieee_overflow 0
		.amdhsa_exception_fp_ieee_underflow 0
		.amdhsa_exception_fp_ieee_inexact 0
		.amdhsa_exception_int_div_zero 0
	.end_amdhsa_kernel
	.section	.text._ZN7rocprim17ROCPRIM_400000_NS6detail17trampoline_kernelINS0_14default_configENS1_27scan_by_key_config_selectorIllEEZZNS1_16scan_by_key_implILNS1_25lookback_scan_determinismE0ELb0ES3_PKlN6hipcub16HIPCUB_304000_NS21ConstantInputIteratorIllEEPllNSB_3SumENSB_8EqualityElEE10hipError_tPvRmT2_T3_T4_T5_mT6_T7_P12ihipStream_tbENKUlT_T0_E_clISt17integral_constantIbLb0EESX_EEDaSS_ST_EUlSS_E_NS1_11comp_targetILNS1_3genE5ELNS1_11target_archE942ELNS1_3gpuE9ELNS1_3repE0EEENS1_30default_config_static_selectorELNS0_4arch9wavefront6targetE0EEEvT1_,"axG",@progbits,_ZN7rocprim17ROCPRIM_400000_NS6detail17trampoline_kernelINS0_14default_configENS1_27scan_by_key_config_selectorIllEEZZNS1_16scan_by_key_implILNS1_25lookback_scan_determinismE0ELb0ES3_PKlN6hipcub16HIPCUB_304000_NS21ConstantInputIteratorIllEEPllNSB_3SumENSB_8EqualityElEE10hipError_tPvRmT2_T3_T4_T5_mT6_T7_P12ihipStream_tbENKUlT_T0_E_clISt17integral_constantIbLb0EESX_EEDaSS_ST_EUlSS_E_NS1_11comp_targetILNS1_3genE5ELNS1_11target_archE942ELNS1_3gpuE9ELNS1_3repE0EEENS1_30default_config_static_selectorELNS0_4arch9wavefront6targetE0EEEvT1_,comdat
.Lfunc_end96:
	.size	_ZN7rocprim17ROCPRIM_400000_NS6detail17trampoline_kernelINS0_14default_configENS1_27scan_by_key_config_selectorIllEEZZNS1_16scan_by_key_implILNS1_25lookback_scan_determinismE0ELb0ES3_PKlN6hipcub16HIPCUB_304000_NS21ConstantInputIteratorIllEEPllNSB_3SumENSB_8EqualityElEE10hipError_tPvRmT2_T3_T4_T5_mT6_T7_P12ihipStream_tbENKUlT_T0_E_clISt17integral_constantIbLb0EESX_EEDaSS_ST_EUlSS_E_NS1_11comp_targetILNS1_3genE5ELNS1_11target_archE942ELNS1_3gpuE9ELNS1_3repE0EEENS1_30default_config_static_selectorELNS0_4arch9wavefront6targetE0EEEvT1_, .Lfunc_end96-_ZN7rocprim17ROCPRIM_400000_NS6detail17trampoline_kernelINS0_14default_configENS1_27scan_by_key_config_selectorIllEEZZNS1_16scan_by_key_implILNS1_25lookback_scan_determinismE0ELb0ES3_PKlN6hipcub16HIPCUB_304000_NS21ConstantInputIteratorIllEEPllNSB_3SumENSB_8EqualityElEE10hipError_tPvRmT2_T3_T4_T5_mT6_T7_P12ihipStream_tbENKUlT_T0_E_clISt17integral_constantIbLb0EESX_EEDaSS_ST_EUlSS_E_NS1_11comp_targetILNS1_3genE5ELNS1_11target_archE942ELNS1_3gpuE9ELNS1_3repE0EEENS1_30default_config_static_selectorELNS0_4arch9wavefront6targetE0EEEvT1_
                                        ; -- End function
	.set _ZN7rocprim17ROCPRIM_400000_NS6detail17trampoline_kernelINS0_14default_configENS1_27scan_by_key_config_selectorIllEEZZNS1_16scan_by_key_implILNS1_25lookback_scan_determinismE0ELb0ES3_PKlN6hipcub16HIPCUB_304000_NS21ConstantInputIteratorIllEEPllNSB_3SumENSB_8EqualityElEE10hipError_tPvRmT2_T3_T4_T5_mT6_T7_P12ihipStream_tbENKUlT_T0_E_clISt17integral_constantIbLb0EESX_EEDaSS_ST_EUlSS_E_NS1_11comp_targetILNS1_3genE5ELNS1_11target_archE942ELNS1_3gpuE9ELNS1_3repE0EEENS1_30default_config_static_selectorELNS0_4arch9wavefront6targetE0EEEvT1_.num_vgpr, 0
	.set _ZN7rocprim17ROCPRIM_400000_NS6detail17trampoline_kernelINS0_14default_configENS1_27scan_by_key_config_selectorIllEEZZNS1_16scan_by_key_implILNS1_25lookback_scan_determinismE0ELb0ES3_PKlN6hipcub16HIPCUB_304000_NS21ConstantInputIteratorIllEEPllNSB_3SumENSB_8EqualityElEE10hipError_tPvRmT2_T3_T4_T5_mT6_T7_P12ihipStream_tbENKUlT_T0_E_clISt17integral_constantIbLb0EESX_EEDaSS_ST_EUlSS_E_NS1_11comp_targetILNS1_3genE5ELNS1_11target_archE942ELNS1_3gpuE9ELNS1_3repE0EEENS1_30default_config_static_selectorELNS0_4arch9wavefront6targetE0EEEvT1_.num_agpr, 0
	.set _ZN7rocprim17ROCPRIM_400000_NS6detail17trampoline_kernelINS0_14default_configENS1_27scan_by_key_config_selectorIllEEZZNS1_16scan_by_key_implILNS1_25lookback_scan_determinismE0ELb0ES3_PKlN6hipcub16HIPCUB_304000_NS21ConstantInputIteratorIllEEPllNSB_3SumENSB_8EqualityElEE10hipError_tPvRmT2_T3_T4_T5_mT6_T7_P12ihipStream_tbENKUlT_T0_E_clISt17integral_constantIbLb0EESX_EEDaSS_ST_EUlSS_E_NS1_11comp_targetILNS1_3genE5ELNS1_11target_archE942ELNS1_3gpuE9ELNS1_3repE0EEENS1_30default_config_static_selectorELNS0_4arch9wavefront6targetE0EEEvT1_.numbered_sgpr, 0
	.set _ZN7rocprim17ROCPRIM_400000_NS6detail17trampoline_kernelINS0_14default_configENS1_27scan_by_key_config_selectorIllEEZZNS1_16scan_by_key_implILNS1_25lookback_scan_determinismE0ELb0ES3_PKlN6hipcub16HIPCUB_304000_NS21ConstantInputIteratorIllEEPllNSB_3SumENSB_8EqualityElEE10hipError_tPvRmT2_T3_T4_T5_mT6_T7_P12ihipStream_tbENKUlT_T0_E_clISt17integral_constantIbLb0EESX_EEDaSS_ST_EUlSS_E_NS1_11comp_targetILNS1_3genE5ELNS1_11target_archE942ELNS1_3gpuE9ELNS1_3repE0EEENS1_30default_config_static_selectorELNS0_4arch9wavefront6targetE0EEEvT1_.num_named_barrier, 0
	.set _ZN7rocprim17ROCPRIM_400000_NS6detail17trampoline_kernelINS0_14default_configENS1_27scan_by_key_config_selectorIllEEZZNS1_16scan_by_key_implILNS1_25lookback_scan_determinismE0ELb0ES3_PKlN6hipcub16HIPCUB_304000_NS21ConstantInputIteratorIllEEPllNSB_3SumENSB_8EqualityElEE10hipError_tPvRmT2_T3_T4_T5_mT6_T7_P12ihipStream_tbENKUlT_T0_E_clISt17integral_constantIbLb0EESX_EEDaSS_ST_EUlSS_E_NS1_11comp_targetILNS1_3genE5ELNS1_11target_archE942ELNS1_3gpuE9ELNS1_3repE0EEENS1_30default_config_static_selectorELNS0_4arch9wavefront6targetE0EEEvT1_.private_seg_size, 0
	.set _ZN7rocprim17ROCPRIM_400000_NS6detail17trampoline_kernelINS0_14default_configENS1_27scan_by_key_config_selectorIllEEZZNS1_16scan_by_key_implILNS1_25lookback_scan_determinismE0ELb0ES3_PKlN6hipcub16HIPCUB_304000_NS21ConstantInputIteratorIllEEPllNSB_3SumENSB_8EqualityElEE10hipError_tPvRmT2_T3_T4_T5_mT6_T7_P12ihipStream_tbENKUlT_T0_E_clISt17integral_constantIbLb0EESX_EEDaSS_ST_EUlSS_E_NS1_11comp_targetILNS1_3genE5ELNS1_11target_archE942ELNS1_3gpuE9ELNS1_3repE0EEENS1_30default_config_static_selectorELNS0_4arch9wavefront6targetE0EEEvT1_.uses_vcc, 0
	.set _ZN7rocprim17ROCPRIM_400000_NS6detail17trampoline_kernelINS0_14default_configENS1_27scan_by_key_config_selectorIllEEZZNS1_16scan_by_key_implILNS1_25lookback_scan_determinismE0ELb0ES3_PKlN6hipcub16HIPCUB_304000_NS21ConstantInputIteratorIllEEPllNSB_3SumENSB_8EqualityElEE10hipError_tPvRmT2_T3_T4_T5_mT6_T7_P12ihipStream_tbENKUlT_T0_E_clISt17integral_constantIbLb0EESX_EEDaSS_ST_EUlSS_E_NS1_11comp_targetILNS1_3genE5ELNS1_11target_archE942ELNS1_3gpuE9ELNS1_3repE0EEENS1_30default_config_static_selectorELNS0_4arch9wavefront6targetE0EEEvT1_.uses_flat_scratch, 0
	.set _ZN7rocprim17ROCPRIM_400000_NS6detail17trampoline_kernelINS0_14default_configENS1_27scan_by_key_config_selectorIllEEZZNS1_16scan_by_key_implILNS1_25lookback_scan_determinismE0ELb0ES3_PKlN6hipcub16HIPCUB_304000_NS21ConstantInputIteratorIllEEPllNSB_3SumENSB_8EqualityElEE10hipError_tPvRmT2_T3_T4_T5_mT6_T7_P12ihipStream_tbENKUlT_T0_E_clISt17integral_constantIbLb0EESX_EEDaSS_ST_EUlSS_E_NS1_11comp_targetILNS1_3genE5ELNS1_11target_archE942ELNS1_3gpuE9ELNS1_3repE0EEENS1_30default_config_static_selectorELNS0_4arch9wavefront6targetE0EEEvT1_.has_dyn_sized_stack, 0
	.set _ZN7rocprim17ROCPRIM_400000_NS6detail17trampoline_kernelINS0_14default_configENS1_27scan_by_key_config_selectorIllEEZZNS1_16scan_by_key_implILNS1_25lookback_scan_determinismE0ELb0ES3_PKlN6hipcub16HIPCUB_304000_NS21ConstantInputIteratorIllEEPllNSB_3SumENSB_8EqualityElEE10hipError_tPvRmT2_T3_T4_T5_mT6_T7_P12ihipStream_tbENKUlT_T0_E_clISt17integral_constantIbLb0EESX_EEDaSS_ST_EUlSS_E_NS1_11comp_targetILNS1_3genE5ELNS1_11target_archE942ELNS1_3gpuE9ELNS1_3repE0EEENS1_30default_config_static_selectorELNS0_4arch9wavefront6targetE0EEEvT1_.has_recursion, 0
	.set _ZN7rocprim17ROCPRIM_400000_NS6detail17trampoline_kernelINS0_14default_configENS1_27scan_by_key_config_selectorIllEEZZNS1_16scan_by_key_implILNS1_25lookback_scan_determinismE0ELb0ES3_PKlN6hipcub16HIPCUB_304000_NS21ConstantInputIteratorIllEEPllNSB_3SumENSB_8EqualityElEE10hipError_tPvRmT2_T3_T4_T5_mT6_T7_P12ihipStream_tbENKUlT_T0_E_clISt17integral_constantIbLb0EESX_EEDaSS_ST_EUlSS_E_NS1_11comp_targetILNS1_3genE5ELNS1_11target_archE942ELNS1_3gpuE9ELNS1_3repE0EEENS1_30default_config_static_selectorELNS0_4arch9wavefront6targetE0EEEvT1_.has_indirect_call, 0
	.section	.AMDGPU.csdata,"",@progbits
; Kernel info:
; codeLenInByte = 0
; TotalNumSgprs: 0
; NumVgprs: 0
; ScratchSize: 0
; MemoryBound: 0
; FloatMode: 240
; IeeeMode: 1
; LDSByteSize: 0 bytes/workgroup (compile time only)
; SGPRBlocks: 0
; VGPRBlocks: 0
; NumSGPRsForWavesPerEU: 1
; NumVGPRsForWavesPerEU: 1
; Occupancy: 16
; WaveLimiterHint : 0
; COMPUTE_PGM_RSRC2:SCRATCH_EN: 0
; COMPUTE_PGM_RSRC2:USER_SGPR: 6
; COMPUTE_PGM_RSRC2:TRAP_HANDLER: 0
; COMPUTE_PGM_RSRC2:TGID_X_EN: 1
; COMPUTE_PGM_RSRC2:TGID_Y_EN: 0
; COMPUTE_PGM_RSRC2:TGID_Z_EN: 0
; COMPUTE_PGM_RSRC2:TIDIG_COMP_CNT: 0
	.section	.text._ZN7rocprim17ROCPRIM_400000_NS6detail17trampoline_kernelINS0_14default_configENS1_27scan_by_key_config_selectorIllEEZZNS1_16scan_by_key_implILNS1_25lookback_scan_determinismE0ELb0ES3_PKlN6hipcub16HIPCUB_304000_NS21ConstantInputIteratorIllEEPllNSB_3SumENSB_8EqualityElEE10hipError_tPvRmT2_T3_T4_T5_mT6_T7_P12ihipStream_tbENKUlT_T0_E_clISt17integral_constantIbLb0EESX_EEDaSS_ST_EUlSS_E_NS1_11comp_targetILNS1_3genE4ELNS1_11target_archE910ELNS1_3gpuE8ELNS1_3repE0EEENS1_30default_config_static_selectorELNS0_4arch9wavefront6targetE0EEEvT1_,"axG",@progbits,_ZN7rocprim17ROCPRIM_400000_NS6detail17trampoline_kernelINS0_14default_configENS1_27scan_by_key_config_selectorIllEEZZNS1_16scan_by_key_implILNS1_25lookback_scan_determinismE0ELb0ES3_PKlN6hipcub16HIPCUB_304000_NS21ConstantInputIteratorIllEEPllNSB_3SumENSB_8EqualityElEE10hipError_tPvRmT2_T3_T4_T5_mT6_T7_P12ihipStream_tbENKUlT_T0_E_clISt17integral_constantIbLb0EESX_EEDaSS_ST_EUlSS_E_NS1_11comp_targetILNS1_3genE4ELNS1_11target_archE910ELNS1_3gpuE8ELNS1_3repE0EEENS1_30default_config_static_selectorELNS0_4arch9wavefront6targetE0EEEvT1_,comdat
	.protected	_ZN7rocprim17ROCPRIM_400000_NS6detail17trampoline_kernelINS0_14default_configENS1_27scan_by_key_config_selectorIllEEZZNS1_16scan_by_key_implILNS1_25lookback_scan_determinismE0ELb0ES3_PKlN6hipcub16HIPCUB_304000_NS21ConstantInputIteratorIllEEPllNSB_3SumENSB_8EqualityElEE10hipError_tPvRmT2_T3_T4_T5_mT6_T7_P12ihipStream_tbENKUlT_T0_E_clISt17integral_constantIbLb0EESX_EEDaSS_ST_EUlSS_E_NS1_11comp_targetILNS1_3genE4ELNS1_11target_archE910ELNS1_3gpuE8ELNS1_3repE0EEENS1_30default_config_static_selectorELNS0_4arch9wavefront6targetE0EEEvT1_ ; -- Begin function _ZN7rocprim17ROCPRIM_400000_NS6detail17trampoline_kernelINS0_14default_configENS1_27scan_by_key_config_selectorIllEEZZNS1_16scan_by_key_implILNS1_25lookback_scan_determinismE0ELb0ES3_PKlN6hipcub16HIPCUB_304000_NS21ConstantInputIteratorIllEEPllNSB_3SumENSB_8EqualityElEE10hipError_tPvRmT2_T3_T4_T5_mT6_T7_P12ihipStream_tbENKUlT_T0_E_clISt17integral_constantIbLb0EESX_EEDaSS_ST_EUlSS_E_NS1_11comp_targetILNS1_3genE4ELNS1_11target_archE910ELNS1_3gpuE8ELNS1_3repE0EEENS1_30default_config_static_selectorELNS0_4arch9wavefront6targetE0EEEvT1_
	.globl	_ZN7rocprim17ROCPRIM_400000_NS6detail17trampoline_kernelINS0_14default_configENS1_27scan_by_key_config_selectorIllEEZZNS1_16scan_by_key_implILNS1_25lookback_scan_determinismE0ELb0ES3_PKlN6hipcub16HIPCUB_304000_NS21ConstantInputIteratorIllEEPllNSB_3SumENSB_8EqualityElEE10hipError_tPvRmT2_T3_T4_T5_mT6_T7_P12ihipStream_tbENKUlT_T0_E_clISt17integral_constantIbLb0EESX_EEDaSS_ST_EUlSS_E_NS1_11comp_targetILNS1_3genE4ELNS1_11target_archE910ELNS1_3gpuE8ELNS1_3repE0EEENS1_30default_config_static_selectorELNS0_4arch9wavefront6targetE0EEEvT1_
	.p2align	8
	.type	_ZN7rocprim17ROCPRIM_400000_NS6detail17trampoline_kernelINS0_14default_configENS1_27scan_by_key_config_selectorIllEEZZNS1_16scan_by_key_implILNS1_25lookback_scan_determinismE0ELb0ES3_PKlN6hipcub16HIPCUB_304000_NS21ConstantInputIteratorIllEEPllNSB_3SumENSB_8EqualityElEE10hipError_tPvRmT2_T3_T4_T5_mT6_T7_P12ihipStream_tbENKUlT_T0_E_clISt17integral_constantIbLb0EESX_EEDaSS_ST_EUlSS_E_NS1_11comp_targetILNS1_3genE4ELNS1_11target_archE910ELNS1_3gpuE8ELNS1_3repE0EEENS1_30default_config_static_selectorELNS0_4arch9wavefront6targetE0EEEvT1_,@function
_ZN7rocprim17ROCPRIM_400000_NS6detail17trampoline_kernelINS0_14default_configENS1_27scan_by_key_config_selectorIllEEZZNS1_16scan_by_key_implILNS1_25lookback_scan_determinismE0ELb0ES3_PKlN6hipcub16HIPCUB_304000_NS21ConstantInputIteratorIllEEPllNSB_3SumENSB_8EqualityElEE10hipError_tPvRmT2_T3_T4_T5_mT6_T7_P12ihipStream_tbENKUlT_T0_E_clISt17integral_constantIbLb0EESX_EEDaSS_ST_EUlSS_E_NS1_11comp_targetILNS1_3genE4ELNS1_11target_archE910ELNS1_3gpuE8ELNS1_3repE0EEENS1_30default_config_static_selectorELNS0_4arch9wavefront6targetE0EEEvT1_: ; @_ZN7rocprim17ROCPRIM_400000_NS6detail17trampoline_kernelINS0_14default_configENS1_27scan_by_key_config_selectorIllEEZZNS1_16scan_by_key_implILNS1_25lookback_scan_determinismE0ELb0ES3_PKlN6hipcub16HIPCUB_304000_NS21ConstantInputIteratorIllEEPllNSB_3SumENSB_8EqualityElEE10hipError_tPvRmT2_T3_T4_T5_mT6_T7_P12ihipStream_tbENKUlT_T0_E_clISt17integral_constantIbLb0EESX_EEDaSS_ST_EUlSS_E_NS1_11comp_targetILNS1_3genE4ELNS1_11target_archE910ELNS1_3gpuE8ELNS1_3repE0EEENS1_30default_config_static_selectorELNS0_4arch9wavefront6targetE0EEEvT1_
; %bb.0:
	.section	.rodata,"a",@progbits
	.p2align	6, 0x0
	.amdhsa_kernel _ZN7rocprim17ROCPRIM_400000_NS6detail17trampoline_kernelINS0_14default_configENS1_27scan_by_key_config_selectorIllEEZZNS1_16scan_by_key_implILNS1_25lookback_scan_determinismE0ELb0ES3_PKlN6hipcub16HIPCUB_304000_NS21ConstantInputIteratorIllEEPllNSB_3SumENSB_8EqualityElEE10hipError_tPvRmT2_T3_T4_T5_mT6_T7_P12ihipStream_tbENKUlT_T0_E_clISt17integral_constantIbLb0EESX_EEDaSS_ST_EUlSS_E_NS1_11comp_targetILNS1_3genE4ELNS1_11target_archE910ELNS1_3gpuE8ELNS1_3repE0EEENS1_30default_config_static_selectorELNS0_4arch9wavefront6targetE0EEEvT1_
		.amdhsa_group_segment_fixed_size 0
		.amdhsa_private_segment_fixed_size 0
		.amdhsa_kernarg_size 144
		.amdhsa_user_sgpr_count 6
		.amdhsa_user_sgpr_private_segment_buffer 1
		.amdhsa_user_sgpr_dispatch_ptr 0
		.amdhsa_user_sgpr_queue_ptr 0
		.amdhsa_user_sgpr_kernarg_segment_ptr 1
		.amdhsa_user_sgpr_dispatch_id 0
		.amdhsa_user_sgpr_flat_scratch_init 0
		.amdhsa_user_sgpr_private_segment_size 0
		.amdhsa_wavefront_size32 1
		.amdhsa_uses_dynamic_stack 0
		.amdhsa_system_sgpr_private_segment_wavefront_offset 0
		.amdhsa_system_sgpr_workgroup_id_x 1
		.amdhsa_system_sgpr_workgroup_id_y 0
		.amdhsa_system_sgpr_workgroup_id_z 0
		.amdhsa_system_sgpr_workgroup_info 0
		.amdhsa_system_vgpr_workitem_id 0
		.amdhsa_next_free_vgpr 1
		.amdhsa_next_free_sgpr 1
		.amdhsa_reserve_vcc 0
		.amdhsa_reserve_flat_scratch 0
		.amdhsa_float_round_mode_32 0
		.amdhsa_float_round_mode_16_64 0
		.amdhsa_float_denorm_mode_32 3
		.amdhsa_float_denorm_mode_16_64 3
		.amdhsa_dx10_clamp 1
		.amdhsa_ieee_mode 1
		.amdhsa_fp16_overflow 0
		.amdhsa_workgroup_processor_mode 1
		.amdhsa_memory_ordered 1
		.amdhsa_forward_progress 1
		.amdhsa_shared_vgpr_count 0
		.amdhsa_exception_fp_ieee_invalid_op 0
		.amdhsa_exception_fp_denorm_src 0
		.amdhsa_exception_fp_ieee_div_zero 0
		.amdhsa_exception_fp_ieee_overflow 0
		.amdhsa_exception_fp_ieee_underflow 0
		.amdhsa_exception_fp_ieee_inexact 0
		.amdhsa_exception_int_div_zero 0
	.end_amdhsa_kernel
	.section	.text._ZN7rocprim17ROCPRIM_400000_NS6detail17trampoline_kernelINS0_14default_configENS1_27scan_by_key_config_selectorIllEEZZNS1_16scan_by_key_implILNS1_25lookback_scan_determinismE0ELb0ES3_PKlN6hipcub16HIPCUB_304000_NS21ConstantInputIteratorIllEEPllNSB_3SumENSB_8EqualityElEE10hipError_tPvRmT2_T3_T4_T5_mT6_T7_P12ihipStream_tbENKUlT_T0_E_clISt17integral_constantIbLb0EESX_EEDaSS_ST_EUlSS_E_NS1_11comp_targetILNS1_3genE4ELNS1_11target_archE910ELNS1_3gpuE8ELNS1_3repE0EEENS1_30default_config_static_selectorELNS0_4arch9wavefront6targetE0EEEvT1_,"axG",@progbits,_ZN7rocprim17ROCPRIM_400000_NS6detail17trampoline_kernelINS0_14default_configENS1_27scan_by_key_config_selectorIllEEZZNS1_16scan_by_key_implILNS1_25lookback_scan_determinismE0ELb0ES3_PKlN6hipcub16HIPCUB_304000_NS21ConstantInputIteratorIllEEPllNSB_3SumENSB_8EqualityElEE10hipError_tPvRmT2_T3_T4_T5_mT6_T7_P12ihipStream_tbENKUlT_T0_E_clISt17integral_constantIbLb0EESX_EEDaSS_ST_EUlSS_E_NS1_11comp_targetILNS1_3genE4ELNS1_11target_archE910ELNS1_3gpuE8ELNS1_3repE0EEENS1_30default_config_static_selectorELNS0_4arch9wavefront6targetE0EEEvT1_,comdat
.Lfunc_end97:
	.size	_ZN7rocprim17ROCPRIM_400000_NS6detail17trampoline_kernelINS0_14default_configENS1_27scan_by_key_config_selectorIllEEZZNS1_16scan_by_key_implILNS1_25lookback_scan_determinismE0ELb0ES3_PKlN6hipcub16HIPCUB_304000_NS21ConstantInputIteratorIllEEPllNSB_3SumENSB_8EqualityElEE10hipError_tPvRmT2_T3_T4_T5_mT6_T7_P12ihipStream_tbENKUlT_T0_E_clISt17integral_constantIbLb0EESX_EEDaSS_ST_EUlSS_E_NS1_11comp_targetILNS1_3genE4ELNS1_11target_archE910ELNS1_3gpuE8ELNS1_3repE0EEENS1_30default_config_static_selectorELNS0_4arch9wavefront6targetE0EEEvT1_, .Lfunc_end97-_ZN7rocprim17ROCPRIM_400000_NS6detail17trampoline_kernelINS0_14default_configENS1_27scan_by_key_config_selectorIllEEZZNS1_16scan_by_key_implILNS1_25lookback_scan_determinismE0ELb0ES3_PKlN6hipcub16HIPCUB_304000_NS21ConstantInputIteratorIllEEPllNSB_3SumENSB_8EqualityElEE10hipError_tPvRmT2_T3_T4_T5_mT6_T7_P12ihipStream_tbENKUlT_T0_E_clISt17integral_constantIbLb0EESX_EEDaSS_ST_EUlSS_E_NS1_11comp_targetILNS1_3genE4ELNS1_11target_archE910ELNS1_3gpuE8ELNS1_3repE0EEENS1_30default_config_static_selectorELNS0_4arch9wavefront6targetE0EEEvT1_
                                        ; -- End function
	.set _ZN7rocprim17ROCPRIM_400000_NS6detail17trampoline_kernelINS0_14default_configENS1_27scan_by_key_config_selectorIllEEZZNS1_16scan_by_key_implILNS1_25lookback_scan_determinismE0ELb0ES3_PKlN6hipcub16HIPCUB_304000_NS21ConstantInputIteratorIllEEPllNSB_3SumENSB_8EqualityElEE10hipError_tPvRmT2_T3_T4_T5_mT6_T7_P12ihipStream_tbENKUlT_T0_E_clISt17integral_constantIbLb0EESX_EEDaSS_ST_EUlSS_E_NS1_11comp_targetILNS1_3genE4ELNS1_11target_archE910ELNS1_3gpuE8ELNS1_3repE0EEENS1_30default_config_static_selectorELNS0_4arch9wavefront6targetE0EEEvT1_.num_vgpr, 0
	.set _ZN7rocprim17ROCPRIM_400000_NS6detail17trampoline_kernelINS0_14default_configENS1_27scan_by_key_config_selectorIllEEZZNS1_16scan_by_key_implILNS1_25lookback_scan_determinismE0ELb0ES3_PKlN6hipcub16HIPCUB_304000_NS21ConstantInputIteratorIllEEPllNSB_3SumENSB_8EqualityElEE10hipError_tPvRmT2_T3_T4_T5_mT6_T7_P12ihipStream_tbENKUlT_T0_E_clISt17integral_constantIbLb0EESX_EEDaSS_ST_EUlSS_E_NS1_11comp_targetILNS1_3genE4ELNS1_11target_archE910ELNS1_3gpuE8ELNS1_3repE0EEENS1_30default_config_static_selectorELNS0_4arch9wavefront6targetE0EEEvT1_.num_agpr, 0
	.set _ZN7rocprim17ROCPRIM_400000_NS6detail17trampoline_kernelINS0_14default_configENS1_27scan_by_key_config_selectorIllEEZZNS1_16scan_by_key_implILNS1_25lookback_scan_determinismE0ELb0ES3_PKlN6hipcub16HIPCUB_304000_NS21ConstantInputIteratorIllEEPllNSB_3SumENSB_8EqualityElEE10hipError_tPvRmT2_T3_T4_T5_mT6_T7_P12ihipStream_tbENKUlT_T0_E_clISt17integral_constantIbLb0EESX_EEDaSS_ST_EUlSS_E_NS1_11comp_targetILNS1_3genE4ELNS1_11target_archE910ELNS1_3gpuE8ELNS1_3repE0EEENS1_30default_config_static_selectorELNS0_4arch9wavefront6targetE0EEEvT1_.numbered_sgpr, 0
	.set _ZN7rocprim17ROCPRIM_400000_NS6detail17trampoline_kernelINS0_14default_configENS1_27scan_by_key_config_selectorIllEEZZNS1_16scan_by_key_implILNS1_25lookback_scan_determinismE0ELb0ES3_PKlN6hipcub16HIPCUB_304000_NS21ConstantInputIteratorIllEEPllNSB_3SumENSB_8EqualityElEE10hipError_tPvRmT2_T3_T4_T5_mT6_T7_P12ihipStream_tbENKUlT_T0_E_clISt17integral_constantIbLb0EESX_EEDaSS_ST_EUlSS_E_NS1_11comp_targetILNS1_3genE4ELNS1_11target_archE910ELNS1_3gpuE8ELNS1_3repE0EEENS1_30default_config_static_selectorELNS0_4arch9wavefront6targetE0EEEvT1_.num_named_barrier, 0
	.set _ZN7rocprim17ROCPRIM_400000_NS6detail17trampoline_kernelINS0_14default_configENS1_27scan_by_key_config_selectorIllEEZZNS1_16scan_by_key_implILNS1_25lookback_scan_determinismE0ELb0ES3_PKlN6hipcub16HIPCUB_304000_NS21ConstantInputIteratorIllEEPllNSB_3SumENSB_8EqualityElEE10hipError_tPvRmT2_T3_T4_T5_mT6_T7_P12ihipStream_tbENKUlT_T0_E_clISt17integral_constantIbLb0EESX_EEDaSS_ST_EUlSS_E_NS1_11comp_targetILNS1_3genE4ELNS1_11target_archE910ELNS1_3gpuE8ELNS1_3repE0EEENS1_30default_config_static_selectorELNS0_4arch9wavefront6targetE0EEEvT1_.private_seg_size, 0
	.set _ZN7rocprim17ROCPRIM_400000_NS6detail17trampoline_kernelINS0_14default_configENS1_27scan_by_key_config_selectorIllEEZZNS1_16scan_by_key_implILNS1_25lookback_scan_determinismE0ELb0ES3_PKlN6hipcub16HIPCUB_304000_NS21ConstantInputIteratorIllEEPllNSB_3SumENSB_8EqualityElEE10hipError_tPvRmT2_T3_T4_T5_mT6_T7_P12ihipStream_tbENKUlT_T0_E_clISt17integral_constantIbLb0EESX_EEDaSS_ST_EUlSS_E_NS1_11comp_targetILNS1_3genE4ELNS1_11target_archE910ELNS1_3gpuE8ELNS1_3repE0EEENS1_30default_config_static_selectorELNS0_4arch9wavefront6targetE0EEEvT1_.uses_vcc, 0
	.set _ZN7rocprim17ROCPRIM_400000_NS6detail17trampoline_kernelINS0_14default_configENS1_27scan_by_key_config_selectorIllEEZZNS1_16scan_by_key_implILNS1_25lookback_scan_determinismE0ELb0ES3_PKlN6hipcub16HIPCUB_304000_NS21ConstantInputIteratorIllEEPllNSB_3SumENSB_8EqualityElEE10hipError_tPvRmT2_T3_T4_T5_mT6_T7_P12ihipStream_tbENKUlT_T0_E_clISt17integral_constantIbLb0EESX_EEDaSS_ST_EUlSS_E_NS1_11comp_targetILNS1_3genE4ELNS1_11target_archE910ELNS1_3gpuE8ELNS1_3repE0EEENS1_30default_config_static_selectorELNS0_4arch9wavefront6targetE0EEEvT1_.uses_flat_scratch, 0
	.set _ZN7rocprim17ROCPRIM_400000_NS6detail17trampoline_kernelINS0_14default_configENS1_27scan_by_key_config_selectorIllEEZZNS1_16scan_by_key_implILNS1_25lookback_scan_determinismE0ELb0ES3_PKlN6hipcub16HIPCUB_304000_NS21ConstantInputIteratorIllEEPllNSB_3SumENSB_8EqualityElEE10hipError_tPvRmT2_T3_T4_T5_mT6_T7_P12ihipStream_tbENKUlT_T0_E_clISt17integral_constantIbLb0EESX_EEDaSS_ST_EUlSS_E_NS1_11comp_targetILNS1_3genE4ELNS1_11target_archE910ELNS1_3gpuE8ELNS1_3repE0EEENS1_30default_config_static_selectorELNS0_4arch9wavefront6targetE0EEEvT1_.has_dyn_sized_stack, 0
	.set _ZN7rocprim17ROCPRIM_400000_NS6detail17trampoline_kernelINS0_14default_configENS1_27scan_by_key_config_selectorIllEEZZNS1_16scan_by_key_implILNS1_25lookback_scan_determinismE0ELb0ES3_PKlN6hipcub16HIPCUB_304000_NS21ConstantInputIteratorIllEEPllNSB_3SumENSB_8EqualityElEE10hipError_tPvRmT2_T3_T4_T5_mT6_T7_P12ihipStream_tbENKUlT_T0_E_clISt17integral_constantIbLb0EESX_EEDaSS_ST_EUlSS_E_NS1_11comp_targetILNS1_3genE4ELNS1_11target_archE910ELNS1_3gpuE8ELNS1_3repE0EEENS1_30default_config_static_selectorELNS0_4arch9wavefront6targetE0EEEvT1_.has_recursion, 0
	.set _ZN7rocprim17ROCPRIM_400000_NS6detail17trampoline_kernelINS0_14default_configENS1_27scan_by_key_config_selectorIllEEZZNS1_16scan_by_key_implILNS1_25lookback_scan_determinismE0ELb0ES3_PKlN6hipcub16HIPCUB_304000_NS21ConstantInputIteratorIllEEPllNSB_3SumENSB_8EqualityElEE10hipError_tPvRmT2_T3_T4_T5_mT6_T7_P12ihipStream_tbENKUlT_T0_E_clISt17integral_constantIbLb0EESX_EEDaSS_ST_EUlSS_E_NS1_11comp_targetILNS1_3genE4ELNS1_11target_archE910ELNS1_3gpuE8ELNS1_3repE0EEENS1_30default_config_static_selectorELNS0_4arch9wavefront6targetE0EEEvT1_.has_indirect_call, 0
	.section	.AMDGPU.csdata,"",@progbits
; Kernel info:
; codeLenInByte = 0
; TotalNumSgprs: 0
; NumVgprs: 0
; ScratchSize: 0
; MemoryBound: 0
; FloatMode: 240
; IeeeMode: 1
; LDSByteSize: 0 bytes/workgroup (compile time only)
; SGPRBlocks: 0
; VGPRBlocks: 0
; NumSGPRsForWavesPerEU: 1
; NumVGPRsForWavesPerEU: 1
; Occupancy: 16
; WaveLimiterHint : 0
; COMPUTE_PGM_RSRC2:SCRATCH_EN: 0
; COMPUTE_PGM_RSRC2:USER_SGPR: 6
; COMPUTE_PGM_RSRC2:TRAP_HANDLER: 0
; COMPUTE_PGM_RSRC2:TGID_X_EN: 1
; COMPUTE_PGM_RSRC2:TGID_Y_EN: 0
; COMPUTE_PGM_RSRC2:TGID_Z_EN: 0
; COMPUTE_PGM_RSRC2:TIDIG_COMP_CNT: 0
	.section	.text._ZN7rocprim17ROCPRIM_400000_NS6detail17trampoline_kernelINS0_14default_configENS1_27scan_by_key_config_selectorIllEEZZNS1_16scan_by_key_implILNS1_25lookback_scan_determinismE0ELb0ES3_PKlN6hipcub16HIPCUB_304000_NS21ConstantInputIteratorIllEEPllNSB_3SumENSB_8EqualityElEE10hipError_tPvRmT2_T3_T4_T5_mT6_T7_P12ihipStream_tbENKUlT_T0_E_clISt17integral_constantIbLb0EESX_EEDaSS_ST_EUlSS_E_NS1_11comp_targetILNS1_3genE3ELNS1_11target_archE908ELNS1_3gpuE7ELNS1_3repE0EEENS1_30default_config_static_selectorELNS0_4arch9wavefront6targetE0EEEvT1_,"axG",@progbits,_ZN7rocprim17ROCPRIM_400000_NS6detail17trampoline_kernelINS0_14default_configENS1_27scan_by_key_config_selectorIllEEZZNS1_16scan_by_key_implILNS1_25lookback_scan_determinismE0ELb0ES3_PKlN6hipcub16HIPCUB_304000_NS21ConstantInputIteratorIllEEPllNSB_3SumENSB_8EqualityElEE10hipError_tPvRmT2_T3_T4_T5_mT6_T7_P12ihipStream_tbENKUlT_T0_E_clISt17integral_constantIbLb0EESX_EEDaSS_ST_EUlSS_E_NS1_11comp_targetILNS1_3genE3ELNS1_11target_archE908ELNS1_3gpuE7ELNS1_3repE0EEENS1_30default_config_static_selectorELNS0_4arch9wavefront6targetE0EEEvT1_,comdat
	.protected	_ZN7rocprim17ROCPRIM_400000_NS6detail17trampoline_kernelINS0_14default_configENS1_27scan_by_key_config_selectorIllEEZZNS1_16scan_by_key_implILNS1_25lookback_scan_determinismE0ELb0ES3_PKlN6hipcub16HIPCUB_304000_NS21ConstantInputIteratorIllEEPllNSB_3SumENSB_8EqualityElEE10hipError_tPvRmT2_T3_T4_T5_mT6_T7_P12ihipStream_tbENKUlT_T0_E_clISt17integral_constantIbLb0EESX_EEDaSS_ST_EUlSS_E_NS1_11comp_targetILNS1_3genE3ELNS1_11target_archE908ELNS1_3gpuE7ELNS1_3repE0EEENS1_30default_config_static_selectorELNS0_4arch9wavefront6targetE0EEEvT1_ ; -- Begin function _ZN7rocprim17ROCPRIM_400000_NS6detail17trampoline_kernelINS0_14default_configENS1_27scan_by_key_config_selectorIllEEZZNS1_16scan_by_key_implILNS1_25lookback_scan_determinismE0ELb0ES3_PKlN6hipcub16HIPCUB_304000_NS21ConstantInputIteratorIllEEPllNSB_3SumENSB_8EqualityElEE10hipError_tPvRmT2_T3_T4_T5_mT6_T7_P12ihipStream_tbENKUlT_T0_E_clISt17integral_constantIbLb0EESX_EEDaSS_ST_EUlSS_E_NS1_11comp_targetILNS1_3genE3ELNS1_11target_archE908ELNS1_3gpuE7ELNS1_3repE0EEENS1_30default_config_static_selectorELNS0_4arch9wavefront6targetE0EEEvT1_
	.globl	_ZN7rocprim17ROCPRIM_400000_NS6detail17trampoline_kernelINS0_14default_configENS1_27scan_by_key_config_selectorIllEEZZNS1_16scan_by_key_implILNS1_25lookback_scan_determinismE0ELb0ES3_PKlN6hipcub16HIPCUB_304000_NS21ConstantInputIteratorIllEEPllNSB_3SumENSB_8EqualityElEE10hipError_tPvRmT2_T3_T4_T5_mT6_T7_P12ihipStream_tbENKUlT_T0_E_clISt17integral_constantIbLb0EESX_EEDaSS_ST_EUlSS_E_NS1_11comp_targetILNS1_3genE3ELNS1_11target_archE908ELNS1_3gpuE7ELNS1_3repE0EEENS1_30default_config_static_selectorELNS0_4arch9wavefront6targetE0EEEvT1_
	.p2align	8
	.type	_ZN7rocprim17ROCPRIM_400000_NS6detail17trampoline_kernelINS0_14default_configENS1_27scan_by_key_config_selectorIllEEZZNS1_16scan_by_key_implILNS1_25lookback_scan_determinismE0ELb0ES3_PKlN6hipcub16HIPCUB_304000_NS21ConstantInputIteratorIllEEPllNSB_3SumENSB_8EqualityElEE10hipError_tPvRmT2_T3_T4_T5_mT6_T7_P12ihipStream_tbENKUlT_T0_E_clISt17integral_constantIbLb0EESX_EEDaSS_ST_EUlSS_E_NS1_11comp_targetILNS1_3genE3ELNS1_11target_archE908ELNS1_3gpuE7ELNS1_3repE0EEENS1_30default_config_static_selectorELNS0_4arch9wavefront6targetE0EEEvT1_,@function
_ZN7rocprim17ROCPRIM_400000_NS6detail17trampoline_kernelINS0_14default_configENS1_27scan_by_key_config_selectorIllEEZZNS1_16scan_by_key_implILNS1_25lookback_scan_determinismE0ELb0ES3_PKlN6hipcub16HIPCUB_304000_NS21ConstantInputIteratorIllEEPllNSB_3SumENSB_8EqualityElEE10hipError_tPvRmT2_T3_T4_T5_mT6_T7_P12ihipStream_tbENKUlT_T0_E_clISt17integral_constantIbLb0EESX_EEDaSS_ST_EUlSS_E_NS1_11comp_targetILNS1_3genE3ELNS1_11target_archE908ELNS1_3gpuE7ELNS1_3repE0EEENS1_30default_config_static_selectorELNS0_4arch9wavefront6targetE0EEEvT1_: ; @_ZN7rocprim17ROCPRIM_400000_NS6detail17trampoline_kernelINS0_14default_configENS1_27scan_by_key_config_selectorIllEEZZNS1_16scan_by_key_implILNS1_25lookback_scan_determinismE0ELb0ES3_PKlN6hipcub16HIPCUB_304000_NS21ConstantInputIteratorIllEEPllNSB_3SumENSB_8EqualityElEE10hipError_tPvRmT2_T3_T4_T5_mT6_T7_P12ihipStream_tbENKUlT_T0_E_clISt17integral_constantIbLb0EESX_EEDaSS_ST_EUlSS_E_NS1_11comp_targetILNS1_3genE3ELNS1_11target_archE908ELNS1_3gpuE7ELNS1_3repE0EEENS1_30default_config_static_selectorELNS0_4arch9wavefront6targetE0EEEvT1_
; %bb.0:
	.section	.rodata,"a",@progbits
	.p2align	6, 0x0
	.amdhsa_kernel _ZN7rocprim17ROCPRIM_400000_NS6detail17trampoline_kernelINS0_14default_configENS1_27scan_by_key_config_selectorIllEEZZNS1_16scan_by_key_implILNS1_25lookback_scan_determinismE0ELb0ES3_PKlN6hipcub16HIPCUB_304000_NS21ConstantInputIteratorIllEEPllNSB_3SumENSB_8EqualityElEE10hipError_tPvRmT2_T3_T4_T5_mT6_T7_P12ihipStream_tbENKUlT_T0_E_clISt17integral_constantIbLb0EESX_EEDaSS_ST_EUlSS_E_NS1_11comp_targetILNS1_3genE3ELNS1_11target_archE908ELNS1_3gpuE7ELNS1_3repE0EEENS1_30default_config_static_selectorELNS0_4arch9wavefront6targetE0EEEvT1_
		.amdhsa_group_segment_fixed_size 0
		.amdhsa_private_segment_fixed_size 0
		.amdhsa_kernarg_size 144
		.amdhsa_user_sgpr_count 6
		.amdhsa_user_sgpr_private_segment_buffer 1
		.amdhsa_user_sgpr_dispatch_ptr 0
		.amdhsa_user_sgpr_queue_ptr 0
		.amdhsa_user_sgpr_kernarg_segment_ptr 1
		.amdhsa_user_sgpr_dispatch_id 0
		.amdhsa_user_sgpr_flat_scratch_init 0
		.amdhsa_user_sgpr_private_segment_size 0
		.amdhsa_wavefront_size32 1
		.amdhsa_uses_dynamic_stack 0
		.amdhsa_system_sgpr_private_segment_wavefront_offset 0
		.amdhsa_system_sgpr_workgroup_id_x 1
		.amdhsa_system_sgpr_workgroup_id_y 0
		.amdhsa_system_sgpr_workgroup_id_z 0
		.amdhsa_system_sgpr_workgroup_info 0
		.amdhsa_system_vgpr_workitem_id 0
		.amdhsa_next_free_vgpr 1
		.amdhsa_next_free_sgpr 1
		.amdhsa_reserve_vcc 0
		.amdhsa_reserve_flat_scratch 0
		.amdhsa_float_round_mode_32 0
		.amdhsa_float_round_mode_16_64 0
		.amdhsa_float_denorm_mode_32 3
		.amdhsa_float_denorm_mode_16_64 3
		.amdhsa_dx10_clamp 1
		.amdhsa_ieee_mode 1
		.amdhsa_fp16_overflow 0
		.amdhsa_workgroup_processor_mode 1
		.amdhsa_memory_ordered 1
		.amdhsa_forward_progress 1
		.amdhsa_shared_vgpr_count 0
		.amdhsa_exception_fp_ieee_invalid_op 0
		.amdhsa_exception_fp_denorm_src 0
		.amdhsa_exception_fp_ieee_div_zero 0
		.amdhsa_exception_fp_ieee_overflow 0
		.amdhsa_exception_fp_ieee_underflow 0
		.amdhsa_exception_fp_ieee_inexact 0
		.amdhsa_exception_int_div_zero 0
	.end_amdhsa_kernel
	.section	.text._ZN7rocprim17ROCPRIM_400000_NS6detail17trampoline_kernelINS0_14default_configENS1_27scan_by_key_config_selectorIllEEZZNS1_16scan_by_key_implILNS1_25lookback_scan_determinismE0ELb0ES3_PKlN6hipcub16HIPCUB_304000_NS21ConstantInputIteratorIllEEPllNSB_3SumENSB_8EqualityElEE10hipError_tPvRmT2_T3_T4_T5_mT6_T7_P12ihipStream_tbENKUlT_T0_E_clISt17integral_constantIbLb0EESX_EEDaSS_ST_EUlSS_E_NS1_11comp_targetILNS1_3genE3ELNS1_11target_archE908ELNS1_3gpuE7ELNS1_3repE0EEENS1_30default_config_static_selectorELNS0_4arch9wavefront6targetE0EEEvT1_,"axG",@progbits,_ZN7rocprim17ROCPRIM_400000_NS6detail17trampoline_kernelINS0_14default_configENS1_27scan_by_key_config_selectorIllEEZZNS1_16scan_by_key_implILNS1_25lookback_scan_determinismE0ELb0ES3_PKlN6hipcub16HIPCUB_304000_NS21ConstantInputIteratorIllEEPllNSB_3SumENSB_8EqualityElEE10hipError_tPvRmT2_T3_T4_T5_mT6_T7_P12ihipStream_tbENKUlT_T0_E_clISt17integral_constantIbLb0EESX_EEDaSS_ST_EUlSS_E_NS1_11comp_targetILNS1_3genE3ELNS1_11target_archE908ELNS1_3gpuE7ELNS1_3repE0EEENS1_30default_config_static_selectorELNS0_4arch9wavefront6targetE0EEEvT1_,comdat
.Lfunc_end98:
	.size	_ZN7rocprim17ROCPRIM_400000_NS6detail17trampoline_kernelINS0_14default_configENS1_27scan_by_key_config_selectorIllEEZZNS1_16scan_by_key_implILNS1_25lookback_scan_determinismE0ELb0ES3_PKlN6hipcub16HIPCUB_304000_NS21ConstantInputIteratorIllEEPllNSB_3SumENSB_8EqualityElEE10hipError_tPvRmT2_T3_T4_T5_mT6_T7_P12ihipStream_tbENKUlT_T0_E_clISt17integral_constantIbLb0EESX_EEDaSS_ST_EUlSS_E_NS1_11comp_targetILNS1_3genE3ELNS1_11target_archE908ELNS1_3gpuE7ELNS1_3repE0EEENS1_30default_config_static_selectorELNS0_4arch9wavefront6targetE0EEEvT1_, .Lfunc_end98-_ZN7rocprim17ROCPRIM_400000_NS6detail17trampoline_kernelINS0_14default_configENS1_27scan_by_key_config_selectorIllEEZZNS1_16scan_by_key_implILNS1_25lookback_scan_determinismE0ELb0ES3_PKlN6hipcub16HIPCUB_304000_NS21ConstantInputIteratorIllEEPllNSB_3SumENSB_8EqualityElEE10hipError_tPvRmT2_T3_T4_T5_mT6_T7_P12ihipStream_tbENKUlT_T0_E_clISt17integral_constantIbLb0EESX_EEDaSS_ST_EUlSS_E_NS1_11comp_targetILNS1_3genE3ELNS1_11target_archE908ELNS1_3gpuE7ELNS1_3repE0EEENS1_30default_config_static_selectorELNS0_4arch9wavefront6targetE0EEEvT1_
                                        ; -- End function
	.set _ZN7rocprim17ROCPRIM_400000_NS6detail17trampoline_kernelINS0_14default_configENS1_27scan_by_key_config_selectorIllEEZZNS1_16scan_by_key_implILNS1_25lookback_scan_determinismE0ELb0ES3_PKlN6hipcub16HIPCUB_304000_NS21ConstantInputIteratorIllEEPllNSB_3SumENSB_8EqualityElEE10hipError_tPvRmT2_T3_T4_T5_mT6_T7_P12ihipStream_tbENKUlT_T0_E_clISt17integral_constantIbLb0EESX_EEDaSS_ST_EUlSS_E_NS1_11comp_targetILNS1_3genE3ELNS1_11target_archE908ELNS1_3gpuE7ELNS1_3repE0EEENS1_30default_config_static_selectorELNS0_4arch9wavefront6targetE0EEEvT1_.num_vgpr, 0
	.set _ZN7rocprim17ROCPRIM_400000_NS6detail17trampoline_kernelINS0_14default_configENS1_27scan_by_key_config_selectorIllEEZZNS1_16scan_by_key_implILNS1_25lookback_scan_determinismE0ELb0ES3_PKlN6hipcub16HIPCUB_304000_NS21ConstantInputIteratorIllEEPllNSB_3SumENSB_8EqualityElEE10hipError_tPvRmT2_T3_T4_T5_mT6_T7_P12ihipStream_tbENKUlT_T0_E_clISt17integral_constantIbLb0EESX_EEDaSS_ST_EUlSS_E_NS1_11comp_targetILNS1_3genE3ELNS1_11target_archE908ELNS1_3gpuE7ELNS1_3repE0EEENS1_30default_config_static_selectorELNS0_4arch9wavefront6targetE0EEEvT1_.num_agpr, 0
	.set _ZN7rocprim17ROCPRIM_400000_NS6detail17trampoline_kernelINS0_14default_configENS1_27scan_by_key_config_selectorIllEEZZNS1_16scan_by_key_implILNS1_25lookback_scan_determinismE0ELb0ES3_PKlN6hipcub16HIPCUB_304000_NS21ConstantInputIteratorIllEEPllNSB_3SumENSB_8EqualityElEE10hipError_tPvRmT2_T3_T4_T5_mT6_T7_P12ihipStream_tbENKUlT_T0_E_clISt17integral_constantIbLb0EESX_EEDaSS_ST_EUlSS_E_NS1_11comp_targetILNS1_3genE3ELNS1_11target_archE908ELNS1_3gpuE7ELNS1_3repE0EEENS1_30default_config_static_selectorELNS0_4arch9wavefront6targetE0EEEvT1_.numbered_sgpr, 0
	.set _ZN7rocprim17ROCPRIM_400000_NS6detail17trampoline_kernelINS0_14default_configENS1_27scan_by_key_config_selectorIllEEZZNS1_16scan_by_key_implILNS1_25lookback_scan_determinismE0ELb0ES3_PKlN6hipcub16HIPCUB_304000_NS21ConstantInputIteratorIllEEPllNSB_3SumENSB_8EqualityElEE10hipError_tPvRmT2_T3_T4_T5_mT6_T7_P12ihipStream_tbENKUlT_T0_E_clISt17integral_constantIbLb0EESX_EEDaSS_ST_EUlSS_E_NS1_11comp_targetILNS1_3genE3ELNS1_11target_archE908ELNS1_3gpuE7ELNS1_3repE0EEENS1_30default_config_static_selectorELNS0_4arch9wavefront6targetE0EEEvT1_.num_named_barrier, 0
	.set _ZN7rocprim17ROCPRIM_400000_NS6detail17trampoline_kernelINS0_14default_configENS1_27scan_by_key_config_selectorIllEEZZNS1_16scan_by_key_implILNS1_25lookback_scan_determinismE0ELb0ES3_PKlN6hipcub16HIPCUB_304000_NS21ConstantInputIteratorIllEEPllNSB_3SumENSB_8EqualityElEE10hipError_tPvRmT2_T3_T4_T5_mT6_T7_P12ihipStream_tbENKUlT_T0_E_clISt17integral_constantIbLb0EESX_EEDaSS_ST_EUlSS_E_NS1_11comp_targetILNS1_3genE3ELNS1_11target_archE908ELNS1_3gpuE7ELNS1_3repE0EEENS1_30default_config_static_selectorELNS0_4arch9wavefront6targetE0EEEvT1_.private_seg_size, 0
	.set _ZN7rocprim17ROCPRIM_400000_NS6detail17trampoline_kernelINS0_14default_configENS1_27scan_by_key_config_selectorIllEEZZNS1_16scan_by_key_implILNS1_25lookback_scan_determinismE0ELb0ES3_PKlN6hipcub16HIPCUB_304000_NS21ConstantInputIteratorIllEEPllNSB_3SumENSB_8EqualityElEE10hipError_tPvRmT2_T3_T4_T5_mT6_T7_P12ihipStream_tbENKUlT_T0_E_clISt17integral_constantIbLb0EESX_EEDaSS_ST_EUlSS_E_NS1_11comp_targetILNS1_3genE3ELNS1_11target_archE908ELNS1_3gpuE7ELNS1_3repE0EEENS1_30default_config_static_selectorELNS0_4arch9wavefront6targetE0EEEvT1_.uses_vcc, 0
	.set _ZN7rocprim17ROCPRIM_400000_NS6detail17trampoline_kernelINS0_14default_configENS1_27scan_by_key_config_selectorIllEEZZNS1_16scan_by_key_implILNS1_25lookback_scan_determinismE0ELb0ES3_PKlN6hipcub16HIPCUB_304000_NS21ConstantInputIteratorIllEEPllNSB_3SumENSB_8EqualityElEE10hipError_tPvRmT2_T3_T4_T5_mT6_T7_P12ihipStream_tbENKUlT_T0_E_clISt17integral_constantIbLb0EESX_EEDaSS_ST_EUlSS_E_NS1_11comp_targetILNS1_3genE3ELNS1_11target_archE908ELNS1_3gpuE7ELNS1_3repE0EEENS1_30default_config_static_selectorELNS0_4arch9wavefront6targetE0EEEvT1_.uses_flat_scratch, 0
	.set _ZN7rocprim17ROCPRIM_400000_NS6detail17trampoline_kernelINS0_14default_configENS1_27scan_by_key_config_selectorIllEEZZNS1_16scan_by_key_implILNS1_25lookback_scan_determinismE0ELb0ES3_PKlN6hipcub16HIPCUB_304000_NS21ConstantInputIteratorIllEEPllNSB_3SumENSB_8EqualityElEE10hipError_tPvRmT2_T3_T4_T5_mT6_T7_P12ihipStream_tbENKUlT_T0_E_clISt17integral_constantIbLb0EESX_EEDaSS_ST_EUlSS_E_NS1_11comp_targetILNS1_3genE3ELNS1_11target_archE908ELNS1_3gpuE7ELNS1_3repE0EEENS1_30default_config_static_selectorELNS0_4arch9wavefront6targetE0EEEvT1_.has_dyn_sized_stack, 0
	.set _ZN7rocprim17ROCPRIM_400000_NS6detail17trampoline_kernelINS0_14default_configENS1_27scan_by_key_config_selectorIllEEZZNS1_16scan_by_key_implILNS1_25lookback_scan_determinismE0ELb0ES3_PKlN6hipcub16HIPCUB_304000_NS21ConstantInputIteratorIllEEPllNSB_3SumENSB_8EqualityElEE10hipError_tPvRmT2_T3_T4_T5_mT6_T7_P12ihipStream_tbENKUlT_T0_E_clISt17integral_constantIbLb0EESX_EEDaSS_ST_EUlSS_E_NS1_11comp_targetILNS1_3genE3ELNS1_11target_archE908ELNS1_3gpuE7ELNS1_3repE0EEENS1_30default_config_static_selectorELNS0_4arch9wavefront6targetE0EEEvT1_.has_recursion, 0
	.set _ZN7rocprim17ROCPRIM_400000_NS6detail17trampoline_kernelINS0_14default_configENS1_27scan_by_key_config_selectorIllEEZZNS1_16scan_by_key_implILNS1_25lookback_scan_determinismE0ELb0ES3_PKlN6hipcub16HIPCUB_304000_NS21ConstantInputIteratorIllEEPllNSB_3SumENSB_8EqualityElEE10hipError_tPvRmT2_T3_T4_T5_mT6_T7_P12ihipStream_tbENKUlT_T0_E_clISt17integral_constantIbLb0EESX_EEDaSS_ST_EUlSS_E_NS1_11comp_targetILNS1_3genE3ELNS1_11target_archE908ELNS1_3gpuE7ELNS1_3repE0EEENS1_30default_config_static_selectorELNS0_4arch9wavefront6targetE0EEEvT1_.has_indirect_call, 0
	.section	.AMDGPU.csdata,"",@progbits
; Kernel info:
; codeLenInByte = 0
; TotalNumSgprs: 0
; NumVgprs: 0
; ScratchSize: 0
; MemoryBound: 0
; FloatMode: 240
; IeeeMode: 1
; LDSByteSize: 0 bytes/workgroup (compile time only)
; SGPRBlocks: 0
; VGPRBlocks: 0
; NumSGPRsForWavesPerEU: 1
; NumVGPRsForWavesPerEU: 1
; Occupancy: 16
; WaveLimiterHint : 0
; COMPUTE_PGM_RSRC2:SCRATCH_EN: 0
; COMPUTE_PGM_RSRC2:USER_SGPR: 6
; COMPUTE_PGM_RSRC2:TRAP_HANDLER: 0
; COMPUTE_PGM_RSRC2:TGID_X_EN: 1
; COMPUTE_PGM_RSRC2:TGID_Y_EN: 0
; COMPUTE_PGM_RSRC2:TGID_Z_EN: 0
; COMPUTE_PGM_RSRC2:TIDIG_COMP_CNT: 0
	.section	.text._ZN7rocprim17ROCPRIM_400000_NS6detail17trampoline_kernelINS0_14default_configENS1_27scan_by_key_config_selectorIllEEZZNS1_16scan_by_key_implILNS1_25lookback_scan_determinismE0ELb0ES3_PKlN6hipcub16HIPCUB_304000_NS21ConstantInputIteratorIllEEPllNSB_3SumENSB_8EqualityElEE10hipError_tPvRmT2_T3_T4_T5_mT6_T7_P12ihipStream_tbENKUlT_T0_E_clISt17integral_constantIbLb0EESX_EEDaSS_ST_EUlSS_E_NS1_11comp_targetILNS1_3genE2ELNS1_11target_archE906ELNS1_3gpuE6ELNS1_3repE0EEENS1_30default_config_static_selectorELNS0_4arch9wavefront6targetE0EEEvT1_,"axG",@progbits,_ZN7rocprim17ROCPRIM_400000_NS6detail17trampoline_kernelINS0_14default_configENS1_27scan_by_key_config_selectorIllEEZZNS1_16scan_by_key_implILNS1_25lookback_scan_determinismE0ELb0ES3_PKlN6hipcub16HIPCUB_304000_NS21ConstantInputIteratorIllEEPllNSB_3SumENSB_8EqualityElEE10hipError_tPvRmT2_T3_T4_T5_mT6_T7_P12ihipStream_tbENKUlT_T0_E_clISt17integral_constantIbLb0EESX_EEDaSS_ST_EUlSS_E_NS1_11comp_targetILNS1_3genE2ELNS1_11target_archE906ELNS1_3gpuE6ELNS1_3repE0EEENS1_30default_config_static_selectorELNS0_4arch9wavefront6targetE0EEEvT1_,comdat
	.protected	_ZN7rocprim17ROCPRIM_400000_NS6detail17trampoline_kernelINS0_14default_configENS1_27scan_by_key_config_selectorIllEEZZNS1_16scan_by_key_implILNS1_25lookback_scan_determinismE0ELb0ES3_PKlN6hipcub16HIPCUB_304000_NS21ConstantInputIteratorIllEEPllNSB_3SumENSB_8EqualityElEE10hipError_tPvRmT2_T3_T4_T5_mT6_T7_P12ihipStream_tbENKUlT_T0_E_clISt17integral_constantIbLb0EESX_EEDaSS_ST_EUlSS_E_NS1_11comp_targetILNS1_3genE2ELNS1_11target_archE906ELNS1_3gpuE6ELNS1_3repE0EEENS1_30default_config_static_selectorELNS0_4arch9wavefront6targetE0EEEvT1_ ; -- Begin function _ZN7rocprim17ROCPRIM_400000_NS6detail17trampoline_kernelINS0_14default_configENS1_27scan_by_key_config_selectorIllEEZZNS1_16scan_by_key_implILNS1_25lookback_scan_determinismE0ELb0ES3_PKlN6hipcub16HIPCUB_304000_NS21ConstantInputIteratorIllEEPllNSB_3SumENSB_8EqualityElEE10hipError_tPvRmT2_T3_T4_T5_mT6_T7_P12ihipStream_tbENKUlT_T0_E_clISt17integral_constantIbLb0EESX_EEDaSS_ST_EUlSS_E_NS1_11comp_targetILNS1_3genE2ELNS1_11target_archE906ELNS1_3gpuE6ELNS1_3repE0EEENS1_30default_config_static_selectorELNS0_4arch9wavefront6targetE0EEEvT1_
	.globl	_ZN7rocprim17ROCPRIM_400000_NS6detail17trampoline_kernelINS0_14default_configENS1_27scan_by_key_config_selectorIllEEZZNS1_16scan_by_key_implILNS1_25lookback_scan_determinismE0ELb0ES3_PKlN6hipcub16HIPCUB_304000_NS21ConstantInputIteratorIllEEPllNSB_3SumENSB_8EqualityElEE10hipError_tPvRmT2_T3_T4_T5_mT6_T7_P12ihipStream_tbENKUlT_T0_E_clISt17integral_constantIbLb0EESX_EEDaSS_ST_EUlSS_E_NS1_11comp_targetILNS1_3genE2ELNS1_11target_archE906ELNS1_3gpuE6ELNS1_3repE0EEENS1_30default_config_static_selectorELNS0_4arch9wavefront6targetE0EEEvT1_
	.p2align	8
	.type	_ZN7rocprim17ROCPRIM_400000_NS6detail17trampoline_kernelINS0_14default_configENS1_27scan_by_key_config_selectorIllEEZZNS1_16scan_by_key_implILNS1_25lookback_scan_determinismE0ELb0ES3_PKlN6hipcub16HIPCUB_304000_NS21ConstantInputIteratorIllEEPllNSB_3SumENSB_8EqualityElEE10hipError_tPvRmT2_T3_T4_T5_mT6_T7_P12ihipStream_tbENKUlT_T0_E_clISt17integral_constantIbLb0EESX_EEDaSS_ST_EUlSS_E_NS1_11comp_targetILNS1_3genE2ELNS1_11target_archE906ELNS1_3gpuE6ELNS1_3repE0EEENS1_30default_config_static_selectorELNS0_4arch9wavefront6targetE0EEEvT1_,@function
_ZN7rocprim17ROCPRIM_400000_NS6detail17trampoline_kernelINS0_14default_configENS1_27scan_by_key_config_selectorIllEEZZNS1_16scan_by_key_implILNS1_25lookback_scan_determinismE0ELb0ES3_PKlN6hipcub16HIPCUB_304000_NS21ConstantInputIteratorIllEEPllNSB_3SumENSB_8EqualityElEE10hipError_tPvRmT2_T3_T4_T5_mT6_T7_P12ihipStream_tbENKUlT_T0_E_clISt17integral_constantIbLb0EESX_EEDaSS_ST_EUlSS_E_NS1_11comp_targetILNS1_3genE2ELNS1_11target_archE906ELNS1_3gpuE6ELNS1_3repE0EEENS1_30default_config_static_selectorELNS0_4arch9wavefront6targetE0EEEvT1_: ; @_ZN7rocprim17ROCPRIM_400000_NS6detail17trampoline_kernelINS0_14default_configENS1_27scan_by_key_config_selectorIllEEZZNS1_16scan_by_key_implILNS1_25lookback_scan_determinismE0ELb0ES3_PKlN6hipcub16HIPCUB_304000_NS21ConstantInputIteratorIllEEPllNSB_3SumENSB_8EqualityElEE10hipError_tPvRmT2_T3_T4_T5_mT6_T7_P12ihipStream_tbENKUlT_T0_E_clISt17integral_constantIbLb0EESX_EEDaSS_ST_EUlSS_E_NS1_11comp_targetILNS1_3genE2ELNS1_11target_archE906ELNS1_3gpuE6ELNS1_3repE0EEENS1_30default_config_static_selectorELNS0_4arch9wavefront6targetE0EEEvT1_
; %bb.0:
	.section	.rodata,"a",@progbits
	.p2align	6, 0x0
	.amdhsa_kernel _ZN7rocprim17ROCPRIM_400000_NS6detail17trampoline_kernelINS0_14default_configENS1_27scan_by_key_config_selectorIllEEZZNS1_16scan_by_key_implILNS1_25lookback_scan_determinismE0ELb0ES3_PKlN6hipcub16HIPCUB_304000_NS21ConstantInputIteratorIllEEPllNSB_3SumENSB_8EqualityElEE10hipError_tPvRmT2_T3_T4_T5_mT6_T7_P12ihipStream_tbENKUlT_T0_E_clISt17integral_constantIbLb0EESX_EEDaSS_ST_EUlSS_E_NS1_11comp_targetILNS1_3genE2ELNS1_11target_archE906ELNS1_3gpuE6ELNS1_3repE0EEENS1_30default_config_static_selectorELNS0_4arch9wavefront6targetE0EEEvT1_
		.amdhsa_group_segment_fixed_size 0
		.amdhsa_private_segment_fixed_size 0
		.amdhsa_kernarg_size 144
		.amdhsa_user_sgpr_count 6
		.amdhsa_user_sgpr_private_segment_buffer 1
		.amdhsa_user_sgpr_dispatch_ptr 0
		.amdhsa_user_sgpr_queue_ptr 0
		.amdhsa_user_sgpr_kernarg_segment_ptr 1
		.amdhsa_user_sgpr_dispatch_id 0
		.amdhsa_user_sgpr_flat_scratch_init 0
		.amdhsa_user_sgpr_private_segment_size 0
		.amdhsa_wavefront_size32 1
		.amdhsa_uses_dynamic_stack 0
		.amdhsa_system_sgpr_private_segment_wavefront_offset 0
		.amdhsa_system_sgpr_workgroup_id_x 1
		.amdhsa_system_sgpr_workgroup_id_y 0
		.amdhsa_system_sgpr_workgroup_id_z 0
		.amdhsa_system_sgpr_workgroup_info 0
		.amdhsa_system_vgpr_workitem_id 0
		.amdhsa_next_free_vgpr 1
		.amdhsa_next_free_sgpr 1
		.amdhsa_reserve_vcc 0
		.amdhsa_reserve_flat_scratch 0
		.amdhsa_float_round_mode_32 0
		.amdhsa_float_round_mode_16_64 0
		.amdhsa_float_denorm_mode_32 3
		.amdhsa_float_denorm_mode_16_64 3
		.amdhsa_dx10_clamp 1
		.amdhsa_ieee_mode 1
		.amdhsa_fp16_overflow 0
		.amdhsa_workgroup_processor_mode 1
		.amdhsa_memory_ordered 1
		.amdhsa_forward_progress 1
		.amdhsa_shared_vgpr_count 0
		.amdhsa_exception_fp_ieee_invalid_op 0
		.amdhsa_exception_fp_denorm_src 0
		.amdhsa_exception_fp_ieee_div_zero 0
		.amdhsa_exception_fp_ieee_overflow 0
		.amdhsa_exception_fp_ieee_underflow 0
		.amdhsa_exception_fp_ieee_inexact 0
		.amdhsa_exception_int_div_zero 0
	.end_amdhsa_kernel
	.section	.text._ZN7rocprim17ROCPRIM_400000_NS6detail17trampoline_kernelINS0_14default_configENS1_27scan_by_key_config_selectorIllEEZZNS1_16scan_by_key_implILNS1_25lookback_scan_determinismE0ELb0ES3_PKlN6hipcub16HIPCUB_304000_NS21ConstantInputIteratorIllEEPllNSB_3SumENSB_8EqualityElEE10hipError_tPvRmT2_T3_T4_T5_mT6_T7_P12ihipStream_tbENKUlT_T0_E_clISt17integral_constantIbLb0EESX_EEDaSS_ST_EUlSS_E_NS1_11comp_targetILNS1_3genE2ELNS1_11target_archE906ELNS1_3gpuE6ELNS1_3repE0EEENS1_30default_config_static_selectorELNS0_4arch9wavefront6targetE0EEEvT1_,"axG",@progbits,_ZN7rocprim17ROCPRIM_400000_NS6detail17trampoline_kernelINS0_14default_configENS1_27scan_by_key_config_selectorIllEEZZNS1_16scan_by_key_implILNS1_25lookback_scan_determinismE0ELb0ES3_PKlN6hipcub16HIPCUB_304000_NS21ConstantInputIteratorIllEEPllNSB_3SumENSB_8EqualityElEE10hipError_tPvRmT2_T3_T4_T5_mT6_T7_P12ihipStream_tbENKUlT_T0_E_clISt17integral_constantIbLb0EESX_EEDaSS_ST_EUlSS_E_NS1_11comp_targetILNS1_3genE2ELNS1_11target_archE906ELNS1_3gpuE6ELNS1_3repE0EEENS1_30default_config_static_selectorELNS0_4arch9wavefront6targetE0EEEvT1_,comdat
.Lfunc_end99:
	.size	_ZN7rocprim17ROCPRIM_400000_NS6detail17trampoline_kernelINS0_14default_configENS1_27scan_by_key_config_selectorIllEEZZNS1_16scan_by_key_implILNS1_25lookback_scan_determinismE0ELb0ES3_PKlN6hipcub16HIPCUB_304000_NS21ConstantInputIteratorIllEEPllNSB_3SumENSB_8EqualityElEE10hipError_tPvRmT2_T3_T4_T5_mT6_T7_P12ihipStream_tbENKUlT_T0_E_clISt17integral_constantIbLb0EESX_EEDaSS_ST_EUlSS_E_NS1_11comp_targetILNS1_3genE2ELNS1_11target_archE906ELNS1_3gpuE6ELNS1_3repE0EEENS1_30default_config_static_selectorELNS0_4arch9wavefront6targetE0EEEvT1_, .Lfunc_end99-_ZN7rocprim17ROCPRIM_400000_NS6detail17trampoline_kernelINS0_14default_configENS1_27scan_by_key_config_selectorIllEEZZNS1_16scan_by_key_implILNS1_25lookback_scan_determinismE0ELb0ES3_PKlN6hipcub16HIPCUB_304000_NS21ConstantInputIteratorIllEEPllNSB_3SumENSB_8EqualityElEE10hipError_tPvRmT2_T3_T4_T5_mT6_T7_P12ihipStream_tbENKUlT_T0_E_clISt17integral_constantIbLb0EESX_EEDaSS_ST_EUlSS_E_NS1_11comp_targetILNS1_3genE2ELNS1_11target_archE906ELNS1_3gpuE6ELNS1_3repE0EEENS1_30default_config_static_selectorELNS0_4arch9wavefront6targetE0EEEvT1_
                                        ; -- End function
	.set _ZN7rocprim17ROCPRIM_400000_NS6detail17trampoline_kernelINS0_14default_configENS1_27scan_by_key_config_selectorIllEEZZNS1_16scan_by_key_implILNS1_25lookback_scan_determinismE0ELb0ES3_PKlN6hipcub16HIPCUB_304000_NS21ConstantInputIteratorIllEEPllNSB_3SumENSB_8EqualityElEE10hipError_tPvRmT2_T3_T4_T5_mT6_T7_P12ihipStream_tbENKUlT_T0_E_clISt17integral_constantIbLb0EESX_EEDaSS_ST_EUlSS_E_NS1_11comp_targetILNS1_3genE2ELNS1_11target_archE906ELNS1_3gpuE6ELNS1_3repE0EEENS1_30default_config_static_selectorELNS0_4arch9wavefront6targetE0EEEvT1_.num_vgpr, 0
	.set _ZN7rocprim17ROCPRIM_400000_NS6detail17trampoline_kernelINS0_14default_configENS1_27scan_by_key_config_selectorIllEEZZNS1_16scan_by_key_implILNS1_25lookback_scan_determinismE0ELb0ES3_PKlN6hipcub16HIPCUB_304000_NS21ConstantInputIteratorIllEEPllNSB_3SumENSB_8EqualityElEE10hipError_tPvRmT2_T3_T4_T5_mT6_T7_P12ihipStream_tbENKUlT_T0_E_clISt17integral_constantIbLb0EESX_EEDaSS_ST_EUlSS_E_NS1_11comp_targetILNS1_3genE2ELNS1_11target_archE906ELNS1_3gpuE6ELNS1_3repE0EEENS1_30default_config_static_selectorELNS0_4arch9wavefront6targetE0EEEvT1_.num_agpr, 0
	.set _ZN7rocprim17ROCPRIM_400000_NS6detail17trampoline_kernelINS0_14default_configENS1_27scan_by_key_config_selectorIllEEZZNS1_16scan_by_key_implILNS1_25lookback_scan_determinismE0ELb0ES3_PKlN6hipcub16HIPCUB_304000_NS21ConstantInputIteratorIllEEPllNSB_3SumENSB_8EqualityElEE10hipError_tPvRmT2_T3_T4_T5_mT6_T7_P12ihipStream_tbENKUlT_T0_E_clISt17integral_constantIbLb0EESX_EEDaSS_ST_EUlSS_E_NS1_11comp_targetILNS1_3genE2ELNS1_11target_archE906ELNS1_3gpuE6ELNS1_3repE0EEENS1_30default_config_static_selectorELNS0_4arch9wavefront6targetE0EEEvT1_.numbered_sgpr, 0
	.set _ZN7rocprim17ROCPRIM_400000_NS6detail17trampoline_kernelINS0_14default_configENS1_27scan_by_key_config_selectorIllEEZZNS1_16scan_by_key_implILNS1_25lookback_scan_determinismE0ELb0ES3_PKlN6hipcub16HIPCUB_304000_NS21ConstantInputIteratorIllEEPllNSB_3SumENSB_8EqualityElEE10hipError_tPvRmT2_T3_T4_T5_mT6_T7_P12ihipStream_tbENKUlT_T0_E_clISt17integral_constantIbLb0EESX_EEDaSS_ST_EUlSS_E_NS1_11comp_targetILNS1_3genE2ELNS1_11target_archE906ELNS1_3gpuE6ELNS1_3repE0EEENS1_30default_config_static_selectorELNS0_4arch9wavefront6targetE0EEEvT1_.num_named_barrier, 0
	.set _ZN7rocprim17ROCPRIM_400000_NS6detail17trampoline_kernelINS0_14default_configENS1_27scan_by_key_config_selectorIllEEZZNS1_16scan_by_key_implILNS1_25lookback_scan_determinismE0ELb0ES3_PKlN6hipcub16HIPCUB_304000_NS21ConstantInputIteratorIllEEPllNSB_3SumENSB_8EqualityElEE10hipError_tPvRmT2_T3_T4_T5_mT6_T7_P12ihipStream_tbENKUlT_T0_E_clISt17integral_constantIbLb0EESX_EEDaSS_ST_EUlSS_E_NS1_11comp_targetILNS1_3genE2ELNS1_11target_archE906ELNS1_3gpuE6ELNS1_3repE0EEENS1_30default_config_static_selectorELNS0_4arch9wavefront6targetE0EEEvT1_.private_seg_size, 0
	.set _ZN7rocprim17ROCPRIM_400000_NS6detail17trampoline_kernelINS0_14default_configENS1_27scan_by_key_config_selectorIllEEZZNS1_16scan_by_key_implILNS1_25lookback_scan_determinismE0ELb0ES3_PKlN6hipcub16HIPCUB_304000_NS21ConstantInputIteratorIllEEPllNSB_3SumENSB_8EqualityElEE10hipError_tPvRmT2_T3_T4_T5_mT6_T7_P12ihipStream_tbENKUlT_T0_E_clISt17integral_constantIbLb0EESX_EEDaSS_ST_EUlSS_E_NS1_11comp_targetILNS1_3genE2ELNS1_11target_archE906ELNS1_3gpuE6ELNS1_3repE0EEENS1_30default_config_static_selectorELNS0_4arch9wavefront6targetE0EEEvT1_.uses_vcc, 0
	.set _ZN7rocprim17ROCPRIM_400000_NS6detail17trampoline_kernelINS0_14default_configENS1_27scan_by_key_config_selectorIllEEZZNS1_16scan_by_key_implILNS1_25lookback_scan_determinismE0ELb0ES3_PKlN6hipcub16HIPCUB_304000_NS21ConstantInputIteratorIllEEPllNSB_3SumENSB_8EqualityElEE10hipError_tPvRmT2_T3_T4_T5_mT6_T7_P12ihipStream_tbENKUlT_T0_E_clISt17integral_constantIbLb0EESX_EEDaSS_ST_EUlSS_E_NS1_11comp_targetILNS1_3genE2ELNS1_11target_archE906ELNS1_3gpuE6ELNS1_3repE0EEENS1_30default_config_static_selectorELNS0_4arch9wavefront6targetE0EEEvT1_.uses_flat_scratch, 0
	.set _ZN7rocprim17ROCPRIM_400000_NS6detail17trampoline_kernelINS0_14default_configENS1_27scan_by_key_config_selectorIllEEZZNS1_16scan_by_key_implILNS1_25lookback_scan_determinismE0ELb0ES3_PKlN6hipcub16HIPCUB_304000_NS21ConstantInputIteratorIllEEPllNSB_3SumENSB_8EqualityElEE10hipError_tPvRmT2_T3_T4_T5_mT6_T7_P12ihipStream_tbENKUlT_T0_E_clISt17integral_constantIbLb0EESX_EEDaSS_ST_EUlSS_E_NS1_11comp_targetILNS1_3genE2ELNS1_11target_archE906ELNS1_3gpuE6ELNS1_3repE0EEENS1_30default_config_static_selectorELNS0_4arch9wavefront6targetE0EEEvT1_.has_dyn_sized_stack, 0
	.set _ZN7rocprim17ROCPRIM_400000_NS6detail17trampoline_kernelINS0_14default_configENS1_27scan_by_key_config_selectorIllEEZZNS1_16scan_by_key_implILNS1_25lookback_scan_determinismE0ELb0ES3_PKlN6hipcub16HIPCUB_304000_NS21ConstantInputIteratorIllEEPllNSB_3SumENSB_8EqualityElEE10hipError_tPvRmT2_T3_T4_T5_mT6_T7_P12ihipStream_tbENKUlT_T0_E_clISt17integral_constantIbLb0EESX_EEDaSS_ST_EUlSS_E_NS1_11comp_targetILNS1_3genE2ELNS1_11target_archE906ELNS1_3gpuE6ELNS1_3repE0EEENS1_30default_config_static_selectorELNS0_4arch9wavefront6targetE0EEEvT1_.has_recursion, 0
	.set _ZN7rocprim17ROCPRIM_400000_NS6detail17trampoline_kernelINS0_14default_configENS1_27scan_by_key_config_selectorIllEEZZNS1_16scan_by_key_implILNS1_25lookback_scan_determinismE0ELb0ES3_PKlN6hipcub16HIPCUB_304000_NS21ConstantInputIteratorIllEEPllNSB_3SumENSB_8EqualityElEE10hipError_tPvRmT2_T3_T4_T5_mT6_T7_P12ihipStream_tbENKUlT_T0_E_clISt17integral_constantIbLb0EESX_EEDaSS_ST_EUlSS_E_NS1_11comp_targetILNS1_3genE2ELNS1_11target_archE906ELNS1_3gpuE6ELNS1_3repE0EEENS1_30default_config_static_selectorELNS0_4arch9wavefront6targetE0EEEvT1_.has_indirect_call, 0
	.section	.AMDGPU.csdata,"",@progbits
; Kernel info:
; codeLenInByte = 0
; TotalNumSgprs: 0
; NumVgprs: 0
; ScratchSize: 0
; MemoryBound: 0
; FloatMode: 240
; IeeeMode: 1
; LDSByteSize: 0 bytes/workgroup (compile time only)
; SGPRBlocks: 0
; VGPRBlocks: 0
; NumSGPRsForWavesPerEU: 1
; NumVGPRsForWavesPerEU: 1
; Occupancy: 16
; WaveLimiterHint : 0
; COMPUTE_PGM_RSRC2:SCRATCH_EN: 0
; COMPUTE_PGM_RSRC2:USER_SGPR: 6
; COMPUTE_PGM_RSRC2:TRAP_HANDLER: 0
; COMPUTE_PGM_RSRC2:TGID_X_EN: 1
; COMPUTE_PGM_RSRC2:TGID_Y_EN: 0
; COMPUTE_PGM_RSRC2:TGID_Z_EN: 0
; COMPUTE_PGM_RSRC2:TIDIG_COMP_CNT: 0
	.section	.text._ZN7rocprim17ROCPRIM_400000_NS6detail17trampoline_kernelINS0_14default_configENS1_27scan_by_key_config_selectorIllEEZZNS1_16scan_by_key_implILNS1_25lookback_scan_determinismE0ELb0ES3_PKlN6hipcub16HIPCUB_304000_NS21ConstantInputIteratorIllEEPllNSB_3SumENSB_8EqualityElEE10hipError_tPvRmT2_T3_T4_T5_mT6_T7_P12ihipStream_tbENKUlT_T0_E_clISt17integral_constantIbLb0EESX_EEDaSS_ST_EUlSS_E_NS1_11comp_targetILNS1_3genE10ELNS1_11target_archE1200ELNS1_3gpuE4ELNS1_3repE0EEENS1_30default_config_static_selectorELNS0_4arch9wavefront6targetE0EEEvT1_,"axG",@progbits,_ZN7rocprim17ROCPRIM_400000_NS6detail17trampoline_kernelINS0_14default_configENS1_27scan_by_key_config_selectorIllEEZZNS1_16scan_by_key_implILNS1_25lookback_scan_determinismE0ELb0ES3_PKlN6hipcub16HIPCUB_304000_NS21ConstantInputIteratorIllEEPllNSB_3SumENSB_8EqualityElEE10hipError_tPvRmT2_T3_T4_T5_mT6_T7_P12ihipStream_tbENKUlT_T0_E_clISt17integral_constantIbLb0EESX_EEDaSS_ST_EUlSS_E_NS1_11comp_targetILNS1_3genE10ELNS1_11target_archE1200ELNS1_3gpuE4ELNS1_3repE0EEENS1_30default_config_static_selectorELNS0_4arch9wavefront6targetE0EEEvT1_,comdat
	.protected	_ZN7rocprim17ROCPRIM_400000_NS6detail17trampoline_kernelINS0_14default_configENS1_27scan_by_key_config_selectorIllEEZZNS1_16scan_by_key_implILNS1_25lookback_scan_determinismE0ELb0ES3_PKlN6hipcub16HIPCUB_304000_NS21ConstantInputIteratorIllEEPllNSB_3SumENSB_8EqualityElEE10hipError_tPvRmT2_T3_T4_T5_mT6_T7_P12ihipStream_tbENKUlT_T0_E_clISt17integral_constantIbLb0EESX_EEDaSS_ST_EUlSS_E_NS1_11comp_targetILNS1_3genE10ELNS1_11target_archE1200ELNS1_3gpuE4ELNS1_3repE0EEENS1_30default_config_static_selectorELNS0_4arch9wavefront6targetE0EEEvT1_ ; -- Begin function _ZN7rocprim17ROCPRIM_400000_NS6detail17trampoline_kernelINS0_14default_configENS1_27scan_by_key_config_selectorIllEEZZNS1_16scan_by_key_implILNS1_25lookback_scan_determinismE0ELb0ES3_PKlN6hipcub16HIPCUB_304000_NS21ConstantInputIteratorIllEEPllNSB_3SumENSB_8EqualityElEE10hipError_tPvRmT2_T3_T4_T5_mT6_T7_P12ihipStream_tbENKUlT_T0_E_clISt17integral_constantIbLb0EESX_EEDaSS_ST_EUlSS_E_NS1_11comp_targetILNS1_3genE10ELNS1_11target_archE1200ELNS1_3gpuE4ELNS1_3repE0EEENS1_30default_config_static_selectorELNS0_4arch9wavefront6targetE0EEEvT1_
	.globl	_ZN7rocprim17ROCPRIM_400000_NS6detail17trampoline_kernelINS0_14default_configENS1_27scan_by_key_config_selectorIllEEZZNS1_16scan_by_key_implILNS1_25lookback_scan_determinismE0ELb0ES3_PKlN6hipcub16HIPCUB_304000_NS21ConstantInputIteratorIllEEPllNSB_3SumENSB_8EqualityElEE10hipError_tPvRmT2_T3_T4_T5_mT6_T7_P12ihipStream_tbENKUlT_T0_E_clISt17integral_constantIbLb0EESX_EEDaSS_ST_EUlSS_E_NS1_11comp_targetILNS1_3genE10ELNS1_11target_archE1200ELNS1_3gpuE4ELNS1_3repE0EEENS1_30default_config_static_selectorELNS0_4arch9wavefront6targetE0EEEvT1_
	.p2align	8
	.type	_ZN7rocprim17ROCPRIM_400000_NS6detail17trampoline_kernelINS0_14default_configENS1_27scan_by_key_config_selectorIllEEZZNS1_16scan_by_key_implILNS1_25lookback_scan_determinismE0ELb0ES3_PKlN6hipcub16HIPCUB_304000_NS21ConstantInputIteratorIllEEPllNSB_3SumENSB_8EqualityElEE10hipError_tPvRmT2_T3_T4_T5_mT6_T7_P12ihipStream_tbENKUlT_T0_E_clISt17integral_constantIbLb0EESX_EEDaSS_ST_EUlSS_E_NS1_11comp_targetILNS1_3genE10ELNS1_11target_archE1200ELNS1_3gpuE4ELNS1_3repE0EEENS1_30default_config_static_selectorELNS0_4arch9wavefront6targetE0EEEvT1_,@function
_ZN7rocprim17ROCPRIM_400000_NS6detail17trampoline_kernelINS0_14default_configENS1_27scan_by_key_config_selectorIllEEZZNS1_16scan_by_key_implILNS1_25lookback_scan_determinismE0ELb0ES3_PKlN6hipcub16HIPCUB_304000_NS21ConstantInputIteratorIllEEPllNSB_3SumENSB_8EqualityElEE10hipError_tPvRmT2_T3_T4_T5_mT6_T7_P12ihipStream_tbENKUlT_T0_E_clISt17integral_constantIbLb0EESX_EEDaSS_ST_EUlSS_E_NS1_11comp_targetILNS1_3genE10ELNS1_11target_archE1200ELNS1_3gpuE4ELNS1_3repE0EEENS1_30default_config_static_selectorELNS0_4arch9wavefront6targetE0EEEvT1_: ; @_ZN7rocprim17ROCPRIM_400000_NS6detail17trampoline_kernelINS0_14default_configENS1_27scan_by_key_config_selectorIllEEZZNS1_16scan_by_key_implILNS1_25lookback_scan_determinismE0ELb0ES3_PKlN6hipcub16HIPCUB_304000_NS21ConstantInputIteratorIllEEPllNSB_3SumENSB_8EqualityElEE10hipError_tPvRmT2_T3_T4_T5_mT6_T7_P12ihipStream_tbENKUlT_T0_E_clISt17integral_constantIbLb0EESX_EEDaSS_ST_EUlSS_E_NS1_11comp_targetILNS1_3genE10ELNS1_11target_archE1200ELNS1_3gpuE4ELNS1_3repE0EEENS1_30default_config_static_selectorELNS0_4arch9wavefront6targetE0EEEvT1_
; %bb.0:
	.section	.rodata,"a",@progbits
	.p2align	6, 0x0
	.amdhsa_kernel _ZN7rocprim17ROCPRIM_400000_NS6detail17trampoline_kernelINS0_14default_configENS1_27scan_by_key_config_selectorIllEEZZNS1_16scan_by_key_implILNS1_25lookback_scan_determinismE0ELb0ES3_PKlN6hipcub16HIPCUB_304000_NS21ConstantInputIteratorIllEEPllNSB_3SumENSB_8EqualityElEE10hipError_tPvRmT2_T3_T4_T5_mT6_T7_P12ihipStream_tbENKUlT_T0_E_clISt17integral_constantIbLb0EESX_EEDaSS_ST_EUlSS_E_NS1_11comp_targetILNS1_3genE10ELNS1_11target_archE1200ELNS1_3gpuE4ELNS1_3repE0EEENS1_30default_config_static_selectorELNS0_4arch9wavefront6targetE0EEEvT1_
		.amdhsa_group_segment_fixed_size 0
		.amdhsa_private_segment_fixed_size 0
		.amdhsa_kernarg_size 144
		.amdhsa_user_sgpr_count 6
		.amdhsa_user_sgpr_private_segment_buffer 1
		.amdhsa_user_sgpr_dispatch_ptr 0
		.amdhsa_user_sgpr_queue_ptr 0
		.amdhsa_user_sgpr_kernarg_segment_ptr 1
		.amdhsa_user_sgpr_dispatch_id 0
		.amdhsa_user_sgpr_flat_scratch_init 0
		.amdhsa_user_sgpr_private_segment_size 0
		.amdhsa_wavefront_size32 1
		.amdhsa_uses_dynamic_stack 0
		.amdhsa_system_sgpr_private_segment_wavefront_offset 0
		.amdhsa_system_sgpr_workgroup_id_x 1
		.amdhsa_system_sgpr_workgroup_id_y 0
		.amdhsa_system_sgpr_workgroup_id_z 0
		.amdhsa_system_sgpr_workgroup_info 0
		.amdhsa_system_vgpr_workitem_id 0
		.amdhsa_next_free_vgpr 1
		.amdhsa_next_free_sgpr 1
		.amdhsa_reserve_vcc 0
		.amdhsa_reserve_flat_scratch 0
		.amdhsa_float_round_mode_32 0
		.amdhsa_float_round_mode_16_64 0
		.amdhsa_float_denorm_mode_32 3
		.amdhsa_float_denorm_mode_16_64 3
		.amdhsa_dx10_clamp 1
		.amdhsa_ieee_mode 1
		.amdhsa_fp16_overflow 0
		.amdhsa_workgroup_processor_mode 1
		.amdhsa_memory_ordered 1
		.amdhsa_forward_progress 1
		.amdhsa_shared_vgpr_count 0
		.amdhsa_exception_fp_ieee_invalid_op 0
		.amdhsa_exception_fp_denorm_src 0
		.amdhsa_exception_fp_ieee_div_zero 0
		.amdhsa_exception_fp_ieee_overflow 0
		.amdhsa_exception_fp_ieee_underflow 0
		.amdhsa_exception_fp_ieee_inexact 0
		.amdhsa_exception_int_div_zero 0
	.end_amdhsa_kernel
	.section	.text._ZN7rocprim17ROCPRIM_400000_NS6detail17trampoline_kernelINS0_14default_configENS1_27scan_by_key_config_selectorIllEEZZNS1_16scan_by_key_implILNS1_25lookback_scan_determinismE0ELb0ES3_PKlN6hipcub16HIPCUB_304000_NS21ConstantInputIteratorIllEEPllNSB_3SumENSB_8EqualityElEE10hipError_tPvRmT2_T3_T4_T5_mT6_T7_P12ihipStream_tbENKUlT_T0_E_clISt17integral_constantIbLb0EESX_EEDaSS_ST_EUlSS_E_NS1_11comp_targetILNS1_3genE10ELNS1_11target_archE1200ELNS1_3gpuE4ELNS1_3repE0EEENS1_30default_config_static_selectorELNS0_4arch9wavefront6targetE0EEEvT1_,"axG",@progbits,_ZN7rocprim17ROCPRIM_400000_NS6detail17trampoline_kernelINS0_14default_configENS1_27scan_by_key_config_selectorIllEEZZNS1_16scan_by_key_implILNS1_25lookback_scan_determinismE0ELb0ES3_PKlN6hipcub16HIPCUB_304000_NS21ConstantInputIteratorIllEEPllNSB_3SumENSB_8EqualityElEE10hipError_tPvRmT2_T3_T4_T5_mT6_T7_P12ihipStream_tbENKUlT_T0_E_clISt17integral_constantIbLb0EESX_EEDaSS_ST_EUlSS_E_NS1_11comp_targetILNS1_3genE10ELNS1_11target_archE1200ELNS1_3gpuE4ELNS1_3repE0EEENS1_30default_config_static_selectorELNS0_4arch9wavefront6targetE0EEEvT1_,comdat
.Lfunc_end100:
	.size	_ZN7rocprim17ROCPRIM_400000_NS6detail17trampoline_kernelINS0_14default_configENS1_27scan_by_key_config_selectorIllEEZZNS1_16scan_by_key_implILNS1_25lookback_scan_determinismE0ELb0ES3_PKlN6hipcub16HIPCUB_304000_NS21ConstantInputIteratorIllEEPllNSB_3SumENSB_8EqualityElEE10hipError_tPvRmT2_T3_T4_T5_mT6_T7_P12ihipStream_tbENKUlT_T0_E_clISt17integral_constantIbLb0EESX_EEDaSS_ST_EUlSS_E_NS1_11comp_targetILNS1_3genE10ELNS1_11target_archE1200ELNS1_3gpuE4ELNS1_3repE0EEENS1_30default_config_static_selectorELNS0_4arch9wavefront6targetE0EEEvT1_, .Lfunc_end100-_ZN7rocprim17ROCPRIM_400000_NS6detail17trampoline_kernelINS0_14default_configENS1_27scan_by_key_config_selectorIllEEZZNS1_16scan_by_key_implILNS1_25lookback_scan_determinismE0ELb0ES3_PKlN6hipcub16HIPCUB_304000_NS21ConstantInputIteratorIllEEPllNSB_3SumENSB_8EqualityElEE10hipError_tPvRmT2_T3_T4_T5_mT6_T7_P12ihipStream_tbENKUlT_T0_E_clISt17integral_constantIbLb0EESX_EEDaSS_ST_EUlSS_E_NS1_11comp_targetILNS1_3genE10ELNS1_11target_archE1200ELNS1_3gpuE4ELNS1_3repE0EEENS1_30default_config_static_selectorELNS0_4arch9wavefront6targetE0EEEvT1_
                                        ; -- End function
	.set _ZN7rocprim17ROCPRIM_400000_NS6detail17trampoline_kernelINS0_14default_configENS1_27scan_by_key_config_selectorIllEEZZNS1_16scan_by_key_implILNS1_25lookback_scan_determinismE0ELb0ES3_PKlN6hipcub16HIPCUB_304000_NS21ConstantInputIteratorIllEEPllNSB_3SumENSB_8EqualityElEE10hipError_tPvRmT2_T3_T4_T5_mT6_T7_P12ihipStream_tbENKUlT_T0_E_clISt17integral_constantIbLb0EESX_EEDaSS_ST_EUlSS_E_NS1_11comp_targetILNS1_3genE10ELNS1_11target_archE1200ELNS1_3gpuE4ELNS1_3repE0EEENS1_30default_config_static_selectorELNS0_4arch9wavefront6targetE0EEEvT1_.num_vgpr, 0
	.set _ZN7rocprim17ROCPRIM_400000_NS6detail17trampoline_kernelINS0_14default_configENS1_27scan_by_key_config_selectorIllEEZZNS1_16scan_by_key_implILNS1_25lookback_scan_determinismE0ELb0ES3_PKlN6hipcub16HIPCUB_304000_NS21ConstantInputIteratorIllEEPllNSB_3SumENSB_8EqualityElEE10hipError_tPvRmT2_T3_T4_T5_mT6_T7_P12ihipStream_tbENKUlT_T0_E_clISt17integral_constantIbLb0EESX_EEDaSS_ST_EUlSS_E_NS1_11comp_targetILNS1_3genE10ELNS1_11target_archE1200ELNS1_3gpuE4ELNS1_3repE0EEENS1_30default_config_static_selectorELNS0_4arch9wavefront6targetE0EEEvT1_.num_agpr, 0
	.set _ZN7rocprim17ROCPRIM_400000_NS6detail17trampoline_kernelINS0_14default_configENS1_27scan_by_key_config_selectorIllEEZZNS1_16scan_by_key_implILNS1_25lookback_scan_determinismE0ELb0ES3_PKlN6hipcub16HIPCUB_304000_NS21ConstantInputIteratorIllEEPllNSB_3SumENSB_8EqualityElEE10hipError_tPvRmT2_T3_T4_T5_mT6_T7_P12ihipStream_tbENKUlT_T0_E_clISt17integral_constantIbLb0EESX_EEDaSS_ST_EUlSS_E_NS1_11comp_targetILNS1_3genE10ELNS1_11target_archE1200ELNS1_3gpuE4ELNS1_3repE0EEENS1_30default_config_static_selectorELNS0_4arch9wavefront6targetE0EEEvT1_.numbered_sgpr, 0
	.set _ZN7rocprim17ROCPRIM_400000_NS6detail17trampoline_kernelINS0_14default_configENS1_27scan_by_key_config_selectorIllEEZZNS1_16scan_by_key_implILNS1_25lookback_scan_determinismE0ELb0ES3_PKlN6hipcub16HIPCUB_304000_NS21ConstantInputIteratorIllEEPllNSB_3SumENSB_8EqualityElEE10hipError_tPvRmT2_T3_T4_T5_mT6_T7_P12ihipStream_tbENKUlT_T0_E_clISt17integral_constantIbLb0EESX_EEDaSS_ST_EUlSS_E_NS1_11comp_targetILNS1_3genE10ELNS1_11target_archE1200ELNS1_3gpuE4ELNS1_3repE0EEENS1_30default_config_static_selectorELNS0_4arch9wavefront6targetE0EEEvT1_.num_named_barrier, 0
	.set _ZN7rocprim17ROCPRIM_400000_NS6detail17trampoline_kernelINS0_14default_configENS1_27scan_by_key_config_selectorIllEEZZNS1_16scan_by_key_implILNS1_25lookback_scan_determinismE0ELb0ES3_PKlN6hipcub16HIPCUB_304000_NS21ConstantInputIteratorIllEEPllNSB_3SumENSB_8EqualityElEE10hipError_tPvRmT2_T3_T4_T5_mT6_T7_P12ihipStream_tbENKUlT_T0_E_clISt17integral_constantIbLb0EESX_EEDaSS_ST_EUlSS_E_NS1_11comp_targetILNS1_3genE10ELNS1_11target_archE1200ELNS1_3gpuE4ELNS1_3repE0EEENS1_30default_config_static_selectorELNS0_4arch9wavefront6targetE0EEEvT1_.private_seg_size, 0
	.set _ZN7rocprim17ROCPRIM_400000_NS6detail17trampoline_kernelINS0_14default_configENS1_27scan_by_key_config_selectorIllEEZZNS1_16scan_by_key_implILNS1_25lookback_scan_determinismE0ELb0ES3_PKlN6hipcub16HIPCUB_304000_NS21ConstantInputIteratorIllEEPllNSB_3SumENSB_8EqualityElEE10hipError_tPvRmT2_T3_T4_T5_mT6_T7_P12ihipStream_tbENKUlT_T0_E_clISt17integral_constantIbLb0EESX_EEDaSS_ST_EUlSS_E_NS1_11comp_targetILNS1_3genE10ELNS1_11target_archE1200ELNS1_3gpuE4ELNS1_3repE0EEENS1_30default_config_static_selectorELNS0_4arch9wavefront6targetE0EEEvT1_.uses_vcc, 0
	.set _ZN7rocprim17ROCPRIM_400000_NS6detail17trampoline_kernelINS0_14default_configENS1_27scan_by_key_config_selectorIllEEZZNS1_16scan_by_key_implILNS1_25lookback_scan_determinismE0ELb0ES3_PKlN6hipcub16HIPCUB_304000_NS21ConstantInputIteratorIllEEPllNSB_3SumENSB_8EqualityElEE10hipError_tPvRmT2_T3_T4_T5_mT6_T7_P12ihipStream_tbENKUlT_T0_E_clISt17integral_constantIbLb0EESX_EEDaSS_ST_EUlSS_E_NS1_11comp_targetILNS1_3genE10ELNS1_11target_archE1200ELNS1_3gpuE4ELNS1_3repE0EEENS1_30default_config_static_selectorELNS0_4arch9wavefront6targetE0EEEvT1_.uses_flat_scratch, 0
	.set _ZN7rocprim17ROCPRIM_400000_NS6detail17trampoline_kernelINS0_14default_configENS1_27scan_by_key_config_selectorIllEEZZNS1_16scan_by_key_implILNS1_25lookback_scan_determinismE0ELb0ES3_PKlN6hipcub16HIPCUB_304000_NS21ConstantInputIteratorIllEEPllNSB_3SumENSB_8EqualityElEE10hipError_tPvRmT2_T3_T4_T5_mT6_T7_P12ihipStream_tbENKUlT_T0_E_clISt17integral_constantIbLb0EESX_EEDaSS_ST_EUlSS_E_NS1_11comp_targetILNS1_3genE10ELNS1_11target_archE1200ELNS1_3gpuE4ELNS1_3repE0EEENS1_30default_config_static_selectorELNS0_4arch9wavefront6targetE0EEEvT1_.has_dyn_sized_stack, 0
	.set _ZN7rocprim17ROCPRIM_400000_NS6detail17trampoline_kernelINS0_14default_configENS1_27scan_by_key_config_selectorIllEEZZNS1_16scan_by_key_implILNS1_25lookback_scan_determinismE0ELb0ES3_PKlN6hipcub16HIPCUB_304000_NS21ConstantInputIteratorIllEEPllNSB_3SumENSB_8EqualityElEE10hipError_tPvRmT2_T3_T4_T5_mT6_T7_P12ihipStream_tbENKUlT_T0_E_clISt17integral_constantIbLb0EESX_EEDaSS_ST_EUlSS_E_NS1_11comp_targetILNS1_3genE10ELNS1_11target_archE1200ELNS1_3gpuE4ELNS1_3repE0EEENS1_30default_config_static_selectorELNS0_4arch9wavefront6targetE0EEEvT1_.has_recursion, 0
	.set _ZN7rocprim17ROCPRIM_400000_NS6detail17trampoline_kernelINS0_14default_configENS1_27scan_by_key_config_selectorIllEEZZNS1_16scan_by_key_implILNS1_25lookback_scan_determinismE0ELb0ES3_PKlN6hipcub16HIPCUB_304000_NS21ConstantInputIteratorIllEEPllNSB_3SumENSB_8EqualityElEE10hipError_tPvRmT2_T3_T4_T5_mT6_T7_P12ihipStream_tbENKUlT_T0_E_clISt17integral_constantIbLb0EESX_EEDaSS_ST_EUlSS_E_NS1_11comp_targetILNS1_3genE10ELNS1_11target_archE1200ELNS1_3gpuE4ELNS1_3repE0EEENS1_30default_config_static_selectorELNS0_4arch9wavefront6targetE0EEEvT1_.has_indirect_call, 0
	.section	.AMDGPU.csdata,"",@progbits
; Kernel info:
; codeLenInByte = 0
; TotalNumSgprs: 0
; NumVgprs: 0
; ScratchSize: 0
; MemoryBound: 0
; FloatMode: 240
; IeeeMode: 1
; LDSByteSize: 0 bytes/workgroup (compile time only)
; SGPRBlocks: 0
; VGPRBlocks: 0
; NumSGPRsForWavesPerEU: 1
; NumVGPRsForWavesPerEU: 1
; Occupancy: 16
; WaveLimiterHint : 0
; COMPUTE_PGM_RSRC2:SCRATCH_EN: 0
; COMPUTE_PGM_RSRC2:USER_SGPR: 6
; COMPUTE_PGM_RSRC2:TRAP_HANDLER: 0
; COMPUTE_PGM_RSRC2:TGID_X_EN: 1
; COMPUTE_PGM_RSRC2:TGID_Y_EN: 0
; COMPUTE_PGM_RSRC2:TGID_Z_EN: 0
; COMPUTE_PGM_RSRC2:TIDIG_COMP_CNT: 0
	.section	.text._ZN7rocprim17ROCPRIM_400000_NS6detail17trampoline_kernelINS0_14default_configENS1_27scan_by_key_config_selectorIllEEZZNS1_16scan_by_key_implILNS1_25lookback_scan_determinismE0ELb0ES3_PKlN6hipcub16HIPCUB_304000_NS21ConstantInputIteratorIllEEPllNSB_3SumENSB_8EqualityElEE10hipError_tPvRmT2_T3_T4_T5_mT6_T7_P12ihipStream_tbENKUlT_T0_E_clISt17integral_constantIbLb0EESX_EEDaSS_ST_EUlSS_E_NS1_11comp_targetILNS1_3genE9ELNS1_11target_archE1100ELNS1_3gpuE3ELNS1_3repE0EEENS1_30default_config_static_selectorELNS0_4arch9wavefront6targetE0EEEvT1_,"axG",@progbits,_ZN7rocprim17ROCPRIM_400000_NS6detail17trampoline_kernelINS0_14default_configENS1_27scan_by_key_config_selectorIllEEZZNS1_16scan_by_key_implILNS1_25lookback_scan_determinismE0ELb0ES3_PKlN6hipcub16HIPCUB_304000_NS21ConstantInputIteratorIllEEPllNSB_3SumENSB_8EqualityElEE10hipError_tPvRmT2_T3_T4_T5_mT6_T7_P12ihipStream_tbENKUlT_T0_E_clISt17integral_constantIbLb0EESX_EEDaSS_ST_EUlSS_E_NS1_11comp_targetILNS1_3genE9ELNS1_11target_archE1100ELNS1_3gpuE3ELNS1_3repE0EEENS1_30default_config_static_selectorELNS0_4arch9wavefront6targetE0EEEvT1_,comdat
	.protected	_ZN7rocprim17ROCPRIM_400000_NS6detail17trampoline_kernelINS0_14default_configENS1_27scan_by_key_config_selectorIllEEZZNS1_16scan_by_key_implILNS1_25lookback_scan_determinismE0ELb0ES3_PKlN6hipcub16HIPCUB_304000_NS21ConstantInputIteratorIllEEPllNSB_3SumENSB_8EqualityElEE10hipError_tPvRmT2_T3_T4_T5_mT6_T7_P12ihipStream_tbENKUlT_T0_E_clISt17integral_constantIbLb0EESX_EEDaSS_ST_EUlSS_E_NS1_11comp_targetILNS1_3genE9ELNS1_11target_archE1100ELNS1_3gpuE3ELNS1_3repE0EEENS1_30default_config_static_selectorELNS0_4arch9wavefront6targetE0EEEvT1_ ; -- Begin function _ZN7rocprim17ROCPRIM_400000_NS6detail17trampoline_kernelINS0_14default_configENS1_27scan_by_key_config_selectorIllEEZZNS1_16scan_by_key_implILNS1_25lookback_scan_determinismE0ELb0ES3_PKlN6hipcub16HIPCUB_304000_NS21ConstantInputIteratorIllEEPllNSB_3SumENSB_8EqualityElEE10hipError_tPvRmT2_T3_T4_T5_mT6_T7_P12ihipStream_tbENKUlT_T0_E_clISt17integral_constantIbLb0EESX_EEDaSS_ST_EUlSS_E_NS1_11comp_targetILNS1_3genE9ELNS1_11target_archE1100ELNS1_3gpuE3ELNS1_3repE0EEENS1_30default_config_static_selectorELNS0_4arch9wavefront6targetE0EEEvT1_
	.globl	_ZN7rocprim17ROCPRIM_400000_NS6detail17trampoline_kernelINS0_14default_configENS1_27scan_by_key_config_selectorIllEEZZNS1_16scan_by_key_implILNS1_25lookback_scan_determinismE0ELb0ES3_PKlN6hipcub16HIPCUB_304000_NS21ConstantInputIteratorIllEEPllNSB_3SumENSB_8EqualityElEE10hipError_tPvRmT2_T3_T4_T5_mT6_T7_P12ihipStream_tbENKUlT_T0_E_clISt17integral_constantIbLb0EESX_EEDaSS_ST_EUlSS_E_NS1_11comp_targetILNS1_3genE9ELNS1_11target_archE1100ELNS1_3gpuE3ELNS1_3repE0EEENS1_30default_config_static_selectorELNS0_4arch9wavefront6targetE0EEEvT1_
	.p2align	8
	.type	_ZN7rocprim17ROCPRIM_400000_NS6detail17trampoline_kernelINS0_14default_configENS1_27scan_by_key_config_selectorIllEEZZNS1_16scan_by_key_implILNS1_25lookback_scan_determinismE0ELb0ES3_PKlN6hipcub16HIPCUB_304000_NS21ConstantInputIteratorIllEEPllNSB_3SumENSB_8EqualityElEE10hipError_tPvRmT2_T3_T4_T5_mT6_T7_P12ihipStream_tbENKUlT_T0_E_clISt17integral_constantIbLb0EESX_EEDaSS_ST_EUlSS_E_NS1_11comp_targetILNS1_3genE9ELNS1_11target_archE1100ELNS1_3gpuE3ELNS1_3repE0EEENS1_30default_config_static_selectorELNS0_4arch9wavefront6targetE0EEEvT1_,@function
_ZN7rocprim17ROCPRIM_400000_NS6detail17trampoline_kernelINS0_14default_configENS1_27scan_by_key_config_selectorIllEEZZNS1_16scan_by_key_implILNS1_25lookback_scan_determinismE0ELb0ES3_PKlN6hipcub16HIPCUB_304000_NS21ConstantInputIteratorIllEEPllNSB_3SumENSB_8EqualityElEE10hipError_tPvRmT2_T3_T4_T5_mT6_T7_P12ihipStream_tbENKUlT_T0_E_clISt17integral_constantIbLb0EESX_EEDaSS_ST_EUlSS_E_NS1_11comp_targetILNS1_3genE9ELNS1_11target_archE1100ELNS1_3gpuE3ELNS1_3repE0EEENS1_30default_config_static_selectorELNS0_4arch9wavefront6targetE0EEEvT1_: ; @_ZN7rocprim17ROCPRIM_400000_NS6detail17trampoline_kernelINS0_14default_configENS1_27scan_by_key_config_selectorIllEEZZNS1_16scan_by_key_implILNS1_25lookback_scan_determinismE0ELb0ES3_PKlN6hipcub16HIPCUB_304000_NS21ConstantInputIteratorIllEEPllNSB_3SumENSB_8EqualityElEE10hipError_tPvRmT2_T3_T4_T5_mT6_T7_P12ihipStream_tbENKUlT_T0_E_clISt17integral_constantIbLb0EESX_EEDaSS_ST_EUlSS_E_NS1_11comp_targetILNS1_3genE9ELNS1_11target_archE1100ELNS1_3gpuE3ELNS1_3repE0EEENS1_30default_config_static_selectorELNS0_4arch9wavefront6targetE0EEEvT1_
; %bb.0:
	.section	.rodata,"a",@progbits
	.p2align	6, 0x0
	.amdhsa_kernel _ZN7rocprim17ROCPRIM_400000_NS6detail17trampoline_kernelINS0_14default_configENS1_27scan_by_key_config_selectorIllEEZZNS1_16scan_by_key_implILNS1_25lookback_scan_determinismE0ELb0ES3_PKlN6hipcub16HIPCUB_304000_NS21ConstantInputIteratorIllEEPllNSB_3SumENSB_8EqualityElEE10hipError_tPvRmT2_T3_T4_T5_mT6_T7_P12ihipStream_tbENKUlT_T0_E_clISt17integral_constantIbLb0EESX_EEDaSS_ST_EUlSS_E_NS1_11comp_targetILNS1_3genE9ELNS1_11target_archE1100ELNS1_3gpuE3ELNS1_3repE0EEENS1_30default_config_static_selectorELNS0_4arch9wavefront6targetE0EEEvT1_
		.amdhsa_group_segment_fixed_size 0
		.amdhsa_private_segment_fixed_size 0
		.amdhsa_kernarg_size 144
		.amdhsa_user_sgpr_count 6
		.amdhsa_user_sgpr_private_segment_buffer 1
		.amdhsa_user_sgpr_dispatch_ptr 0
		.amdhsa_user_sgpr_queue_ptr 0
		.amdhsa_user_sgpr_kernarg_segment_ptr 1
		.amdhsa_user_sgpr_dispatch_id 0
		.amdhsa_user_sgpr_flat_scratch_init 0
		.amdhsa_user_sgpr_private_segment_size 0
		.amdhsa_wavefront_size32 1
		.amdhsa_uses_dynamic_stack 0
		.amdhsa_system_sgpr_private_segment_wavefront_offset 0
		.amdhsa_system_sgpr_workgroup_id_x 1
		.amdhsa_system_sgpr_workgroup_id_y 0
		.amdhsa_system_sgpr_workgroup_id_z 0
		.amdhsa_system_sgpr_workgroup_info 0
		.amdhsa_system_vgpr_workitem_id 0
		.amdhsa_next_free_vgpr 1
		.amdhsa_next_free_sgpr 1
		.amdhsa_reserve_vcc 0
		.amdhsa_reserve_flat_scratch 0
		.amdhsa_float_round_mode_32 0
		.amdhsa_float_round_mode_16_64 0
		.amdhsa_float_denorm_mode_32 3
		.amdhsa_float_denorm_mode_16_64 3
		.amdhsa_dx10_clamp 1
		.amdhsa_ieee_mode 1
		.amdhsa_fp16_overflow 0
		.amdhsa_workgroup_processor_mode 1
		.amdhsa_memory_ordered 1
		.amdhsa_forward_progress 1
		.amdhsa_shared_vgpr_count 0
		.amdhsa_exception_fp_ieee_invalid_op 0
		.amdhsa_exception_fp_denorm_src 0
		.amdhsa_exception_fp_ieee_div_zero 0
		.amdhsa_exception_fp_ieee_overflow 0
		.amdhsa_exception_fp_ieee_underflow 0
		.amdhsa_exception_fp_ieee_inexact 0
		.amdhsa_exception_int_div_zero 0
	.end_amdhsa_kernel
	.section	.text._ZN7rocprim17ROCPRIM_400000_NS6detail17trampoline_kernelINS0_14default_configENS1_27scan_by_key_config_selectorIllEEZZNS1_16scan_by_key_implILNS1_25lookback_scan_determinismE0ELb0ES3_PKlN6hipcub16HIPCUB_304000_NS21ConstantInputIteratorIllEEPllNSB_3SumENSB_8EqualityElEE10hipError_tPvRmT2_T3_T4_T5_mT6_T7_P12ihipStream_tbENKUlT_T0_E_clISt17integral_constantIbLb0EESX_EEDaSS_ST_EUlSS_E_NS1_11comp_targetILNS1_3genE9ELNS1_11target_archE1100ELNS1_3gpuE3ELNS1_3repE0EEENS1_30default_config_static_selectorELNS0_4arch9wavefront6targetE0EEEvT1_,"axG",@progbits,_ZN7rocprim17ROCPRIM_400000_NS6detail17trampoline_kernelINS0_14default_configENS1_27scan_by_key_config_selectorIllEEZZNS1_16scan_by_key_implILNS1_25lookback_scan_determinismE0ELb0ES3_PKlN6hipcub16HIPCUB_304000_NS21ConstantInputIteratorIllEEPllNSB_3SumENSB_8EqualityElEE10hipError_tPvRmT2_T3_T4_T5_mT6_T7_P12ihipStream_tbENKUlT_T0_E_clISt17integral_constantIbLb0EESX_EEDaSS_ST_EUlSS_E_NS1_11comp_targetILNS1_3genE9ELNS1_11target_archE1100ELNS1_3gpuE3ELNS1_3repE0EEENS1_30default_config_static_selectorELNS0_4arch9wavefront6targetE0EEEvT1_,comdat
.Lfunc_end101:
	.size	_ZN7rocprim17ROCPRIM_400000_NS6detail17trampoline_kernelINS0_14default_configENS1_27scan_by_key_config_selectorIllEEZZNS1_16scan_by_key_implILNS1_25lookback_scan_determinismE0ELb0ES3_PKlN6hipcub16HIPCUB_304000_NS21ConstantInputIteratorIllEEPllNSB_3SumENSB_8EqualityElEE10hipError_tPvRmT2_T3_T4_T5_mT6_T7_P12ihipStream_tbENKUlT_T0_E_clISt17integral_constantIbLb0EESX_EEDaSS_ST_EUlSS_E_NS1_11comp_targetILNS1_3genE9ELNS1_11target_archE1100ELNS1_3gpuE3ELNS1_3repE0EEENS1_30default_config_static_selectorELNS0_4arch9wavefront6targetE0EEEvT1_, .Lfunc_end101-_ZN7rocprim17ROCPRIM_400000_NS6detail17trampoline_kernelINS0_14default_configENS1_27scan_by_key_config_selectorIllEEZZNS1_16scan_by_key_implILNS1_25lookback_scan_determinismE0ELb0ES3_PKlN6hipcub16HIPCUB_304000_NS21ConstantInputIteratorIllEEPllNSB_3SumENSB_8EqualityElEE10hipError_tPvRmT2_T3_T4_T5_mT6_T7_P12ihipStream_tbENKUlT_T0_E_clISt17integral_constantIbLb0EESX_EEDaSS_ST_EUlSS_E_NS1_11comp_targetILNS1_3genE9ELNS1_11target_archE1100ELNS1_3gpuE3ELNS1_3repE0EEENS1_30default_config_static_selectorELNS0_4arch9wavefront6targetE0EEEvT1_
                                        ; -- End function
	.set _ZN7rocprim17ROCPRIM_400000_NS6detail17trampoline_kernelINS0_14default_configENS1_27scan_by_key_config_selectorIllEEZZNS1_16scan_by_key_implILNS1_25lookback_scan_determinismE0ELb0ES3_PKlN6hipcub16HIPCUB_304000_NS21ConstantInputIteratorIllEEPllNSB_3SumENSB_8EqualityElEE10hipError_tPvRmT2_T3_T4_T5_mT6_T7_P12ihipStream_tbENKUlT_T0_E_clISt17integral_constantIbLb0EESX_EEDaSS_ST_EUlSS_E_NS1_11comp_targetILNS1_3genE9ELNS1_11target_archE1100ELNS1_3gpuE3ELNS1_3repE0EEENS1_30default_config_static_selectorELNS0_4arch9wavefront6targetE0EEEvT1_.num_vgpr, 0
	.set _ZN7rocprim17ROCPRIM_400000_NS6detail17trampoline_kernelINS0_14default_configENS1_27scan_by_key_config_selectorIllEEZZNS1_16scan_by_key_implILNS1_25lookback_scan_determinismE0ELb0ES3_PKlN6hipcub16HIPCUB_304000_NS21ConstantInputIteratorIllEEPllNSB_3SumENSB_8EqualityElEE10hipError_tPvRmT2_T3_T4_T5_mT6_T7_P12ihipStream_tbENKUlT_T0_E_clISt17integral_constantIbLb0EESX_EEDaSS_ST_EUlSS_E_NS1_11comp_targetILNS1_3genE9ELNS1_11target_archE1100ELNS1_3gpuE3ELNS1_3repE0EEENS1_30default_config_static_selectorELNS0_4arch9wavefront6targetE0EEEvT1_.num_agpr, 0
	.set _ZN7rocprim17ROCPRIM_400000_NS6detail17trampoline_kernelINS0_14default_configENS1_27scan_by_key_config_selectorIllEEZZNS1_16scan_by_key_implILNS1_25lookback_scan_determinismE0ELb0ES3_PKlN6hipcub16HIPCUB_304000_NS21ConstantInputIteratorIllEEPllNSB_3SumENSB_8EqualityElEE10hipError_tPvRmT2_T3_T4_T5_mT6_T7_P12ihipStream_tbENKUlT_T0_E_clISt17integral_constantIbLb0EESX_EEDaSS_ST_EUlSS_E_NS1_11comp_targetILNS1_3genE9ELNS1_11target_archE1100ELNS1_3gpuE3ELNS1_3repE0EEENS1_30default_config_static_selectorELNS0_4arch9wavefront6targetE0EEEvT1_.numbered_sgpr, 0
	.set _ZN7rocprim17ROCPRIM_400000_NS6detail17trampoline_kernelINS0_14default_configENS1_27scan_by_key_config_selectorIllEEZZNS1_16scan_by_key_implILNS1_25lookback_scan_determinismE0ELb0ES3_PKlN6hipcub16HIPCUB_304000_NS21ConstantInputIteratorIllEEPllNSB_3SumENSB_8EqualityElEE10hipError_tPvRmT2_T3_T4_T5_mT6_T7_P12ihipStream_tbENKUlT_T0_E_clISt17integral_constantIbLb0EESX_EEDaSS_ST_EUlSS_E_NS1_11comp_targetILNS1_3genE9ELNS1_11target_archE1100ELNS1_3gpuE3ELNS1_3repE0EEENS1_30default_config_static_selectorELNS0_4arch9wavefront6targetE0EEEvT1_.num_named_barrier, 0
	.set _ZN7rocprim17ROCPRIM_400000_NS6detail17trampoline_kernelINS0_14default_configENS1_27scan_by_key_config_selectorIllEEZZNS1_16scan_by_key_implILNS1_25lookback_scan_determinismE0ELb0ES3_PKlN6hipcub16HIPCUB_304000_NS21ConstantInputIteratorIllEEPllNSB_3SumENSB_8EqualityElEE10hipError_tPvRmT2_T3_T4_T5_mT6_T7_P12ihipStream_tbENKUlT_T0_E_clISt17integral_constantIbLb0EESX_EEDaSS_ST_EUlSS_E_NS1_11comp_targetILNS1_3genE9ELNS1_11target_archE1100ELNS1_3gpuE3ELNS1_3repE0EEENS1_30default_config_static_selectorELNS0_4arch9wavefront6targetE0EEEvT1_.private_seg_size, 0
	.set _ZN7rocprim17ROCPRIM_400000_NS6detail17trampoline_kernelINS0_14default_configENS1_27scan_by_key_config_selectorIllEEZZNS1_16scan_by_key_implILNS1_25lookback_scan_determinismE0ELb0ES3_PKlN6hipcub16HIPCUB_304000_NS21ConstantInputIteratorIllEEPllNSB_3SumENSB_8EqualityElEE10hipError_tPvRmT2_T3_T4_T5_mT6_T7_P12ihipStream_tbENKUlT_T0_E_clISt17integral_constantIbLb0EESX_EEDaSS_ST_EUlSS_E_NS1_11comp_targetILNS1_3genE9ELNS1_11target_archE1100ELNS1_3gpuE3ELNS1_3repE0EEENS1_30default_config_static_selectorELNS0_4arch9wavefront6targetE0EEEvT1_.uses_vcc, 0
	.set _ZN7rocprim17ROCPRIM_400000_NS6detail17trampoline_kernelINS0_14default_configENS1_27scan_by_key_config_selectorIllEEZZNS1_16scan_by_key_implILNS1_25lookback_scan_determinismE0ELb0ES3_PKlN6hipcub16HIPCUB_304000_NS21ConstantInputIteratorIllEEPllNSB_3SumENSB_8EqualityElEE10hipError_tPvRmT2_T3_T4_T5_mT6_T7_P12ihipStream_tbENKUlT_T0_E_clISt17integral_constantIbLb0EESX_EEDaSS_ST_EUlSS_E_NS1_11comp_targetILNS1_3genE9ELNS1_11target_archE1100ELNS1_3gpuE3ELNS1_3repE0EEENS1_30default_config_static_selectorELNS0_4arch9wavefront6targetE0EEEvT1_.uses_flat_scratch, 0
	.set _ZN7rocprim17ROCPRIM_400000_NS6detail17trampoline_kernelINS0_14default_configENS1_27scan_by_key_config_selectorIllEEZZNS1_16scan_by_key_implILNS1_25lookback_scan_determinismE0ELb0ES3_PKlN6hipcub16HIPCUB_304000_NS21ConstantInputIteratorIllEEPllNSB_3SumENSB_8EqualityElEE10hipError_tPvRmT2_T3_T4_T5_mT6_T7_P12ihipStream_tbENKUlT_T0_E_clISt17integral_constantIbLb0EESX_EEDaSS_ST_EUlSS_E_NS1_11comp_targetILNS1_3genE9ELNS1_11target_archE1100ELNS1_3gpuE3ELNS1_3repE0EEENS1_30default_config_static_selectorELNS0_4arch9wavefront6targetE0EEEvT1_.has_dyn_sized_stack, 0
	.set _ZN7rocprim17ROCPRIM_400000_NS6detail17trampoline_kernelINS0_14default_configENS1_27scan_by_key_config_selectorIllEEZZNS1_16scan_by_key_implILNS1_25lookback_scan_determinismE0ELb0ES3_PKlN6hipcub16HIPCUB_304000_NS21ConstantInputIteratorIllEEPllNSB_3SumENSB_8EqualityElEE10hipError_tPvRmT2_T3_T4_T5_mT6_T7_P12ihipStream_tbENKUlT_T0_E_clISt17integral_constantIbLb0EESX_EEDaSS_ST_EUlSS_E_NS1_11comp_targetILNS1_3genE9ELNS1_11target_archE1100ELNS1_3gpuE3ELNS1_3repE0EEENS1_30default_config_static_selectorELNS0_4arch9wavefront6targetE0EEEvT1_.has_recursion, 0
	.set _ZN7rocprim17ROCPRIM_400000_NS6detail17trampoline_kernelINS0_14default_configENS1_27scan_by_key_config_selectorIllEEZZNS1_16scan_by_key_implILNS1_25lookback_scan_determinismE0ELb0ES3_PKlN6hipcub16HIPCUB_304000_NS21ConstantInputIteratorIllEEPllNSB_3SumENSB_8EqualityElEE10hipError_tPvRmT2_T3_T4_T5_mT6_T7_P12ihipStream_tbENKUlT_T0_E_clISt17integral_constantIbLb0EESX_EEDaSS_ST_EUlSS_E_NS1_11comp_targetILNS1_3genE9ELNS1_11target_archE1100ELNS1_3gpuE3ELNS1_3repE0EEENS1_30default_config_static_selectorELNS0_4arch9wavefront6targetE0EEEvT1_.has_indirect_call, 0
	.section	.AMDGPU.csdata,"",@progbits
; Kernel info:
; codeLenInByte = 0
; TotalNumSgprs: 0
; NumVgprs: 0
; ScratchSize: 0
; MemoryBound: 0
; FloatMode: 240
; IeeeMode: 1
; LDSByteSize: 0 bytes/workgroup (compile time only)
; SGPRBlocks: 0
; VGPRBlocks: 0
; NumSGPRsForWavesPerEU: 1
; NumVGPRsForWavesPerEU: 1
; Occupancy: 16
; WaveLimiterHint : 0
; COMPUTE_PGM_RSRC2:SCRATCH_EN: 0
; COMPUTE_PGM_RSRC2:USER_SGPR: 6
; COMPUTE_PGM_RSRC2:TRAP_HANDLER: 0
; COMPUTE_PGM_RSRC2:TGID_X_EN: 1
; COMPUTE_PGM_RSRC2:TGID_Y_EN: 0
; COMPUTE_PGM_RSRC2:TGID_Z_EN: 0
; COMPUTE_PGM_RSRC2:TIDIG_COMP_CNT: 0
	.section	.text._ZN7rocprim17ROCPRIM_400000_NS6detail17trampoline_kernelINS0_14default_configENS1_27scan_by_key_config_selectorIllEEZZNS1_16scan_by_key_implILNS1_25lookback_scan_determinismE0ELb0ES3_PKlN6hipcub16HIPCUB_304000_NS21ConstantInputIteratorIllEEPllNSB_3SumENSB_8EqualityElEE10hipError_tPvRmT2_T3_T4_T5_mT6_T7_P12ihipStream_tbENKUlT_T0_E_clISt17integral_constantIbLb0EESX_EEDaSS_ST_EUlSS_E_NS1_11comp_targetILNS1_3genE8ELNS1_11target_archE1030ELNS1_3gpuE2ELNS1_3repE0EEENS1_30default_config_static_selectorELNS0_4arch9wavefront6targetE0EEEvT1_,"axG",@progbits,_ZN7rocprim17ROCPRIM_400000_NS6detail17trampoline_kernelINS0_14default_configENS1_27scan_by_key_config_selectorIllEEZZNS1_16scan_by_key_implILNS1_25lookback_scan_determinismE0ELb0ES3_PKlN6hipcub16HIPCUB_304000_NS21ConstantInputIteratorIllEEPllNSB_3SumENSB_8EqualityElEE10hipError_tPvRmT2_T3_T4_T5_mT6_T7_P12ihipStream_tbENKUlT_T0_E_clISt17integral_constantIbLb0EESX_EEDaSS_ST_EUlSS_E_NS1_11comp_targetILNS1_3genE8ELNS1_11target_archE1030ELNS1_3gpuE2ELNS1_3repE0EEENS1_30default_config_static_selectorELNS0_4arch9wavefront6targetE0EEEvT1_,comdat
	.protected	_ZN7rocprim17ROCPRIM_400000_NS6detail17trampoline_kernelINS0_14default_configENS1_27scan_by_key_config_selectorIllEEZZNS1_16scan_by_key_implILNS1_25lookback_scan_determinismE0ELb0ES3_PKlN6hipcub16HIPCUB_304000_NS21ConstantInputIteratorIllEEPllNSB_3SumENSB_8EqualityElEE10hipError_tPvRmT2_T3_T4_T5_mT6_T7_P12ihipStream_tbENKUlT_T0_E_clISt17integral_constantIbLb0EESX_EEDaSS_ST_EUlSS_E_NS1_11comp_targetILNS1_3genE8ELNS1_11target_archE1030ELNS1_3gpuE2ELNS1_3repE0EEENS1_30default_config_static_selectorELNS0_4arch9wavefront6targetE0EEEvT1_ ; -- Begin function _ZN7rocprim17ROCPRIM_400000_NS6detail17trampoline_kernelINS0_14default_configENS1_27scan_by_key_config_selectorIllEEZZNS1_16scan_by_key_implILNS1_25lookback_scan_determinismE0ELb0ES3_PKlN6hipcub16HIPCUB_304000_NS21ConstantInputIteratorIllEEPllNSB_3SumENSB_8EqualityElEE10hipError_tPvRmT2_T3_T4_T5_mT6_T7_P12ihipStream_tbENKUlT_T0_E_clISt17integral_constantIbLb0EESX_EEDaSS_ST_EUlSS_E_NS1_11comp_targetILNS1_3genE8ELNS1_11target_archE1030ELNS1_3gpuE2ELNS1_3repE0EEENS1_30default_config_static_selectorELNS0_4arch9wavefront6targetE0EEEvT1_
	.globl	_ZN7rocprim17ROCPRIM_400000_NS6detail17trampoline_kernelINS0_14default_configENS1_27scan_by_key_config_selectorIllEEZZNS1_16scan_by_key_implILNS1_25lookback_scan_determinismE0ELb0ES3_PKlN6hipcub16HIPCUB_304000_NS21ConstantInputIteratorIllEEPllNSB_3SumENSB_8EqualityElEE10hipError_tPvRmT2_T3_T4_T5_mT6_T7_P12ihipStream_tbENKUlT_T0_E_clISt17integral_constantIbLb0EESX_EEDaSS_ST_EUlSS_E_NS1_11comp_targetILNS1_3genE8ELNS1_11target_archE1030ELNS1_3gpuE2ELNS1_3repE0EEENS1_30default_config_static_selectorELNS0_4arch9wavefront6targetE0EEEvT1_
	.p2align	8
	.type	_ZN7rocprim17ROCPRIM_400000_NS6detail17trampoline_kernelINS0_14default_configENS1_27scan_by_key_config_selectorIllEEZZNS1_16scan_by_key_implILNS1_25lookback_scan_determinismE0ELb0ES3_PKlN6hipcub16HIPCUB_304000_NS21ConstantInputIteratorIllEEPllNSB_3SumENSB_8EqualityElEE10hipError_tPvRmT2_T3_T4_T5_mT6_T7_P12ihipStream_tbENKUlT_T0_E_clISt17integral_constantIbLb0EESX_EEDaSS_ST_EUlSS_E_NS1_11comp_targetILNS1_3genE8ELNS1_11target_archE1030ELNS1_3gpuE2ELNS1_3repE0EEENS1_30default_config_static_selectorELNS0_4arch9wavefront6targetE0EEEvT1_,@function
_ZN7rocprim17ROCPRIM_400000_NS6detail17trampoline_kernelINS0_14default_configENS1_27scan_by_key_config_selectorIllEEZZNS1_16scan_by_key_implILNS1_25lookback_scan_determinismE0ELb0ES3_PKlN6hipcub16HIPCUB_304000_NS21ConstantInputIteratorIllEEPllNSB_3SumENSB_8EqualityElEE10hipError_tPvRmT2_T3_T4_T5_mT6_T7_P12ihipStream_tbENKUlT_T0_E_clISt17integral_constantIbLb0EESX_EEDaSS_ST_EUlSS_E_NS1_11comp_targetILNS1_3genE8ELNS1_11target_archE1030ELNS1_3gpuE2ELNS1_3repE0EEENS1_30default_config_static_selectorELNS0_4arch9wavefront6targetE0EEEvT1_: ; @_ZN7rocprim17ROCPRIM_400000_NS6detail17trampoline_kernelINS0_14default_configENS1_27scan_by_key_config_selectorIllEEZZNS1_16scan_by_key_implILNS1_25lookback_scan_determinismE0ELb0ES3_PKlN6hipcub16HIPCUB_304000_NS21ConstantInputIteratorIllEEPllNSB_3SumENSB_8EqualityElEE10hipError_tPvRmT2_T3_T4_T5_mT6_T7_P12ihipStream_tbENKUlT_T0_E_clISt17integral_constantIbLb0EESX_EEDaSS_ST_EUlSS_E_NS1_11comp_targetILNS1_3genE8ELNS1_11target_archE1030ELNS1_3gpuE2ELNS1_3repE0EEENS1_30default_config_static_selectorELNS0_4arch9wavefront6targetE0EEEvT1_
; %bb.0:
	s_clause 0x5
	s_load_dwordx2 s[34:35], s[4:5], 0x58
	s_load_dword s2, s[4:5], 0x60
	s_load_dwordx4 s[12:15], s[4:5], 0x0
	s_load_dwordx8 s[36:43], s[4:5], 0x68
	s_load_dwordx2 s[8:9], s[4:5], 0x10
	s_load_dwordx8 s[20:27], s[4:5], 0x38
	s_mov_b32 s1, 0
	s_waitcnt lgkmcnt(0)
	s_barrier
	buffer_gl0_inv
	s_mul_i32 s0, s35, s2
	s_mul_hi_u32 s3, s34, s2
	s_lshl_b64 s[28:29], s[14:15], 3
	s_add_i32 s3, s3, s0
	s_add_u32 s10, s12, s28
	s_addc_u32 s11, s13, s29
	s_cmp_lg_u64 s[40:41], 0
	s_mul_i32 s0, s6, 0xd00
	s_cselect_b32 s7, -1, 0
	s_lshl_b64 s[30:31], s[0:1], 3
	s_mul_i32 s0, s34, s2
	s_add_u32 s10, s10, s30
	s_addc_u32 s11, s11, s31
	s_add_u32 s12, s0, s6
	s_addc_u32 s13, s3, 0
	s_add_u32 s2, s36, -1
	s_addc_u32 s3, s37, -1
	s_mul_i32 s33, s2, 0xfffff300
	v_cmp_ge_u64_e64 s27, s[12:13], s[2:3]
	s_and_b32 vcc_lo, exec_lo, s27
	s_cbranch_vccz .LBB102_30
; %bb.1:
	s_load_dwordx2 s[0:1], s[10:11], 0x0
	s_add_i32 s3, s33, s26
	s_mov_b32 s2, exec_lo
	s_waitcnt lgkmcnt(0)
	v_mov_b32_e32 v2, s1
	v_mov_b32_e32 v1, s0
	v_cmpx_gt_u32_e64 s3, v0
	s_cbranch_execz .LBB102_3
; %bb.2:
	v_lshlrev_b32_e32 v1, 3, v0
	global_load_dwordx2 v[1:2], v1, s[10:11]
.LBB102_3:
	s_or_b32 exec_lo, exec_lo, s2
	v_mov_b32_e32 v4, s1
	v_or_b32_e32 v5, 0x100, v0
	v_mov_b32_e32 v3, s0
	s_mov_b32 s2, exec_lo
	v_cmpx_gt_u32_e64 s3, v5
	s_cbranch_execz .LBB102_5
; %bb.4:
	v_lshlrev_b32_e32 v3, 3, v5
	global_load_dwordx2 v[3:4], v3, s[10:11]
.LBB102_5:
	s_or_b32 exec_lo, exec_lo, s2
	v_mov_b32_e32 v6, s1
	v_or_b32_e32 v7, 0x200, v0
	v_mov_b32_e32 v5, s0
	s_mov_b32 s2, exec_lo
	v_cmpx_gt_u32_e64 s3, v7
	s_cbranch_execz .LBB102_7
; %bb.6:
	v_lshlrev_b32_e32 v5, 3, v7
	global_load_dwordx2 v[5:6], v5, s[10:11]
.LBB102_7:
	s_or_b32 exec_lo, exec_lo, s2
	v_mov_b32_e32 v8, s1
	v_or_b32_e32 v9, 0x300, v0
	v_mov_b32_e32 v7, s0
	s_mov_b32 s2, exec_lo
	v_cmpx_gt_u32_e64 s3, v9
	s_cbranch_execz .LBB102_9
; %bb.8:
	v_lshlrev_b32_e32 v7, 3, v9
	global_load_dwordx2 v[7:8], v7, s[10:11]
.LBB102_9:
	s_or_b32 exec_lo, exec_lo, s2
	v_mov_b32_e32 v10, s1
	v_or_b32_e32 v11, 0x400, v0
	v_mov_b32_e32 v9, s0
	s_mov_b32 s2, exec_lo
	v_cmpx_gt_u32_e64 s3, v11
	s_cbranch_execz .LBB102_11
; %bb.10:
	v_lshlrev_b32_e32 v9, 3, v11
	global_load_dwordx2 v[9:10], v9, s[10:11]
.LBB102_11:
	s_or_b32 exec_lo, exec_lo, s2
	v_mov_b32_e32 v12, s1
	v_or_b32_e32 v13, 0x500, v0
	v_mov_b32_e32 v11, s0
	s_mov_b32 s2, exec_lo
	v_cmpx_gt_u32_e64 s3, v13
	s_cbranch_execz .LBB102_13
; %bb.12:
	v_lshlrev_b32_e32 v11, 3, v13
	global_load_dwordx2 v[11:12], v11, s[10:11]
.LBB102_13:
	s_or_b32 exec_lo, exec_lo, s2
	v_mov_b32_e32 v14, s1
	v_or_b32_e32 v15, 0x600, v0
	v_mov_b32_e32 v13, s0
	s_mov_b32 s2, exec_lo
	v_cmpx_gt_u32_e64 s3, v15
	s_cbranch_execz .LBB102_15
; %bb.14:
	v_lshlrev_b32_e32 v13, 3, v15
	global_load_dwordx2 v[13:14], v13, s[10:11]
.LBB102_15:
	s_or_b32 exec_lo, exec_lo, s2
	v_mov_b32_e32 v16, s1
	v_or_b32_e32 v17, 0x700, v0
	v_mov_b32_e32 v15, s0
	s_mov_b32 s2, exec_lo
	v_cmpx_gt_u32_e64 s3, v17
	s_cbranch_execz .LBB102_17
; %bb.16:
	v_lshlrev_b32_e32 v15, 3, v17
	global_load_dwordx2 v[15:16], v15, s[10:11]
.LBB102_17:
	s_or_b32 exec_lo, exec_lo, s2
	v_mov_b32_e32 v18, s1
	v_or_b32_e32 v19, 0x800, v0
	v_mov_b32_e32 v17, s0
	s_mov_b32 s2, exec_lo
	v_cmpx_gt_u32_e64 s3, v19
	s_cbranch_execz .LBB102_19
; %bb.18:
	v_lshlrev_b32_e32 v17, 3, v19
	global_load_dwordx2 v[17:18], v17, s[10:11]
.LBB102_19:
	s_or_b32 exec_lo, exec_lo, s2
	v_mov_b32_e32 v20, s1
	v_or_b32_e32 v21, 0x900, v0
	v_mov_b32_e32 v19, s0
	s_mov_b32 s2, exec_lo
	v_cmpx_gt_u32_e64 s3, v21
	s_cbranch_execz .LBB102_21
; %bb.20:
	v_lshlrev_b32_e32 v19, 3, v21
	global_load_dwordx2 v[19:20], v19, s[10:11]
.LBB102_21:
	s_or_b32 exec_lo, exec_lo, s2
	v_mov_b32_e32 v22, s1
	v_or_b32_e32 v23, 0xa00, v0
	v_mov_b32_e32 v21, s0
	s_mov_b32 s2, exec_lo
	v_cmpx_gt_u32_e64 s3, v23
	s_cbranch_execz .LBB102_23
; %bb.22:
	v_lshlrev_b32_e32 v21, 3, v23
	global_load_dwordx2 v[21:22], v21, s[10:11]
.LBB102_23:
	s_or_b32 exec_lo, exec_lo, s2
	v_mov_b32_e32 v24, s1
	v_or_b32_e32 v25, 0xb00, v0
	v_mov_b32_e32 v23, s0
	s_mov_b32 s2, exec_lo
	v_cmpx_gt_u32_e64 s3, v25
	s_cbranch_execz .LBB102_25
; %bb.24:
	v_lshlrev_b32_e32 v23, 3, v25
	global_load_dwordx2 v[23:24], v23, s[10:11]
.LBB102_25:
	s_or_b32 exec_lo, exec_lo, s2
	v_mov_b32_e32 v26, s1
	v_or_b32_e32 v27, 0xc00, v0
	v_mov_b32_e32 v25, s0
	s_mov_b32 s0, exec_lo
	v_cmpx_gt_u32_e64 s3, v27
	s_cbranch_execz .LBB102_27
; %bb.26:
	v_lshlrev_b32_e32 v25, 3, v27
	global_load_dwordx2 v[25:26], v25, s[10:11]
.LBB102_27:
	s_or_b32 exec_lo, exec_lo, s0
	v_lshlrev_b32_e32 v35, 3, v0
	s_cmp_eq_u64 s[12:13], 0
	s_mov_b64 s[0:1], s[10:11]
	s_waitcnt vmcnt(0)
	ds_write2st64_b64 v35, v[1:2], v[3:4] offset1:4
	ds_write2st64_b64 v35, v[5:6], v[7:8] offset0:8 offset1:12
	ds_write2st64_b64 v35, v[9:10], v[11:12] offset0:16 offset1:20
	ds_write2st64_b64 v35, v[13:14], v[15:16] offset0:24 offset1:28
	ds_write2st64_b64 v35, v[17:18], v[19:20] offset0:32 offset1:36
	ds_write2st64_b64 v35, v[21:22], v[23:24] offset0:40 offset1:44
	v_mad_u32_u24 v102, 0x60, v0, v35
	ds_write_b64 v35, v[25:26] offset:24576
	s_waitcnt lgkmcnt(0)
	s_barrier
	buffer_gl0_inv
	ds_read2_b64 v[65:68], v102 offset0:2 offset1:3
	ds_read2_b64 v[57:60], v102 offset0:3 offset1:4
	ds_read2_b64 v[69:72], v102 offset1:1
	ds_read2_b64 v[73:76], v102 offset0:1 offset1:2
	ds_read2_b64 v[53:56], v102 offset0:7 offset1:8
	;; [unrolled: 1-line block ×5, first 2 shown]
	s_cbranch_scc1 .LBB102_33
; %bb.28:
	s_add_u32 s0, s10, -8
	s_addc_u32 s1, s11, -1
	s_andn2_b32 vcc_lo, exec_lo, s7
	s_cbranch_vccnz .LBB102_31
; %bb.29:
	s_lshl_b64 s[0:1], s[12:13], 3
	s_mov_b32 s2, 0
	s_add_u32 s0, s42, s0
	s_addc_u32 s1, s43, s1
	s_add_u32 s0, s0, -8
	s_addc_u32 s1, s1, -1
	s_branch .LBB102_32
.LBB102_30:
                                        ; implicit-def: $sgpr14
                                        ; implicit-def: $vgpr99
                                        ; implicit-def: $vgpr93
                                        ; implicit-def: $vgpr98
                                        ; implicit-def: $vgpr96
                                        ; implicit-def: $vgpr103
                                        ; implicit-def: $vgpr94
                                        ; implicit-def: $vgpr101
                                        ; implicit-def: $vgpr100
                                        ; implicit-def: $vgpr35_vgpr36
                                        ; implicit-def: $vgpr95
                                        ; implicit-def: $vgpr5_vgpr6
                                        ; implicit-def: $vgpr97
                                        ; implicit-def: $vgpr29_vgpr30
                                        ; implicit-def: $vgpr33_vgpr34
                                        ; implicit-def: $vgpr39_vgpr40
                                        ; implicit-def: $vgpr43_vgpr44
                                        ; implicit-def: $vgpr3_vgpr4
                                        ; implicit-def: $vgpr105
                                        ; implicit-def: $vgpr88
                                        ; implicit-def: $vgpr85
                                        ; implicit-def: $vgpr86
                                        ; implicit-def: $vgpr83
                                        ; implicit-def: $vgpr92
                                        ; implicit-def: $vgpr91
                                        ; implicit-def: $vgpr90
                                        ; implicit-def: $vgpr89
                                        ; implicit-def: $vgpr81
                                        ; implicit-def: $vgpr82
                                        ; implicit-def: $vgpr77_vgpr78
                                        ; implicit-def: $vgpr84
                                        ; implicit-def: $vgpr25_vgpr26
                                        ; implicit-def: $vgpr79_vgpr80
                                        ; implicit-def: $vgpr21_vgpr22
                                        ; implicit-def: $vgpr23_vgpr24
                                        ; implicit-def: $vgpr17_vgpr18
                                        ; implicit-def: $vgpr19_vgpr20
                                        ; implicit-def: $vgpr13_vgpr14
                                        ; implicit-def: $vgpr15_vgpr16
                                        ; implicit-def: $vgpr9_vgpr10
                                        ; implicit-def: $vgpr87
	v_lshlrev_b32_e32 v53, 3, v0
	s_cbranch_execnz .LBB102_60
	s_branch .LBB102_68
.LBB102_31:
	s_mov_b32 s2, -1
.LBB102_32:
	s_andn2_b32 vcc_lo, exec_lo, s2
.LBB102_33:
	s_load_dwordx2 s[0:1], s[0:1], 0x0
	v_mad_i32_i24 v1, 0xffffffa0, v0, v102
	s_waitcnt lgkmcnt(0)
	ds_write_b64 v1, v[51:52] offset:26624
	s_waitcnt lgkmcnt(0)
	s_barrier
	buffer_gl0_inv
	v_mov_b32_e32 v12, s1
	v_mov_b32_e32 v11, s0
	s_mov_b32 s1, 0
	s_mov_b32 s0, exec_lo
	v_cmpx_ne_u32_e32 0, v0
; %bb.34:
	v_mul_i32_i24_e32 v1, 0xffffffa0, v0
	v_add_nc_u32_e32 v1, v102, v1
	ds_read_b64 v[11:12], v1 offset:26616
; %bb.35:
	s_or_b32 exec_lo, exec_lo, s0
	v_mul_u32_u24_e32 v104, 13, v0
	v_mov_b32_e32 v107, s9
	v_mov_b32_e32 v5, 0
	;; [unrolled: 1-line block ×24, first 2 shown]
	v_cmp_gt_u32_e32 vcc_lo, s3, v104
	v_mov_b32_e32 v99, 0
	v_mov_b32_e32 v6, 0
	;; [unrolled: 1-line block ×45, first 2 shown]
	s_waitcnt lgkmcnt(0)
	s_barrier
	buffer_gl0_inv
	ds_write2st64_b64 v35, v[106:107], v[106:107] offset1:4
	ds_write2st64_b64 v35, v[106:107], v[106:107] offset0:8 offset1:12
	ds_write2st64_b64 v35, v[106:107], v[106:107] offset0:16 offset1:20
	;; [unrolled: 1-line block ×5, first 2 shown]
	ds_write_b64 v35, v[106:107] offset:24576
	s_waitcnt lgkmcnt(0)
	s_barrier
	buffer_gl0_inv
                                        ; implicit-def: $sgpr14
                                        ; implicit-def: $vgpr35_vgpr36
	s_and_saveexec_b32 s15, vcc_lo
	s_cbranch_execz .LBB102_59
; %bb.36:
	ds_read_b64 v[1:2], v102
	v_add_nc_u32_e32 v3, 1, v104
	v_mov_b32_e32 v5, 0
	v_mov_b32_e32 v29, 0
	;; [unrolled: 1-line block ×4, first 2 shown]
	v_cmp_gt_u32_e64 s0, s3, v3
	v_mov_b32_e32 v31, 0
	v_mov_b32_e32 v39, 0
	;; [unrolled: 1-line block ×59, first 2 shown]
	v_cmp_ne_u64_e32 vcc_lo, v[11:12], v[69:70]
                                        ; implicit-def: $sgpr14
                                        ; implicit-def: $vgpr35_vgpr36
	s_and_saveexec_b32 s16, s0
	s_cbranch_execz .LBB102_58
; %bb.37:
	ds_read2_b64 v[9:12], v102 offset0:1 offset1:2
	v_cmp_ne_u64_e64 s0, v[71:72], v[75:76]
	v_cmp_ne_u64_e64 s2, v[69:70], v[73:74]
	v_add_nc_u32_e32 v5, 2, v104
	v_cmp_ne_u64_e64 s1, v[67:68], v[59:60]
	v_mov_b32_e32 v29, 0
	v_mov_b32_e32 v27, 0
	v_cndmask_b32_e64 v3, 0, 1, s0
	v_cmp_ne_u64_e64 s0, v[65:66], v[57:58]
	v_cndmask_b32_e64 v4, 0, 1, s2
	v_cmp_gt_u32_e64 s2, s3, v5
	v_mov_b32_e32 v5, 0
	v_mov_b32_e32 v33, 0
	v_mov_b32_e32 v31, 0
	v_mov_b32_e32 v39, 0
	v_mov_b32_e32 v37, 0
	v_mov_b32_e32 v43, 0
	v_mov_b32_e32 v41, 0
	v_mov_b32_e32 v7, 0
	v_mov_b32_e32 v77, 0
	v_mov_b32_e32 v25, 0
	v_mov_b32_e32 v79, 0
	v_mov_b32_e32 v21, 0
	v_mov_b32_e32 v23, 0
	v_mov_b32_e32 v17, 0
	v_mov_b32_e32 v19, 0
	v_mov_b32_e32 v13, 0
	v_mov_b32_e32 v15, 0
	v_lshlrev_b16 v3, 8, v3
	v_mov_b32_e32 v99, 0
	v_mov_b32_e32 v6, 0
	;; [unrolled: 1-line block ×38, first 2 shown]
	s_mov_b32 s18, 0
                                        ; implicit-def: $sgpr14
                                        ; implicit-def: $vgpr35_vgpr36
	s_and_saveexec_b32 s17, s2
	s_cbranch_execz .LBB102_57
; %bb.38:
	v_cndmask_b32_e64 v7, 0, 1, s1
	v_cndmask_b32_e64 v8, 0, 1, s0
	v_add_nc_u32_e32 v13, 3, v104
	v_mov_b32_e32 v5, 0
	v_mov_b32_e32 v29, 0
	v_lshlrev_b16 v7, 8, v7
	v_mov_b32_e32 v27, 0
	v_mov_b32_e32 v33, 0
	;; [unrolled: 1-line block ×4, first 2 shown]
	v_or_b32_e32 v41, v8, v7
	v_mov_b32_e32 v37, 0
	v_mov_b32_e32 v43, 0
	v_cmp_gt_u32_e64 s0, s3, v13
	v_mov_b32_e32 v77, 0
	v_lshlrev_b32_e32 v42, 16, v41
	v_mov_b32_e32 v25, 0
	v_mov_b32_e32 v79, 0
	;; [unrolled: 1-line block ×4, first 2 shown]
	v_or_b32_sdwa v7, v3, v42 dst_sel:DWORD dst_unused:UNUSED_PAD src0_sel:WORD_0 src1_sel:DWORD
	v_mov_b32_e32 v17, 0
	v_mov_b32_e32 v19, 0
	;; [unrolled: 1-line block ×4, first 2 shown]
	v_lshrrev_b32_e32 v94, 8, v7
	v_mov_b32_e32 v7, 0
	v_mov_b32_e32 v6, 0
	;; [unrolled: 1-line block ×34, first 2 shown]
	s_mov_b32 s1, 0
                                        ; implicit-def: $sgpr14
                                        ; implicit-def: $vgpr35_vgpr36
	s_and_saveexec_b32 s18, s0
	s_cbranch_execz .LBB102_56
; %bb.39:
	ds_read2_b64 v[13:16], v102 offset0:3 offset1:4
	v_add_nc_u32_e32 v7, 4, v104
	v_mov_b32_e32 v5, 0
	v_mov_b32_e32 v29, 0
	;; [unrolled: 1-line block ×4, first 2 shown]
	v_cmp_gt_u32_e64 s0, s3, v7
	v_mov_b32_e32 v31, 0
	v_mov_b32_e32 v39, 0
	;; [unrolled: 1-line block ×41, first 2 shown]
                                        ; implicit-def: $sgpr14
                                        ; implicit-def: $vgpr35_vgpr36
	s_and_saveexec_b32 s19, s0
	s_cbranch_execz .LBB102_55
; %bb.40:
	v_add_nc_u32_e32 v7, 5, v104
	v_mov_b32_e32 v5, 0
	v_mov_b32_e32 v29, 0
	;; [unrolled: 1-line block ×4, first 2 shown]
	v_cmp_gt_u32_e64 s0, s3, v7
	v_mov_b32_e32 v31, 0
	v_mov_b32_e32 v39, 0
	;; [unrolled: 1-line block ×34, first 2 shown]
                                        ; implicit-def: $sgpr14
                                        ; implicit-def: $vgpr35_vgpr36
	s_and_saveexec_b32 s36, s0
	s_cbranch_execz .LBB102_54
; %bb.41:
	ds_read2_b64 v[17:20], v102 offset0:5 offset1:6
	v_cmp_ne_u64_e64 s0, v[61:62], v[63:64]
	v_cmp_ne_u64_e64 s2, v[59:60], v[61:62]
	v_add_nc_u32_e32 v6, 6, v104
	v_cmp_ne_u64_e64 s1, v[53:54], v[55:56]
	v_mov_b32_e32 v29, 0
	v_mov_b32_e32 v27, 0
	v_cndmask_b32_e64 v5, 0, 1, s0
	v_cmp_ne_u64_e64 s0, v[63:64], v[53:54]
	v_cndmask_b32_e64 v38, 0, 1, s2
	v_cmp_gt_u32_e64 s2, s3, v6
	v_mov_b32_e32 v33, 0
	v_lshlrev_b16 v37, 8, v5
	v_mov_b32_e32 v5, 0
	v_mov_b32_e32 v31, 0
	;; [unrolled: 1-line block ×30, first 2 shown]
	s_mov_b32 s40, 0
                                        ; implicit-def: $sgpr14
                                        ; implicit-def: $vgpr35_vgpr36
	s_and_saveexec_b32 s37, s2
	s_cbranch_execz .LBB102_53
; %bb.42:
	v_cndmask_b32_e64 v5, 0, 1, s1
	v_cndmask_b32_e64 v7, 0, 1, s0
	v_mov_b32_e32 v29, 0
	v_mov_b32_e32 v27, 0
	;; [unrolled: 1-line block ×3, first 2 shown]
	v_lshlrev_b16 v8, 8, v5
	v_mov_b32_e32 v5, 0
	v_mov_b32_e32 v77, 0
	;; [unrolled: 1-line block ×4, first 2 shown]
	v_or_b32_e32 v31, v7, v8
	v_mov_b32_e32 v7, 0
	v_mov_b32_e32 v21, 0
	v_add_nc_u32_e32 v23, 7, v104
	v_mov_b32_e32 v98, 0
	v_lshlrev_b32_e32 v32, 16, v31
	v_mov_b32_e32 v6, 0
	v_mov_b32_e32 v96, 0
	;; [unrolled: 1-line block ×4, first 2 shown]
	v_or_b32_sdwa v24, v37, v32 dst_sel:DWORD dst_unused:UNUSED_PAD src0_sel:WORD_0 src1_sel:DWORD
	v_mov_b32_e32 v30, 0
	v_mov_b32_e32 v28, 0
	;; [unrolled: 1-line block ×11, first 2 shown]
	v_lshrrev_b32_e32 v93, 8, v24
	v_mov_b32_e32 v84, 0
	s_mov_b32 s1, 0
	s_mov_b32 s40, exec_lo
                                        ; implicit-def: $sgpr14
                                        ; implicit-def: $vgpr35_vgpr36
	v_cmpx_gt_u32_e64 s3, v23
	s_cbranch_execz .LBB102_52
; %bb.43:
	ds_read2_b64 v[21:24], v102 offset0:7 offset1:8
	v_add_nc_u32_e32 v7, 8, v104
	v_mov_b32_e32 v5, 0
	v_mov_b32_e32 v29, 0
	;; [unrolled: 1-line block ×4, first 2 shown]
	v_cmp_gt_u32_e64 s0, s3, v7
	v_mov_b32_e32 v7, 0
	v_mov_b32_e32 v25, 0
	;; [unrolled: 1-line block ×16, first 2 shown]
                                        ; implicit-def: $sgpr14
                                        ; implicit-def: $vgpr35_vgpr36
	s_and_saveexec_b32 s41, s0
	s_cbranch_execz .LBB102_51
; %bb.44:
	v_add_nc_u32_e32 v7, 9, v104
	v_mov_b32_e32 v5, 0
	v_mov_b32_e32 v29, 0
	;; [unrolled: 1-line block ×4, first 2 shown]
	v_cmp_gt_u32_e64 s0, s3, v7
	v_mov_b32_e32 v7, 0
	v_mov_b32_e32 v6, 0
	;; [unrolled: 1-line block ×10, first 2 shown]
                                        ; implicit-def: $sgpr14
                                        ; implicit-def: $vgpr35_vgpr36
	s_and_saveexec_b32 s44, s0
	s_cbranch_execz .LBB102_50
; %bb.45:
	ds_read2_b64 v[25:28], v102 offset0:9 offset1:10
	v_add_nc_u32_e32 v5, 10, v104
	v_cmp_ne_u64_e64 s0, v[55:56], v[45:46]
	v_mov_b32_e32 v7, 0
	v_mov_b32_e32 v77, 0
	;; [unrolled: 1-line block ×3, first 2 shown]
	v_cmp_gt_u32_e64 s1, s3, v5
	v_mov_b32_e32 v5, 0
	v_mov_b32_e32 v6, 0
	v_mov_b32_e32 v8, 0
	v_mov_b32_e32 v78, 0
	v_mov_b32_e32 v81, 0
	s_mov_b32 s2, 0
                                        ; implicit-def: $sgpr14
                                        ; implicit-def: $vgpr35_vgpr36
	s_and_saveexec_b32 s45, s1
	s_cbranch_execz .LBB102_49
; %bb.46:
	v_cmp_ne_u64_e64 s1, v[45:46], v[47:48]
	v_mov_b32_e32 v7, 0
	v_add_nc_u32_e32 v5, 11, v104
	v_mov_b32_e32 v8, 0
	v_mov_b32_e32 v81, 0
	s_mov_b32 s46, 0
	s_mov_b32 s47, exec_lo
                                        ; implicit-def: $sgpr14
                                        ; implicit-def: $vgpr35_vgpr36
	v_cmpx_gt_u32_e64 s3, v5
	s_xor_b32 s47, exec_lo, s47
	s_cbranch_execz .LBB102_48
; %bb.47:
	ds_read2_b64 v[33:36], v102 offset0:11 offset1:12
	v_add_nc_u32_e32 v5, 12, v104
	v_cmp_ne_u64_e64 s14, v[49:50], v[51:52]
	v_cmp_gt_u32_e64 s2, s3, v5
	v_cmp_ne_u64_e64 s3, v[47:48], v[49:50]
	s_and_b32 s46, s2, exec_lo
	v_cndmask_b32_e64 v81, 0, 1, s3
	s_waitcnt lgkmcnt(0)
	v_mov_b32_e32 v7, v33
	v_mov_b32_e32 v8, v34
.LBB102_48:
	s_or_b32 exec_lo, exec_lo, s47
	s_waitcnt lgkmcnt(0)
	v_mov_b32_e32 v5, v27
	v_mov_b32_e32 v78, v28
	v_cndmask_b32_e64 v95, 0, 1, s1
	v_mov_b32_e32 v6, v28
	v_mov_b32_e32 v77, v27
	s_and_b32 s2, s46, exec_lo
.LBB102_49:
	s_or_b32 exec_lo, exec_lo, s45
	v_cndmask_b32_e64 v97, 0, 1, s0
	s_waitcnt lgkmcnt(0)
	v_mov_b32_e32 v30, v26
	v_mov_b32_e32 v29, v25
	s_and_b32 s1, s2, exec_lo
	v_mov_b32_e32 v84, v97
.LBB102_50:
	s_or_b32 exec_lo, exec_lo, s44
	s_waitcnt lgkmcnt(0)
	v_mov_b32_e32 v28, v24
	v_mov_b32_e32 v80, v24
	v_lshrrev_b32_e32 v96, 24, v32
	v_mov_b32_e32 v27, v23
	v_mov_b32_e32 v82, v95
	;; [unrolled: 1-line block ×3, first 2 shown]
	s_and_b32 s1, s1, exec_lo
.LBB102_51:
	s_or_b32 exec_lo, exec_lo, s41
	s_waitcnt lgkmcnt(0)
	v_mov_b32_e32 v34, v22
	v_mov_b32_e32 v98, v31
	;; [unrolled: 1-line block ×4, first 2 shown]
	s_and_b32 s1, s1, exec_lo
.LBB102_52:
	s_or_b32 exec_lo, exec_lo, s40
	s_waitcnt lgkmcnt(0)
	v_mov_b32_e32 v32, v20
	v_mov_b32_e32 v24, v20
	;; [unrolled: 1-line block ×6, first 2 shown]
	s_and_b32 s40, s1, exec_lo
.LBB102_53:
	s_or_b32 exec_lo, exec_lo, s37
	s_waitcnt lgkmcnt(0)
	v_mov_b32_e32 v40, v18
	v_or_b32_e32 v99, v38, v37
	v_mov_b32_e32 v39, v17
	s_and_b32 s1, s40, exec_lo
.LBB102_54:
	s_or_b32 exec_lo, exec_lo, s36
	v_lshrrev_b32_e32 v100, 24, v42
	s_waitcnt lgkmcnt(0)
	v_mov_b32_e32 v38, v16
	v_mov_b32_e32 v20, v16
	;; [unrolled: 1-line block ×6, first 2 shown]
	s_and_b32 s1, s1, exec_lo
.LBB102_55:
	s_or_b32 exec_lo, exec_lo, s19
	s_waitcnt lgkmcnt(0)
	v_mov_b32_e32 v44, v14
	v_mov_b32_e32 v101, v41
	;; [unrolled: 1-line block ×4, first 2 shown]
	s_and_b32 s1, s1, exec_lo
.LBB102_56:
	s_or_b32 exec_lo, exec_lo, s18
	s_waitcnt lgkmcnt(0)
	v_mov_b32_e32 v42, v12
	v_mov_b32_e32 v16, v12
	;; [unrolled: 1-line block ×5, first 2 shown]
	s_and_b32 s18, s1, exec_lo
.LBB102_57:
	s_or_b32 exec_lo, exec_lo, s17
	v_or_b32_e32 v103, v4, v3
	s_waitcnt lgkmcnt(0)
	v_mov_b32_e32 v3, v9
	v_mov_b32_e32 v4, v10
	s_and_b32 s1, s18, exec_lo
	v_mov_b32_e32 v92, v103
.LBB102_58:
	s_or_b32 exec_lo, exec_lo, s16
	v_cndmask_b32_e64 v105, 0, 1, vcc_lo
	s_and_b32 s1, s1, exec_lo
	v_mov_b32_e32 v87, v105
.LBB102_59:
	s_or_b32 exec_lo, exec_lo, s15
	v_lshlrev_b32_e32 v53, 3, v0
	s_branch .LBB102_68
.LBB102_60:
	v_add_co_u32 v17, s0, s10, v53
	v_add_co_ci_u32_e64 v18, null, s11, 0, s0
	v_mad_u32_u24 v45, 0x60, v0, v53
	s_waitcnt lgkmcnt(0)
	v_add_co_u32 v1, vcc_lo, v17, 0x1000
	v_add_co_ci_u32_e64 v2, null, 0, v18, vcc_lo
	v_add_co_u32 v3, vcc_lo, v17, 0x2000
	v_add_co_ci_u32_e64 v4, null, 0, v18, vcc_lo
	;; [unrolled: 2-line block ×6, first 2 shown]
	s_clause 0xc
	global_load_dwordx2 v[5:6], v53, s[10:11]
	global_load_dwordx2 v[7:8], v[1:2], off offset:-2048
	global_load_dwordx2 v[1:2], v[1:2], off
	global_load_dwordx2 v[9:10], v[3:4], off offset:-2048
	global_load_dwordx2 v[3:4], v[3:4], off
	;; [unrolled: 2-line block ×6, first 2 shown]
	s_cmp_eq_u64 s[12:13], 0
	s_waitcnt vmcnt(11)
	ds_write2st64_b64 v53, v[5:6], v[7:8] offset1:4
	s_waitcnt vmcnt(9)
	ds_write2st64_b64 v53, v[1:2], v[9:10] offset0:8 offset1:12
	s_waitcnt vmcnt(7)
	ds_write2st64_b64 v53, v[3:4], v[19:20] offset0:16 offset1:20
	;; [unrolled: 2-line block ×5, first 2 shown]
	s_waitcnt vmcnt(0)
	ds_write_b64 v53, v[17:18] offset:24576
	s_waitcnt lgkmcnt(0)
	s_barrier
	buffer_gl0_inv
	ds_read2_b64 v[5:8], v45 offset0:2 offset1:3
	ds_read2_b64 v[13:16], v45 offset0:3 offset1:4
	ds_read2_b64 v[9:12], v45 offset1:1
	ds_read2_b64 v[1:4], v45 offset0:1 offset1:2
	ds_read2_b64 v[21:24], v45 offset0:7 offset1:8
	;; [unrolled: 1-line block ×5, first 2 shown]
	s_cbranch_scc1 .LBB102_65
; %bb.61:
	s_add_u32 s10, s10, -8
	s_addc_u32 s11, s11, -1
	s_andn2_b32 vcc_lo, exec_lo, s7
	s_cbranch_vccnz .LBB102_63
; %bb.62:
	s_lshl_b64 s[0:1], s[12:13], 3
	s_add_u32 s0, s42, s0
	s_addc_u32 s1, s43, s1
	s_add_u32 s10, s0, -8
	s_addc_u32 s11, s1, -1
	s_mov_b32 s0, 0
	s_branch .LBB102_64
.LBB102_63:
	s_mov_b32 s0, -1
.LBB102_64:
	s_andn2_b32 vcc_lo, exec_lo, s0
.LBB102_65:
	s_load_dwordx2 s[0:1], s[10:11], 0x0
	v_mad_i32_i24 v33, 0xffffffa0, v0, v45
	s_waitcnt lgkmcnt(0)
	ds_write_b64 v33, v[31:32] offset:26624
	s_waitcnt lgkmcnt(0)
	s_barrier
	buffer_gl0_inv
	v_mov_b32_e32 v36, s1
	v_mov_b32_e32 v35, s0
	s_mov_b32 s0, exec_lo
	v_cmpx_ne_u32_e32 0, v0
; %bb.66:
	v_mul_i32_i24_e32 v33, 0xffffffa0, v0
	v_add_nc_u32_e32 v33, v45, v33
	ds_read_b64 v[35:36], v33 offset:26616
; %bb.67:
	s_or_b32 exec_lo, exec_lo, s0
	v_cmp_ne_u64_e32 vcc_lo, v[21:22], v[23:24]
	v_cmp_ne_u64_e64 s14, v[29:30], v[31:32]
	s_waitcnt lgkmcnt(0)
	s_barrier
	buffer_gl0_inv
	s_mov_b32 s1, -1
	v_cndmask_b32_e64 v33, 0, 1, vcc_lo
	v_cmp_ne_u64_e32 vcc_lo, v[27:28], v[29:30]
	v_lshlrev_b16 v29, 8, v33
	v_cndmask_b32_e64 v81, 0, 1, vcc_lo
	v_cmp_ne_u64_e32 vcc_lo, v[19:20], v[21:22]
	v_cndmask_b32_e64 v21, 0, 1, vcc_lo
	v_cmp_ne_u64_e32 vcc_lo, v[25:26], v[27:28]
	v_or_b32_e32 v98, v21, v29
	v_cndmask_b32_e64 v95, 0, 1, vcc_lo
	v_cmp_ne_u64_e32 vcc_lo, v[17:18], v[19:20]
	v_mov_b32_e32 v86, v98
	v_mov_b32_e32 v82, v95
	v_cndmask_b32_e64 v19, 0, 1, vcc_lo
	v_cmp_ne_u64_e32 vcc_lo, v[7:8], v[15:16]
	v_lshlrev_b16 v8, 8, v19
	v_lshlrev_b32_e32 v19, 16, v98
	v_cndmask_b32_e64 v7, 0, 1, vcc_lo
	v_cmp_ne_u64_e32 vcc_lo, v[23:24], v[25:26]
	v_lshrrev_b32_e32 v96, 24, v19
	v_lshlrev_b16 v7, 8, v7
	v_cndmask_b32_e64 v97, 0, 1, vcc_lo
	v_cmp_ne_u64_e32 vcc_lo, v[5:6], v[13:14]
	v_mov_b32_e32 v83, v96
	v_mov_b32_e32 v84, v97
	v_cndmask_b32_e64 v5, 0, 1, vcc_lo
	v_cmp_ne_u64_e32 vcc_lo, v[15:16], v[17:18]
	v_or_b32_e32 v101, v5, v7
	v_cndmask_b32_e64 v6, 0, 1, vcc_lo
	v_cmp_ne_u64_e32 vcc_lo, v[11:12], v[3:4]
	v_or_b32_sdwa v4, v8, v19 dst_sel:DWORD dst_unused:UNUSED_PAD src0_sel:WORD_0 src1_sel:DWORD
	v_lshlrev_b32_e32 v11, 16, v101
	v_mov_b32_e32 v90, v101
	v_or_b32_e32 v99, v6, v8
	v_cndmask_b32_e64 v3, 0, 1, vcc_lo
	v_cmp_ne_u64_e32 vcc_lo, v[9:10], v[1:2]
	v_mov_b32_e32 v1, s8
	v_lshrrev_b32_e32 v93, 8, v4
	v_mov_b32_e32 v2, s9
	v_lshlrev_b16 v3, 8, v3
	ds_write2st64_b64 v53, v[1:2], v[1:2] offset1:4
	ds_write2st64_b64 v53, v[1:2], v[1:2] offset0:8 offset1:12
	ds_write2st64_b64 v53, v[1:2], v[1:2] offset0:16 offset1:20
	;; [unrolled: 1-line block ×5, first 2 shown]
	ds_write_b64 v53, v[1:2] offset:24576
	v_cndmask_b32_e64 v4, 0, 1, vcc_lo
	v_or_b32_sdwa v12, v3, v11 dst_sel:DWORD dst_unused:UNUSED_PAD src0_sel:WORD_0 src1_sel:DWORD
	s_waitcnt lgkmcnt(0)
	s_barrier
	buffer_gl0_inv
	ds_read2_b64 v[27:30], v45 offset0:8 offset1:9
	ds_read2_b64 v[5:8], v45 offset0:10 offset1:11
	v_or_b32_e32 v103, v4, v3
	ds_read2_b64 v[37:40], v45 offset0:4 offset1:5
	ds_read2_b64 v[31:34], v45 offset0:6 offset1:7
	ds_read2_b64 v[1:4], v45 offset1:1
	ds_read2_b64 v[41:44], v45 offset0:2 offset1:3
	v_cmp_ne_u64_e32 vcc_lo, v[35:36], v[9:10]
	ds_read_b64 v[35:36], v45 offset:96
	v_lshrrev_b32_e32 v100, 24, v11
	v_lshrrev_b32_e32 v94, 8, v12
	v_mov_b32_e32 v88, v99
	v_mov_b32_e32 v85, v93
	v_cndmask_b32_e64 v105, 0, 1, vcc_lo
	v_mov_b32_e32 v92, v103
	v_mov_b32_e32 v91, v94
	;; [unrolled: 1-line block ×4, first 2 shown]
	s_waitcnt lgkmcnt(6)
	v_mov_b32_e32 v25, v29
	s_waitcnt lgkmcnt(5)
	v_mov_b32_e32 v78, v6
	v_mov_b32_e32 v80, v28
	s_waitcnt lgkmcnt(3)
	v_mov_b32_e32 v21, v33
	v_mov_b32_e32 v23, v31
	;; [unrolled: 1-line block ×4, first 2 shown]
	s_waitcnt lgkmcnt(1)
	v_mov_b32_e32 v13, v43
	v_mov_b32_e32 v15, v41
	;; [unrolled: 1-line block ×13, first 2 shown]
.LBB102_68:
	v_mov_b32_e32 v11, 0
	v_mov_b32_e32 v12, 0
	v_mov_b32_e32 v55, 0
	s_and_saveexec_b32 s0, s1
	s_cbranch_execz .LBB102_70
; %bb.69:
	v_mov_b32_e32 v10, v4
	v_mov_b32_e32 v15, v41
	;; [unrolled: 1-line block ×10, first 2 shown]
	s_waitcnt lgkmcnt(0)
	v_mov_b32_e32 v11, v35
	v_cndmask_b32_e64 v55, 0, 1, s14
	v_mov_b32_e32 v87, v105
	v_mov_b32_e32 v9, v3
	v_mov_b32_e32 v16, v42
	v_mov_b32_e32 v14, v44
	v_mov_b32_e32 v20, v38
	v_mov_b32_e32 v18, v40
	v_mov_b32_e32 v24, v32
	v_mov_b32_e32 v22, v34
	v_mov_b32_e32 v79, v27
	v_mov_b32_e32 v26, v30
	v_mov_b32_e32 v84, v97
	v_mov_b32_e32 v77, v5
	v_mov_b32_e32 v82, v95
	v_mov_b32_e32 v12, v36
	v_mov_b32_e32 v92, v103
	v_mov_b32_e32 v91, v94
	v_mov_b32_e32 v90, v101
	v_mov_b32_e32 v89, v100
	v_mov_b32_e32 v88, v99
	v_mov_b32_e32 v85, v93
	v_mov_b32_e32 v86, v98
	v_mov_b32_e32 v83, v96
.LBB102_70:
	s_or_b32 exec_lo, exec_lo, s0
	v_and_b32_e32 v61, 1, v88
	v_and_b32_e32 v62, 1, v83
	;; [unrolled: 1-line block ×5, first 2 shown]
	v_or_b32_e32 v57, v89, v90
	v_or_b32_e32 v56, v86, v85
	v_or_b32_e32 v58, v82, v84
	v_cmp_eq_u32_e64 s18, 1, v61
	v_cmp_eq_u32_e64 s16, 1, v62
	;; [unrolled: 1-line block ×3, first 2 shown]
	v_cmp_eq_u16_e64 s0, 0, v55
	v_cmp_eq_u32_e64 s15, 1, v59
	v_mbcnt_lo_u32_b32 v54, -1, 0
	s_cmp_lg_u32 s6, 0
	v_cmp_eq_u32_e32 vcc_lo, 1, v63
	s_waitcnt lgkmcnt(0)
	s_barrier
	buffer_gl0_inv
	s_cbranch_scc0 .LBB102_128
; %bb.71:
	v_mov_b32_e32 v3, 0
	v_or_b32_e32 v6, v92, v87
	v_cmp_eq_u16_sdwa s13, v92, v3 src0_sel:BYTE_0 src1_sel:DWORD
	v_cmp_eq_u16_sdwa s14, v91, v3 src0_sel:BYTE_0 src1_sel:DWORD
	;; [unrolled: 1-line block ×5, first 2 shown]
	v_cndmask_b32_e64 v5, 0, v1, s13
	v_cndmask_b32_e64 v4, 0, v2, s13
	v_cmp_eq_u16_sdwa s9, v85, v3 src0_sel:BYTE_0 src1_sel:DWORD
	v_cmp_eq_u16_sdwa s8, v86, v3 src0_sel:BYTE_0 src1_sel:DWORD
	;; [unrolled: 1-line block ×3, first 2 shown]
	v_add_co_u32 v5, s1, v5, v9
	v_add_co_ci_u32_e64 v4, null, v4, v10, s1
	v_cmp_eq_u16_sdwa s2, v84, v3 src0_sel:BYTE_0 src1_sel:DWORD
	v_cndmask_b32_e64 v5, 0, v5, s14
	v_cmp_ne_u16_sdwa s37, v58, v3 src0_sel:BYTE_0 src1_sel:DWORD
	v_cndmask_b32_e64 v4, 0, v4, s14
	v_cmp_ne_u16_sdwa s19, v6, v3 src0_sel:BYTE_0 src1_sel:DWORD
	v_cmp_ne_u16_sdwa s36, v57, v3 src0_sel:BYTE_0 src1_sel:DWORD
	v_add_co_u32 v5, s1, v5, v15
	v_add_co_ci_u32_e64 v4, null, v4, v16, s1
	v_cmp_ne_u16_sdwa s40, v56, v3 src0_sel:BYTE_0 src1_sel:DWORD
	v_cndmask_b32_e64 v5, 0, v5, s12
	s_or_b32 s17, s37, s17
	v_cndmask_b32_e64 v4, 0, v4, s12
	s_or_b32 s17, s15, s17
	s_or_b32 s16, s40, s16
	v_add_co_u32 v5, s1, v5, v13
	v_add_co_ci_u32_e64 v4, null, v4, v14, s1
	s_or_b32 s18, s36, s18
	v_cndmask_b32_e64 v5, 0, v5, s11
	v_cndmask_b32_e64 v4, 0, v4, s11
	v_add_co_u32 v5, s1, v5, v19
	v_add_co_ci_u32_e64 v4, null, v4, v20, s1
	v_cndmask_b32_e64 v5, 0, v5, s10
	v_cndmask_b32_e64 v4, 0, v4, s10
	v_add_co_u32 v5, s1, v5, v17
	v_add_co_ci_u32_e64 v4, null, v4, v18, s1
	;; [unrolled: 4-line block ×6, first 2 shown]
	v_cmp_eq_u16_sdwa s1, v82, v3 src0_sel:BYTE_0 src1_sel:DWORD
	v_cndmask_b32_e64 v5, 0, v5, s1
	v_cndmask_b32_e64 v4, 0, v4, s1
	v_add_co_u32 v5, s3, v5, v77
	v_add_co_ci_u32_e64 v4, null, v4, v78, s3
	v_cmp_eq_u16_sdwa s3, v81, v3 src0_sel:BYTE_0 src1_sel:DWORD
	v_cndmask_b32_e64 v3, 0, v4, s3
	v_cndmask_b32_e64 v4, 0, v5, s3
	v_add_co_u32 v4, s15, v4, v7
	v_add_co_ci_u32_e64 v3, null, v3, v8, s15
	s_or_b32 s15, s17, s16
	v_cndmask_b32_e64 v4, 0, v4, s0
	s_or_b32 s16, s19, vcc_lo
	v_cndmask_b32_e64 v6, 0, v3, s0
	s_or_b32 s15, s15, s18
	s_or_b32 s15, s15, s16
	v_add_co_u32 v5, vcc_lo, v4, v11
	v_cndmask_b32_e64 v3, 0, 1, s15
	v_add_co_ci_u32_e64 v6, null, v6, v12, vcc_lo
	v_and_b32_e32 v4, 15, v54
	v_mov_b32_dpp v28, v5 row_shr:1 row_mask:0xf bank_mask:0xf
	v_mov_b32_dpp v27, v3 row_shr:1 row_mask:0xf bank_mask:0xf
	;; [unrolled: 1-line block ×3, first 2 shown]
	s_mov_b32 s16, exec_lo
	v_cmpx_ne_u32_e32 0, v4
; %bb.72:
	v_cndmask_b32_e64 v28, v28, 0, s15
	v_cndmask_b32_e64 v29, v29, 0, s15
	v_and_or_b32 v3, v27, 1, v3
	v_add_co_u32 v5, vcc_lo, v28, v5
	v_add_co_ci_u32_e64 v6, null, v29, v6, vcc_lo
; %bb.73:
	s_or_b32 exec_lo, exec_lo, s16
	v_mov_b32_dpp v28, v5 row_shr:2 row_mask:0xf bank_mask:0xf
	v_mov_b32_dpp v29, v6 row_shr:2 row_mask:0xf bank_mask:0xf
	v_mov_b32_dpp v27, v3 row_shr:2 row_mask:0xf bank_mask:0xf
	s_mov_b32 s15, exec_lo
	v_cmpx_lt_u32_e32 1, v4
	s_cbranch_execz .LBB102_75
; %bb.74:
	v_cmp_eq_u16_e32 vcc_lo, 0, v3
	v_or_b32_e32 v3, v27, v3
	v_cndmask_b32_e32 v28, 0, v28, vcc_lo
	v_cndmask_b32_e32 v29, 0, v29, vcc_lo
	v_and_b32_e32 v3, 1, v3
	v_add_co_u32 v5, vcc_lo, v28, v5
	v_add_co_ci_u32_e64 v6, null, v29, v6, vcc_lo
.LBB102_75:
	s_or_b32 exec_lo, exec_lo, s15
	v_mov_b32_dpp v28, v5 row_shr:4 row_mask:0xf bank_mask:0xf
	v_mov_b32_dpp v29, v6 row_shr:4 row_mask:0xf bank_mask:0xf
	v_mov_b32_dpp v27, v3 row_shr:4 row_mask:0xf bank_mask:0xf
	s_mov_b32 s15, exec_lo
	v_cmpx_lt_u32_e32 3, v4
	s_cbranch_execz .LBB102_77
; %bb.76:
	v_cmp_eq_u16_e32 vcc_lo, 0, v3
	v_or_b32_e32 v3, v27, v3
	v_cndmask_b32_e32 v28, 0, v28, vcc_lo
	v_cndmask_b32_e32 v29, 0, v29, vcc_lo
	v_and_b32_e32 v3, 1, v3
	v_add_co_u32 v5, vcc_lo, v28, v5
	v_add_co_ci_u32_e64 v6, null, v29, v6, vcc_lo
.LBB102_77:
	;; [unrolled: 16-line block ×3, first 2 shown]
	s_or_b32 exec_lo, exec_lo, s15
	ds_swizzle_b32 v4, v5 offset:swizzle(BROADCAST,32,15)
	ds_swizzle_b32 v28, v6 offset:swizzle(BROADCAST,32,15)
	;; [unrolled: 1-line block ×3, first 2 shown]
	v_and_b32_e32 v27, 16, v54
	v_cmp_ne_u32_e32 vcc_lo, 0, v27
	v_mov_b32_e32 v27, v3
	s_and_saveexec_b32 s17, vcc_lo
	s_cbranch_execz .LBB102_81
; %bb.80:
	v_cmp_eq_u16_e32 vcc_lo, 0, v3
	v_and_b32_e32 v3, 1, v3
	s_waitcnt lgkmcnt(0)
	v_and_b32_e32 v27, 1, v29
	v_cndmask_b32_e32 v28, 0, v28, vcc_lo
	v_cndmask_b32_e32 v4, 0, v4, vcc_lo
	v_cmp_eq_u32_e32 vcc_lo, 1, v3
	v_cmp_eq_u32_e64 s15, 1, v27
	v_add_co_u32 v5, s16, v4, v5
	s_or_b32 s15, vcc_lo, s15
	v_add_co_ci_u32_e64 v6, null, v28, v6, s16
	v_cndmask_b32_e64 v3, 0, 1, s15
	v_cndmask_b32_e64 v27, 0, 1, s15
.LBB102_81:
	s_or_b32 exec_lo, exec_lo, s17
	s_waitcnt lgkmcnt(1)
	v_lshrrev_b32_e32 v28, 5, v0
	v_or_b32_e32 v4, 31, v0
	s_mov_b32 s15, exec_lo
	v_lshlrev_b32_e32 v28, 4, v28
	v_cmpx_eq_u32_e64 v0, v4
	s_cbranch_execz .LBB102_83
; %bb.82:
	ds_write_b64 v28, v[5:6]
	ds_write_b8 v28, v3 offset:8
.LBB102_83:
	s_or_b32 exec_lo, exec_lo, s15
	s_mov_b32 s17, exec_lo
	s_waitcnt lgkmcnt(0)
	s_barrier
	buffer_gl0_inv
	v_cmpx_gt_u32_e32 8, v0
	s_cbranch_execz .LBB102_91
; %bb.84:
	v_lshlrev_b32_e32 v29, 4, v0
	v_and_b32_e32 v30, 7, v54
	s_mov_b32 s15, exec_lo
	ds_read_b64 v[3:4], v29
	ds_read_b32 v34, v29 offset:8
	s_waitcnt lgkmcnt(1)
	v_mov_b32_dpp v35, v3 row_shr:1 row_mask:0xf bank_mask:0xf
	v_mov_b32_dpp v36, v4 row_shr:1 row_mask:0xf bank_mask:0xf
	s_waitcnt lgkmcnt(0)
	v_and_b32_e32 v32, 0xffffff00, v34
	v_mov_b32_dpp v37, v34 row_shr:1 row_mask:0xf bank_mask:0xf
	v_mov_b32_e32 v33, v34
	v_mov_b32_e32 v31, v34
	v_cmpx_ne_u32_e32 0, v30
	s_cbranch_execz .LBB102_86
; %bb.85:
	v_mov_b32_e32 v31, 0
	v_cmp_eq_u16_sdwa vcc_lo, v34, v31 src0_sel:BYTE_0 src1_sel:DWORD
	v_or_b32_e32 v31, v37, v34
	v_cndmask_b32_e32 v35, 0, v35, vcc_lo
	v_cndmask_b32_e32 v34, 0, v36, vcc_lo
	v_and_b32_e32 v33, 1, v31
	v_and_b32_e32 v31, 1, v31
	v_add_co_u32 v3, vcc_lo, v35, v3
	v_add_co_ci_u32_e64 v4, null, v34, v4, vcc_lo
	v_or_b32_e32 v34, v31, v32
.LBB102_86:
	s_or_b32 exec_lo, exec_lo, s15
	v_mov_b32_dpp v35, v3 row_shr:2 row_mask:0xf bank_mask:0xf
	v_mov_b32_dpp v36, v4 row_shr:2 row_mask:0xf bank_mask:0xf
	;; [unrolled: 1-line block ×3, first 2 shown]
	s_mov_b32 s18, exec_lo
	v_cmpx_lt_u32_e32 1, v30
	s_cbranch_execz .LBB102_88
; %bb.87:
	v_mov_b32_e32 v33, 0
	v_and_b32_e32 v34, 1, v31
	v_and_b32_e32 v37, 1, v37
	v_cmp_eq_u16_sdwa vcc_lo, v31, v33 src0_sel:BYTE_0 src1_sel:DWORD
	v_cmp_eq_u32_e64 s15, 1, v34
	v_cmp_eq_u32_e64 s16, 1, v37
	v_cndmask_b32_e32 v34, 0, v35, vcc_lo
	v_cndmask_b32_e32 v31, 0, v36, vcc_lo
	s_or_b32 s15, s15, s16
	v_cndmask_b32_e64 v33, 0, 1, s15
	v_cndmask_b32_e64 v35, 0, 1, s15
	v_add_co_u32 v3, vcc_lo, v34, v3
	v_add_co_ci_u32_e64 v4, null, v31, v4, vcc_lo
	v_or_b32_e32 v34, v32, v35
	v_mov_b32_e32 v31, v33
.LBB102_88:
	s_or_b32 exec_lo, exec_lo, s18
	v_mov_b32_dpp v32, v3 row_shr:4 row_mask:0xf bank_mask:0xf
	v_mov_b32_dpp v35, v4 row_shr:4 row_mask:0xf bank_mask:0xf
	;; [unrolled: 1-line block ×3, first 2 shown]
	s_mov_b32 s18, exec_lo
	v_cmpx_lt_u32_e32 3, v30
	s_cbranch_execz .LBB102_90
; %bb.89:
	v_mov_b32_e32 v30, 0
	v_cmp_eq_u16_sdwa vcc_lo, v31, v30 src0_sel:BYTE_0 src1_sel:DWORD
	v_and_b32_e32 v30, 1, v31
	v_and_b32_e32 v31, 1, v34
	v_cndmask_b32_e32 v33, 0, v35, vcc_lo
	v_cndmask_b32_e32 v32, 0, v32, vcc_lo
	v_cmp_eq_u32_e32 vcc_lo, 1, v30
	v_cmp_eq_u32_e64 s15, 1, v31
	v_add_co_u32 v3, s16, v32, v3
	s_or_b32 s15, vcc_lo, s15
	v_add_co_ci_u32_e64 v4, null, v33, v4, s16
	v_cndmask_b32_e64 v33, 0, 1, s15
.LBB102_90:
	s_or_b32 exec_lo, exec_lo, s18
	ds_write_b64 v29, v[3:4]
	ds_write_b8 v29, v33 offset:8
.LBB102_91:
	s_or_b32 exec_lo, exec_lo, s17
	v_mov_b32_e32 v3, 0
	v_mov_b32_e32 v4, 0
	v_mov_b32_e32 v33, 0
	s_mov_b32 s16, exec_lo
	v_cmp_gt_u32_e32 vcc_lo, 32, v0
	s_waitcnt lgkmcnt(0)
	s_barrier
	buffer_gl0_inv
	v_cmpx_lt_u32_e32 31, v0
	s_cbranch_execz .LBB102_93
; %bb.92:
	v_add_nc_u32_e32 v3, -16, v28
	v_add_nc_u32_e32 v28, -8, v28
	v_cmp_eq_u32_e64 s15, 0, v27
	ds_read_b64 v[3:4], v3
	ds_read_u8 v28, v28
	s_waitcnt lgkmcnt(1)
	v_cndmask_b32_e64 v30, 0, v3, s15
	v_cndmask_b32_e64 v29, 0, v4, s15
	s_waitcnt lgkmcnt(0)
	v_or_b32_e32 v27, v28, v27
	v_and_b32_e32 v33, 1, v28
	v_add_co_u32 v5, s15, v30, v5
	v_add_co_ci_u32_e64 v6, null, v29, v6, s15
	v_and_b32_e32 v27, 1, v27
.LBB102_93:
	s_or_b32 exec_lo, exec_lo, s16
	v_sub_co_u32 v28, s15, v54, 1
	v_cmp_gt_i32_e64 s16, 0, v28
	v_cndmask_b32_e64 v28, v28, v54, s16
	v_lshlrev_b32_e32 v28, 2, v28
	ds_bpermute_b32 v34, v28, v5
	ds_bpermute_b32 v35, v28, v6
	;; [unrolled: 1-line block ×3, first 2 shown]
	s_and_saveexec_b32 s18, vcc_lo
	s_cbranch_execz .LBB102_133
; %bb.94:
	v_mov_b32_e32 v29, 0
	ds_read_b64 v[5:6], v29 offset:112
	ds_read_u8 v37, v29 offset:120
	s_and_saveexec_b32 s16, s15
	s_cbranch_execz .LBB102_96
; %bb.95:
	s_add_i32 s36, s6, 32
	s_mov_b32 s37, 0
	v_mov_b32_e32 v27, 1
	s_lshl_b64 s[40:41], s[36:37], 4
	v_mov_b32_e32 v28, s36
	s_add_u32 s40, s20, s40
	s_addc_u32 s41, s21, s41
	s_waitcnt lgkmcnt(1)
	global_store_dwordx2 v29, v[5:6], s[40:41]
	s_waitcnt lgkmcnt(0)
	global_store_byte v29, v37, s[40:41] offset:8
	s_waitcnt_vscnt null, 0x0
	buffer_gl1_inv
	buffer_gl0_inv
	global_store_byte v28, v27, s[24:25]
.LBB102_96:
	s_or_b32 exec_lo, exec_lo, s16
	v_xad_u32 v27, v54, -1, s6
	s_mov_b32 s17, 0
	s_mov_b32 s16, exec_lo
	v_add_nc_u32_e32 v28, 32, v27
	global_load_ubyte v38, v28, s[24:25] glc dlc
	s_waitcnt vmcnt(0)
	v_cmpx_eq_u16_e32 0, v38
	s_cbranch_execz .LBB102_100
; %bb.97:
	v_add_co_u32 v30, s19, s24, v28
	v_add_co_ci_u32_e64 v31, null, s25, 0, s19
.LBB102_98:                             ; =>This Inner Loop Header: Depth=1
	global_load_ubyte v38, v[30:31], off glc dlc
	s_waitcnt vmcnt(0)
	v_cmp_ne_u16_e32 vcc_lo, 0, v38
	s_or_b32 s17, vcc_lo, s17
	s_andn2_b32 exec_lo, exec_lo, s17
	s_cbranch_execnz .LBB102_98
; %bb.99:
	s_or_b32 exec_lo, exec_lo, s17
.LBB102_100:
	s_or_b32 exec_lo, exec_lo, s16
	v_cmp_eq_u16_e32 vcc_lo, 1, v38
	v_mov_b32_e32 v31, s20
	v_mov_b32_e32 v30, s21
	v_lshlrev_b64 v[28:29], 4, v[28:29]
	s_waitcnt lgkmcnt(0)
	s_waitcnt_vscnt null, 0x0
	buffer_gl1_inv
	buffer_gl0_inv
	v_lshlrev_b32_e64 v40, v54, -1
	v_cndmask_b32_e32 v31, s22, v31, vcc_lo
	v_cndmask_b32_e32 v30, s23, v30, vcc_lo
	s_mov_b32 s16, exec_lo
	v_add_co_u32 v28, vcc_lo, v31, v28
	v_add_co_ci_u32_e64 v29, null, v30, v29, vcc_lo
	v_cmp_ne_u32_e32 vcc_lo, 31, v54
	s_clause 0x1
	global_load_ubyte v51, v[28:29], off offset:8
	global_load_dwordx2 v[31:32], v[28:29], off
	v_add_co_ci_u32_e64 v28, null, 0, v54, vcc_lo
	v_cmp_eq_u16_e32 vcc_lo, 2, v38
	v_lshlrev_b32_e32 v39, 2, v28
	v_and_or_b32 v28, vcc_lo, v40, 0x80000000
	v_ffbl_b32_e32 v28, v28
	s_waitcnt vmcnt(1)
	v_and_b32_e32 v29, 1, v51
	s_waitcnt vmcnt(0)
	ds_bpermute_b32 v30, v39, v31
	ds_bpermute_b32 v41, v39, v32
	;; [unrolled: 1-line block ×3, first 2 shown]
	v_cmpx_lt_u32_e64 v54, v28
	s_cbranch_execz .LBB102_102
; %bb.101:
	v_mov_b32_e32 v29, 0
	v_cmp_eq_u16_sdwa vcc_lo, v51, v29 src0_sel:BYTE_0 src1_sel:DWORD
	s_waitcnt lgkmcnt(0)
	v_and_b32_e32 v29, 1, v42
	v_cndmask_b32_e32 v30, 0, v30, vcc_lo
	v_cndmask_b32_e32 v41, 0, v41, vcc_lo
	v_or_b32_e32 v51, v29, v51
	v_add_co_u32 v31, vcc_lo, v30, v31
	v_add_co_ci_u32_e64 v32, null, v41, v32, vcc_lo
	v_and_b32_e32 v29, 0xff, v51
.LBB102_102:
	s_or_b32 exec_lo, exec_lo, s16
	v_cmp_gt_u32_e32 vcc_lo, 30, v54
	s_waitcnt lgkmcnt(0)
	v_add_nc_u32_e32 v42, 2, v54
	s_mov_b32 s19, exec_lo
	v_cndmask_b32_e64 v30, 0, 2, vcc_lo
	v_add_lshl_u32 v41, v30, v54, 2
	ds_bpermute_b32 v30, v41, v31
	ds_bpermute_b32 v43, v41, v32
	ds_bpermute_b32 v44, v41, v29
	v_cmpx_le_u32_e64 v42, v28
	s_cbranch_execz .LBB102_104
; %bb.103:
	v_mov_b32_e32 v29, 0
	v_and_b32_e32 v45, 1, v51
	s_waitcnt lgkmcnt(0)
	v_and_b32_e32 v44, 1, v44
	v_cmp_eq_u16_sdwa vcc_lo, v51, v29 src0_sel:BYTE_0 src1_sel:DWORD
	v_cmp_eq_u32_e64 s16, 1, v45
	v_cmp_eq_u32_e64 s17, 1, v44
	v_cndmask_b32_e32 v30, 0, v30, vcc_lo
	v_cndmask_b32_e32 v29, 0, v43, vcc_lo
	s_or_b32 s16, s16, s17
	v_cndmask_b32_e64 v51, 0, 1, s16
	v_add_co_u32 v31, vcc_lo, v30, v31
	v_add_co_ci_u32_e64 v32, null, v29, v32, vcc_lo
	v_cndmask_b32_e64 v29, 0, 1, s16
.LBB102_104:
	s_or_b32 exec_lo, exec_lo, s19
	v_cmp_gt_u32_e32 vcc_lo, 28, v54
	s_waitcnt lgkmcnt(0)
	v_add_nc_u32_e32 v44, 4, v54
	s_mov_b32 s19, exec_lo
	v_cndmask_b32_e64 v30, 0, 4, vcc_lo
	v_add_lshl_u32 v43, v30, v54, 2
	ds_bpermute_b32 v30, v43, v31
	ds_bpermute_b32 v45, v43, v32
	ds_bpermute_b32 v46, v43, v29
	v_cmpx_le_u32_e64 v44, v28
	s_cbranch_execz .LBB102_106
; %bb.105:
	v_mov_b32_e32 v29, 0
	v_and_b32_e32 v47, 1, v51
	s_waitcnt lgkmcnt(0)
	v_and_b32_e32 v46, 1, v46
	v_cmp_eq_u16_sdwa vcc_lo, v51, v29 src0_sel:BYTE_0 src1_sel:DWORD
	v_cmp_eq_u32_e64 s16, 1, v47
	v_cmp_eq_u32_e64 s17, 1, v46
	v_cndmask_b32_e32 v30, 0, v30, vcc_lo
	v_cndmask_b32_e32 v29, 0, v45, vcc_lo
	s_or_b32 s16, s16, s17
	v_cndmask_b32_e64 v51, 0, 1, s16
	v_add_co_u32 v31, vcc_lo, v30, v31
	v_add_co_ci_u32_e64 v32, null, v29, v32, vcc_lo
	v_cndmask_b32_e64 v29, 0, 1, s16
.LBB102_106:
	;; [unrolled: 28-line block ×3, first 2 shown]
	s_or_b32 exec_lo, exec_lo, s19
	s_waitcnt lgkmcnt(0)
	v_lshl_or_b32 v48, v54, 2, 64
	v_add_nc_u32_e32 v49, 16, v54
	s_mov_b32 s19, exec_lo
	ds_bpermute_b32 v30, v48, v31
	ds_bpermute_b32 v47, v48, v32
	;; [unrolled: 1-line block ×3, first 2 shown]
	v_cmpx_le_u32_e64 v49, v28
	s_cbranch_execz .LBB102_110
; %bb.109:
	v_mov_b32_e32 v28, 0
	s_waitcnt lgkmcnt(0)
	v_and_b32_e32 v29, 1, v29
	v_cmp_eq_u16_sdwa vcc_lo, v51, v28 src0_sel:BYTE_0 src1_sel:DWORD
	v_and_b32_e32 v28, 1, v51
	v_cmp_eq_u32_e64 s16, 1, v29
	v_cndmask_b32_e32 v47, 0, v47, vcc_lo
	v_cndmask_b32_e32 v30, 0, v30, vcc_lo
	v_cmp_eq_u32_e32 vcc_lo, 1, v28
	v_add_co_u32 v31, s17, v30, v31
	s_or_b32 s16, vcc_lo, s16
	v_add_co_ci_u32_e64 v32, null, v47, v32, s17
	v_cndmask_b32_e64 v51, 0, 1, s16
.LBB102_110:
	s_or_b32 exec_lo, exec_lo, s19
	v_mov_b32_e32 v28, 0
	v_mov_b32_e32 v50, 2
	s_branch .LBB102_113
.LBB102_111:                            ;   in Loop: Header=BB102_113 Depth=1
	s_or_b32 exec_lo, exec_lo, s36
	v_cmp_eq_u16_sdwa vcc_lo, v47, v28 src0_sel:BYTE_0 src1_sel:DWORD
	v_and_b32_e32 v51, 1, v47
	v_subrev_nc_u32_e32 v27, 32, v27
	v_cndmask_b32_e32 v31, 0, v31, vcc_lo
	v_cndmask_b32_e32 v32, 0, v32, vcc_lo
	v_cmp_eq_u32_e32 vcc_lo, 1, v51
	v_add_co_u32 v31, s16, v31, v29
	v_add_co_ci_u32_e64 v32, null, v32, v30, s16
	s_or_b32 s16, vcc_lo, s19
	v_cndmask_b32_e64 v51, 0, 1, s16
	s_mov_b32 s16, 0
.LBB102_112:                            ;   in Loop: Header=BB102_113 Depth=1
	s_and_b32 vcc_lo, exec_lo, s16
	s_cbranch_vccnz .LBB102_129
.LBB102_113:                            ; =>This Loop Header: Depth=1
                                        ;     Child Loop BB102_116 Depth 2
	v_cmp_ne_u16_sdwa s16, v38, v50 src0_sel:BYTE_0 src1_sel:DWORD
	s_waitcnt lgkmcnt(0)
	v_mov_b32_e32 v29, v31
	v_mov_b32_e32 v47, v51
	v_mov_b32_e32 v30, v32
                                        ; implicit-def: $vgpr51
                                        ; implicit-def: $vgpr31_vgpr32
                                        ; implicit-def: $vgpr38
	s_cmp_lg_u32 s16, exec_lo
	s_mov_b32 s16, -1
	s_cbranch_scc1 .LBB102_112
; %bb.114:                              ;   in Loop: Header=BB102_113 Depth=1
	global_load_ubyte v38, v27, s[24:25] glc dlc
	s_mov_b32 s16, exec_lo
	s_waitcnt vmcnt(0)
	v_cmpx_eq_u16_e32 0, v38
	s_cbranch_execz .LBB102_118
; %bb.115:                              ;   in Loop: Header=BB102_113 Depth=1
	v_add_co_u32 v31, s17, s24, v27
	v_add_co_ci_u32_e64 v32, null, s25, 0, s17
	s_mov_b32 s17, 0
.LBB102_116:                            ;   Parent Loop BB102_113 Depth=1
                                        ; =>  This Inner Loop Header: Depth=2
	global_load_ubyte v38, v[31:32], off glc dlc
	s_waitcnt vmcnt(0)
	v_cmp_ne_u16_e32 vcc_lo, 0, v38
	s_or_b32 s17, vcc_lo, s17
	s_andn2_b32 exec_lo, exec_lo, s17
	s_cbranch_execnz .LBB102_116
; %bb.117:                              ;   in Loop: Header=BB102_113 Depth=1
	s_or_b32 exec_lo, exec_lo, s17
.LBB102_118:                            ;   in Loop: Header=BB102_113 Depth=1
	s_or_b32 exec_lo, exec_lo, s16
	v_cmp_eq_u16_e32 vcc_lo, 1, v38
	v_mov_b32_e32 v52, s20
	v_mov_b32_e32 v51, s21
	v_lshlrev_b64 v[31:32], 4, v[27:28]
	buffer_gl1_inv
	buffer_gl0_inv
	s_mov_b32 s16, exec_lo
	v_cndmask_b32_e32 v52, s22, v52, vcc_lo
	v_cndmask_b32_e32 v51, s23, v51, vcc_lo
	v_add_co_u32 v31, vcc_lo, v52, v31
	v_add_co_ci_u32_e64 v32, null, v51, v32, vcc_lo
	v_cmp_eq_u16_e32 vcc_lo, 2, v38
	s_clause 0x1
	global_load_ubyte v52, v[31:32], off offset:8
	global_load_dwordx2 v[31:32], v[31:32], off
	v_and_or_b32 v51, vcc_lo, v40, 0x80000000
	v_ffbl_b32_e32 v51, v51
	s_waitcnt vmcnt(1)
	v_and_b32_e32 v64, 1, v52
	s_waitcnt vmcnt(0)
	ds_bpermute_b32 v65, v39, v31
	ds_bpermute_b32 v66, v39, v32
	;; [unrolled: 1-line block ×3, first 2 shown]
	v_cmpx_lt_u32_e64 v54, v51
	s_cbranch_execz .LBB102_120
; %bb.119:                              ;   in Loop: Header=BB102_113 Depth=1
	v_cmp_eq_u16_sdwa vcc_lo, v52, v28 src0_sel:BYTE_0 src1_sel:DWORD
	s_waitcnt lgkmcnt(0)
	v_and_b32_e32 v64, 1, v67
	v_cndmask_b32_e32 v65, 0, v65, vcc_lo
	v_cndmask_b32_e32 v66, 0, v66, vcc_lo
	v_or_b32_e32 v52, v64, v52
	v_add_co_u32 v31, vcc_lo, v65, v31
	v_add_co_ci_u32_e64 v32, null, v66, v32, vcc_lo
	v_and_b32_e32 v64, 0xff, v52
.LBB102_120:                            ;   in Loop: Header=BB102_113 Depth=1
	s_or_b32 exec_lo, exec_lo, s16
	s_waitcnt lgkmcnt(2)
	ds_bpermute_b32 v65, v41, v31
	s_waitcnt lgkmcnt(2)
	ds_bpermute_b32 v66, v41, v32
	s_waitcnt lgkmcnt(2)
	ds_bpermute_b32 v67, v41, v64
	v_and_b32_e32 v68, 1, v52
	s_mov_b32 s17, exec_lo
	v_cmp_eq_u32_e64 s19, 1, v68
	v_cmpx_le_u32_e64 v42, v51
	s_cbranch_execz .LBB102_122
; %bb.121:                              ;   in Loop: Header=BB102_113 Depth=1
	v_cmp_eq_u16_sdwa vcc_lo, v52, v28 src0_sel:BYTE_0 src1_sel:DWORD
	s_waitcnt lgkmcnt(0)
	v_and_b32_e32 v52, 1, v67
	v_cndmask_b32_e32 v65, 0, v65, vcc_lo
	v_cndmask_b32_e32 v64, 0, v66, vcc_lo
	v_cmp_eq_u32_e32 vcc_lo, 1, v52
	v_add_co_u32 v31, s16, v65, v31
	v_add_co_ci_u32_e64 v32, null, v64, v32, s16
	s_or_b32 s16, s19, vcc_lo
	s_andn2_b32 s19, s19, exec_lo
	v_cndmask_b32_e64 v52, 0, 1, s16
	v_cndmask_b32_e64 v64, 0, 1, s16
	s_and_b32 s16, s16, exec_lo
	s_or_b32 s19, s19, s16
.LBB102_122:                            ;   in Loop: Header=BB102_113 Depth=1
	s_or_b32 exec_lo, exec_lo, s17
	s_waitcnt lgkmcnt(2)
	ds_bpermute_b32 v65, v43, v31
	s_waitcnt lgkmcnt(2)
	ds_bpermute_b32 v66, v43, v32
	;; [unrolled: 2-line block ×3, first 2 shown]
	s_mov_b32 s36, exec_lo
	v_cmpx_le_u32_e64 v44, v51
	s_cbranch_execz .LBB102_124
; %bb.123:                              ;   in Loop: Header=BB102_113 Depth=1
	v_cmp_eq_u16_sdwa vcc_lo, v52, v28 src0_sel:BYTE_0 src1_sel:DWORD
	v_and_b32_e32 v52, 1, v52
	s_waitcnt lgkmcnt(0)
	v_and_b32_e32 v64, 1, v67
	v_cndmask_b32_e32 v66, 0, v66, vcc_lo
	v_cndmask_b32_e32 v65, 0, v65, vcc_lo
	v_cmp_eq_u32_e32 vcc_lo, 1, v52
	v_cmp_eq_u32_e64 s16, 1, v64
	v_add_co_u32 v31, s17, v65, v31
	s_or_b32 s16, vcc_lo, s16
	v_add_co_ci_u32_e64 v32, null, v66, v32, s17
	v_cndmask_b32_e64 v52, 0, 1, s16
	v_cndmask_b32_e64 v64, 0, 1, s16
	s_andn2_b32 s17, s19, exec_lo
	s_and_b32 s16, s16, exec_lo
	s_or_b32 s19, s17, s16
.LBB102_124:                            ;   in Loop: Header=BB102_113 Depth=1
	s_or_b32 exec_lo, exec_lo, s36
	s_waitcnt lgkmcnt(2)
	ds_bpermute_b32 v65, v45, v31
	s_waitcnt lgkmcnt(2)
	ds_bpermute_b32 v66, v45, v32
	;; [unrolled: 2-line block ×3, first 2 shown]
	s_mov_b32 s36, exec_lo
	v_cmpx_le_u32_e64 v46, v51
	s_cbranch_execz .LBB102_126
; %bb.125:                              ;   in Loop: Header=BB102_113 Depth=1
	v_cmp_eq_u16_sdwa vcc_lo, v52, v28 src0_sel:BYTE_0 src1_sel:DWORD
	v_and_b32_e32 v52, 1, v52
	s_waitcnt lgkmcnt(0)
	v_and_b32_e32 v64, 1, v67
	v_cndmask_b32_e32 v66, 0, v66, vcc_lo
	v_cndmask_b32_e32 v65, 0, v65, vcc_lo
	v_cmp_eq_u32_e32 vcc_lo, 1, v52
	v_cmp_eq_u32_e64 s16, 1, v64
	v_add_co_u32 v31, s17, v65, v31
	s_or_b32 s16, vcc_lo, s16
	v_add_co_ci_u32_e64 v32, null, v66, v32, s17
	v_cndmask_b32_e64 v52, 0, 1, s16
	v_cndmask_b32_e64 v64, 0, 1, s16
	s_andn2_b32 s17, s19, exec_lo
	s_and_b32 s16, s16, exec_lo
	s_or_b32 s19, s17, s16
.LBB102_126:                            ;   in Loop: Header=BB102_113 Depth=1
	s_or_b32 exec_lo, exec_lo, s36
	s_waitcnt lgkmcnt(2)
	ds_bpermute_b32 v65, v48, v31
	s_waitcnt lgkmcnt(2)
	ds_bpermute_b32 v66, v48, v32
	ds_bpermute_b32 v64, v48, v64
	s_mov_b32 s36, exec_lo
	v_cmpx_le_u32_e64 v49, v51
	s_cbranch_execz .LBB102_111
; %bb.127:                              ;   in Loop: Header=BB102_113 Depth=1
	v_cmp_eq_u16_sdwa vcc_lo, v52, v28 src0_sel:BYTE_0 src1_sel:DWORD
	v_and_b32_e32 v51, 1, v52
	s_waitcnt lgkmcnt(0)
	v_and_b32_e32 v52, 1, v64
	v_cndmask_b32_e32 v65, 0, v65, vcc_lo
	v_cndmask_b32_e32 v64, 0, v66, vcc_lo
	v_cmp_eq_u32_e32 vcc_lo, 1, v51
	v_cmp_eq_u32_e64 s16, 1, v52
	v_add_co_u32 v31, s17, v65, v31
	v_add_co_ci_u32_e64 v32, null, v64, v32, s17
	s_or_b32 s16, vcc_lo, s16
	s_andn2_b32 s17, s19, exec_lo
	s_and_b32 s16, s16, exec_lo
	s_or_b32 s19, s17, s16
	s_branch .LBB102_111
.LBB102_128:
                                        ; implicit-def: $vgpr49_vgpr50
                                        ; implicit-def: $vgpr47_vgpr48
                                        ; implicit-def: $vgpr43_vgpr44
                                        ; implicit-def: $vgpr39_vgpr40
                                        ; implicit-def: $vgpr35_vgpr36
                                        ; implicit-def: $vgpr31_vgpr32
                                        ; implicit-def: $vgpr27_vgpr28
                                        ; implicit-def: $vgpr45_vgpr46
                                        ; implicit-def: $vgpr41_vgpr42
                                        ; implicit-def: $vgpr37_vgpr38
                                        ; implicit-def: $vgpr33_vgpr34
                                        ; implicit-def: $vgpr29_vgpr30
                                        ; implicit-def: $vgpr51_vgpr52
	s_load_dwordx2 s[18:19], s[4:5], 0x20
	s_cbranch_execnz .LBB102_134
	s_branch .LBB102_163
.LBB102_129:
	s_and_saveexec_b32 s16, s15
	s_cbranch_execz .LBB102_131
; %bb.130:
	v_mov_b32_e32 v27, 0
	v_or_b32_e32 v28, v37, v47
	s_mov_b32 s21, 0
	s_add_i32 s20, s6, 32
	v_mov_b32_e32 v31, 2
	v_cmp_eq_u32_sdwa vcc_lo, v37, v27 src0_sel:BYTE_0 src1_sel:DWORD
	s_lshl_b64 s[36:37], s[20:21], 4
	v_mov_b32_e32 v38, s20
	v_and_b32_e32 v28, 1, v28
	s_add_u32 s20, s22, s36
	v_cndmask_b32_e32 v37, 0, v29, vcc_lo
	v_cndmask_b32_e32 v32, 0, v30, vcc_lo
	s_addc_u32 s21, s23, s37
	v_add_co_u32 v5, vcc_lo, v37, v5
	v_add_co_ci_u32_e64 v6, null, v32, v6, vcc_lo
	global_store_byte v27, v28, s[20:21] offset:8
	global_store_dwordx2 v27, v[5:6], s[20:21]
	s_waitcnt lgkmcnt(0)
	s_waitcnt_vscnt null, 0x0
	buffer_gl1_inv
	buffer_gl0_inv
	global_store_byte v38, v31, s[24:25]
.LBB102_131:
	s_or_b32 exec_lo, exec_lo, s16
	v_cmp_eq_u32_e32 vcc_lo, 0, v0
	s_and_b32 exec_lo, exec_lo, vcc_lo
	s_cbranch_execz .LBB102_133
; %bb.132:
	v_mov_b32_e32 v5, 0
	ds_write_b64 v5, v[29:30] offset:112
	ds_write_b8 v5, v47 offset:120
.LBB102_133:
	s_or_b32 exec_lo, exec_lo, s18
	s_waitcnt lgkmcnt(0)
	v_cndmask_b32_e64 v5, v36, v33, s15
	v_and_b32_e32 v28, 1, v87
	v_mov_b32_e32 v27, 0
	s_waitcnt_vscnt null, 0x0
	s_barrier
	v_and_b32_e32 v29, 1, v5
	v_cmp_eq_u32_e32 vcc_lo, 1, v28
	buffer_gl0_inv
	ds_read_b64 v[5:6], v27 offset:112
	v_cndmask_b32_e64 v3, v34, v3, s15
	v_cmp_eq_u32_e64 s6, 1, v29
	v_cndmask_b32_e64 v4, v35, v4, s15
	s_or_b32 s6, vcc_lo, s6
	v_cmp_eq_u16_sdwa vcc_lo, v87, v27 src0_sel:BYTE_0 src1_sel:DWORD
	v_cndmask_b32_e64 v28, 0, 1, s6
	v_cmp_eq_u32_e64 s6, 0, v0
	v_cndmask_b32_e32 v3, 0, v3, vcc_lo
	v_cndmask_b32_e32 v4, 0, v4, vcc_lo
	v_cndmask_b32_e64 v28, v28, v87, s6
	v_cndmask_b32_e64 v3, v3, 0, s6
	;; [unrolled: 1-line block ×3, first 2 shown]
	v_cmp_eq_u16_sdwa vcc_lo, v28, v27 src0_sel:BYTE_0 src1_sel:DWORD
	s_waitcnt lgkmcnt(0)
	v_cndmask_b32_e32 v6, 0, v6, vcc_lo
	v_cndmask_b32_e32 v5, 0, v5, vcc_lo
	v_add_co_u32 v3, vcc_lo, v3, v1
	v_add_co_ci_u32_e64 v4, null, v4, v2, vcc_lo
	v_add_co_u32 v51, vcc_lo, v3, v5
	v_add_co_ci_u32_e64 v52, null, v4, v6, vcc_lo
	v_cndmask_b32_e64 v3, 0, v51, s13
	v_cndmask_b32_e64 v4, 0, v52, s13
	v_add_co_u32 v27, vcc_lo, v3, v9
	v_add_co_ci_u32_e64 v28, null, v4, v10, vcc_lo
	v_cndmask_b32_e64 v3, 0, v27, s14
	v_cndmask_b32_e64 v4, 0, v28, s14
	;; [unrolled: 4-line block ×12, first 2 shown]
	v_add_co_u32 v49, vcc_lo, v3, v11
	v_add_co_ci_u32_e64 v50, null, v4, v12, vcc_lo
	s_load_dwordx2 s[18:19], s[4:5], 0x20
	s_branch .LBB102_163
.LBB102_134:
	s_cmp_lg_u64 s[34:35], 0
	v_cmp_eq_u32_e32 vcc_lo, 0, v0
	s_cselect_b32 s1, -1, 0
	s_cmp_lg_u64 s[38:39], 0
	v_cmp_ne_u32_e64 s0, 0, v0
	s_cselect_b32 s2, -1, 0
	s_and_b32 s1, s1, s2
	s_and_b32 s1, vcc_lo, s1
	s_and_saveexec_b32 s2, s1
	s_cbranch_execz .LBB102_136
; %bb.135:
	v_mov_b32_e32 v5, 0
	s_clause 0x1
	global_load_dwordx2 v[3:4], v5, s[38:39]
	global_load_ubyte v6, v5, s[38:39] offset:8
	v_cmp_eq_u16_sdwa s1, v87, v5 src0_sel:BYTE_0 src1_sel:DWORD
	s_waitcnt vmcnt(1)
	v_cndmask_b32_e64 v3, 0, v3, s1
	v_cndmask_b32_e64 v4, 0, v4, s1
	s_waitcnt vmcnt(0)
	v_or_b32_e32 v5, v87, v6
	v_add_co_u32 v1, s1, v3, v1
	v_add_co_ci_u32_e64 v2, null, v4, v2, s1
	v_and_b32_e32 v87, 1, v5
.LBB102_136:
	s_or_b32 exec_lo, exec_lo, s2
	v_mov_b32_e32 v3, 0
	v_or_b32_e32 v6, v87, v92
	v_cmp_eq_u32_e64 s12, 1, v61
	v_cmp_eq_u32_e64 s15, 1, v60
	v_cmp_eq_u32_e64 s16, 1, v59
	v_cmp_eq_u16_sdwa s1, v92, v3 src0_sel:BYTE_0 src1_sel:DWORD
	v_cmp_ne_u16_sdwa s20, v57, v3 src0_sel:BYTE_0 src1_sel:DWORD
	v_cmp_ne_u16_sdwa s21, v58, v3 src0_sel:BYTE_0 src1_sel:DWORD
	;; [unrolled: 1-line block ×4, first 2 shown]
	v_cndmask_b32_e64 v5, 0, v1, s1
	v_cndmask_b32_e64 v4, 0, v2, s1
	s_or_b32 s20, s20, s12
	s_or_b32 s12, s21, s15
	v_cmp_eq_u32_e64 s14, 1, v62
	v_add_co_u32 v27, s2, v5, v9
	v_add_co_ci_u32_e64 v28, null, v4, v10, s2
	v_cmp_eq_u16_sdwa s2, v91, v3 src0_sel:BYTE_0 src1_sel:DWORD
	s_or_b32 s15, s16, s12
	v_cmp_eq_u32_e64 s13, 1, v63
	s_or_b32 s14, s34, s14
	v_and_b32_e32 v51, 15, v54
	v_cndmask_b32_e64 v5, 0, v27, s2
	v_cndmask_b32_e64 v4, 0, v28, s2
	s_or_b32 s14, s15, s14
	s_or_b32 s13, s17, s13
	;; [unrolled: 1-line block ×3, first 2 shown]
	v_add_co_u32 v29, s3, v5, v15
	v_add_co_ci_u32_e64 v30, null, v4, v16, s3
	v_cmp_eq_u16_sdwa s3, v90, v3 src0_sel:BYTE_0 src1_sel:DWORD
	s_or_b32 s14, s14, s13
	s_mov_b32 s15, exec_lo
	v_cndmask_b32_e64 v5, 0, v29, s3
	v_cndmask_b32_e64 v4, 0, v30, s3
	v_add_co_u32 v31, s4, v5, v13
	v_add_co_ci_u32_e64 v32, null, v4, v14, s4
	v_cmp_eq_u16_sdwa s4, v89, v3 src0_sel:BYTE_0 src1_sel:DWORD
	v_cndmask_b32_e64 v5, 0, v31, s4
	v_cndmask_b32_e64 v4, 0, v32, s4
	v_add_co_u32 v33, s5, v5, v19
	v_add_co_ci_u32_e64 v34, null, v4, v20, s5
	v_cmp_eq_u16_sdwa s5, v88, v3 src0_sel:BYTE_0 src1_sel:DWORD
	;; [unrolled: 5-line block ×8, first 2 shown]
	v_cndmask_b32_e64 v4, 0, v45, s11
	v_cndmask_b32_e64 v3, 0, v46, s11
	v_add_co_u32 v47, s12, v4, v7
	v_add_co_ci_u32_e64 v48, null, v3, v8, s12
	v_cmp_eq_u16_e64 s12, 0, v55
	v_cndmask_b32_e64 v55, 0, 1, s14
	v_cndmask_b32_e64 v4, 0, v47, s12
	;; [unrolled: 1-line block ×3, first 2 shown]
	v_mov_b32_dpp v52, v55 row_shr:1 row_mask:0xf bank_mask:0xf
	v_add_co_u32 v49, s13, v4, v11
	v_add_co_ci_u32_e64 v50, null, v3, v12, s13
	v_mov_b32_e32 v3, v49
	v_mov_b32_dpp v56, v49 row_shr:1 row_mask:0xf bank_mask:0xf
	v_mov_b32_dpp v57, v50 row_shr:1 row_mask:0xf bank_mask:0xf
	v_mov_b32_e32 v4, v50
	v_mov_b32_e32 v6, v50
	;; [unrolled: 1-line block ×3, first 2 shown]
	v_cmpx_ne_u32_e32 0, v51
	s_cbranch_execz .LBB102_138
; %bb.137:
	v_cndmask_b32_e64 v3, v56, 0, s14
	v_cndmask_b32_e64 v4, v57, 0, s14
	v_and_or_b32 v55, v52, 1, v55
	v_add_co_u32 v3, s13, v49, v3
	v_add_co_ci_u32_e64 v4, null, v50, v4, s13
	v_mov_b32_e32 v5, v3
	v_mov_b32_e32 v6, v4
.LBB102_138:
	s_or_b32 exec_lo, exec_lo, s15
	v_mov_b32_dpp v56, v5 row_shr:2 row_mask:0xf bank_mask:0xf
	v_mov_b32_dpp v57, v6 row_shr:2 row_mask:0xf bank_mask:0xf
	v_mov_b32_dpp v52, v55 row_shr:2 row_mask:0xf bank_mask:0xf
	s_mov_b32 s14, exec_lo
	v_cmpx_lt_u32_e32 1, v51
	s_cbranch_execz .LBB102_140
; %bb.139:
	v_cmp_eq_u16_e64 s13, 0, v55
	v_or_b32_e32 v52, v52, v55
	v_cndmask_b32_e64 v5, 0, v56, s13
	v_cndmask_b32_e64 v6, 0, v57, s13
	v_and_b32_e32 v55, 1, v52
	v_add_co_u32 v5, s13, v5, v3
	v_add_co_ci_u32_e64 v6, null, v6, v4, s13
	v_mov_b32_e32 v3, v5
	v_mov_b32_e32 v4, v6
.LBB102_140:
	s_or_b32 exec_lo, exec_lo, s14
	v_mov_b32_dpp v56, v5 row_shr:4 row_mask:0xf bank_mask:0xf
	v_mov_b32_dpp v57, v6 row_shr:4 row_mask:0xf bank_mask:0xf
	v_mov_b32_dpp v52, v55 row_shr:4 row_mask:0xf bank_mask:0xf
	s_mov_b32 s14, exec_lo
	v_cmpx_lt_u32_e32 3, v51
	s_cbranch_execz .LBB102_142
; %bb.141:
	v_cmp_eq_u16_e64 s13, 0, v55
	v_or_b32_e32 v52, v52, v55
	v_cndmask_b32_e64 v5, 0, v56, s13
	v_cndmask_b32_e64 v6, 0, v57, s13
	v_and_b32_e32 v55, 1, v52
	v_add_co_u32 v5, s13, v5, v3
	v_add_co_ci_u32_e64 v6, null, v6, v4, s13
	v_mov_b32_e32 v3, v5
	v_mov_b32_e32 v4, v6
.LBB102_142:
	;; [unrolled: 18-line block ×3, first 2 shown]
	s_or_b32 exec_lo, exec_lo, s14
	ds_swizzle_b32 v5, v5 offset:swizzle(BROADCAST,32,15)
	ds_swizzle_b32 v6, v6 offset:swizzle(BROADCAST,32,15)
	;; [unrolled: 1-line block ×3, first 2 shown]
	v_and_b32_e32 v51, 16, v54
	v_cmp_ne_u32_e64 s13, 0, v51
	v_mov_b32_e32 v51, v55
	s_and_saveexec_b32 s16, s13
	s_cbranch_execz .LBB102_146
; %bb.145:
	v_cmp_eq_u16_e64 s13, 0, v55
	v_and_b32_e32 v51, 1, v55
	s_waitcnt lgkmcnt(0)
	v_and_b32_e32 v52, 1, v52
	v_cndmask_b32_e64 v6, 0, v6, s13
	v_cndmask_b32_e64 v5, 0, v5, s13
	v_cmp_eq_u32_e64 s13, 1, v51
	v_cmp_eq_u32_e64 s14, 1, v52
	v_add_co_u32 v3, s15, v5, v3
	s_or_b32 s13, s13, s14
	v_add_co_ci_u32_e64 v4, null, v6, v4, s15
	v_cndmask_b32_e64 v55, 0, 1, s13
	v_cndmask_b32_e64 v51, 0, 1, s13
.LBB102_146:
	s_or_b32 exec_lo, exec_lo, s16
	s_waitcnt lgkmcnt(0)
	v_or_b32_e32 v5, 31, v0
	v_lshrrev_b32_e32 v52, 5, v0
	s_mov_b32 s14, exec_lo
	v_cmpx_eq_u32_e64 v0, v5
	s_cbranch_execz .LBB102_148
; %bb.147:
	v_lshlrev_b32_e32 v5, 4, v52
	ds_write_b64 v5, v[3:4]
	ds_write_b8 v5, v55 offset:8
.LBB102_148:
	s_or_b32 exec_lo, exec_lo, s14
	s_mov_b32 s16, exec_lo
	s_waitcnt lgkmcnt(0)
	s_barrier
	buffer_gl0_inv
	v_cmpx_gt_u32_e32 8, v0
	s_cbranch_execz .LBB102_156
; %bb.149:
	v_lshlrev_b32_e32 v55, 4, v0
	v_and_b32_e32 v56, 7, v54
	s_mov_b32 s14, exec_lo
	ds_read_b64 v[5:6], v55
	ds_read_b32 v60, v55 offset:8
	s_waitcnt lgkmcnt(1)
	v_mov_b32_dpp v61, v5 row_shr:1 row_mask:0xf bank_mask:0xf
	v_mov_b32_dpp v62, v6 row_shr:1 row_mask:0xf bank_mask:0xf
	s_waitcnt lgkmcnt(0)
	v_and_b32_e32 v58, 0xffffff00, v60
	v_mov_b32_dpp v63, v60 row_shr:1 row_mask:0xf bank_mask:0xf
	v_mov_b32_e32 v59, v60
	v_mov_b32_e32 v57, v60
	v_cmpx_ne_u32_e32 0, v56
	s_cbranch_execz .LBB102_151
; %bb.150:
	v_mov_b32_e32 v57, 0
	v_cmp_eq_u16_sdwa s13, v60, v57 src0_sel:BYTE_0 src1_sel:DWORD
	v_or_b32_e32 v57, v63, v60
	v_cndmask_b32_e64 v61, 0, v61, s13
	v_cndmask_b32_e64 v60, 0, v62, s13
	v_and_b32_e32 v59, 1, v57
	v_and_b32_e32 v57, 1, v57
	v_add_co_u32 v5, s13, v61, v5
	v_add_co_ci_u32_e64 v6, null, v60, v6, s13
	v_or_b32_e32 v60, v57, v58
.LBB102_151:
	s_or_b32 exec_lo, exec_lo, s14
	v_mov_b32_dpp v61, v5 row_shr:2 row_mask:0xf bank_mask:0xf
	v_mov_b32_dpp v62, v6 row_shr:2 row_mask:0xf bank_mask:0xf
	;; [unrolled: 1-line block ×3, first 2 shown]
	s_mov_b32 s17, exec_lo
	v_cmpx_lt_u32_e32 1, v56
	s_cbranch_execz .LBB102_153
; %bb.152:
	v_mov_b32_e32 v59, 0
	v_and_b32_e32 v60, 1, v57
	v_and_b32_e32 v63, 1, v63
	v_cmp_eq_u16_sdwa s13, v57, v59 src0_sel:BYTE_0 src1_sel:DWORD
	v_cmp_eq_u32_e64 s14, 1, v60
	v_cmp_eq_u32_e64 s15, 1, v63
	v_cndmask_b32_e64 v57, 0, v62, s13
	v_cndmask_b32_e64 v60, 0, v61, s13
	s_or_b32 s13, s14, s15
	v_cndmask_b32_e64 v59, 0, 1, s13
	v_cndmask_b32_e64 v61, 0, 1, s13
	v_add_co_u32 v5, s13, v60, v5
	v_add_co_ci_u32_e64 v6, null, v57, v6, s13
	v_or_b32_e32 v60, v58, v61
	v_mov_b32_e32 v57, v59
.LBB102_153:
	s_or_b32 exec_lo, exec_lo, s17
	v_mov_b32_dpp v58, v5 row_shr:4 row_mask:0xf bank_mask:0xf
	v_mov_b32_dpp v61, v6 row_shr:4 row_mask:0xf bank_mask:0xf
	;; [unrolled: 1-line block ×3, first 2 shown]
	s_mov_b32 s17, exec_lo
	v_cmpx_lt_u32_e32 3, v56
	s_cbranch_execz .LBB102_155
; %bb.154:
	v_mov_b32_e32 v56, 0
	v_cmp_eq_u16_sdwa s13, v57, v56 src0_sel:BYTE_0 src1_sel:DWORD
	v_and_b32_e32 v56, 1, v57
	v_and_b32_e32 v57, 1, v60
	v_cndmask_b32_e64 v59, 0, v61, s13
	v_cndmask_b32_e64 v58, 0, v58, s13
	v_cmp_eq_u32_e64 s13, 1, v56
	v_cmp_eq_u32_e64 s14, 1, v57
	v_add_co_u32 v5, s15, v58, v5
	s_or_b32 s13, s13, s14
	v_add_co_ci_u32_e64 v6, null, v59, v6, s15
	v_cndmask_b32_e64 v59, 0, 1, s13
.LBB102_155:
	s_or_b32 exec_lo, exec_lo, s17
	ds_write_b64 v55, v[5:6]
	ds_write_b8 v55, v59 offset:8
.LBB102_156:
	s_or_b32 exec_lo, exec_lo, s16
	v_mov_b32_e32 v5, 0
	v_mov_b32_e32 v6, 0
	s_mov_b32 s14, exec_lo
	s_waitcnt lgkmcnt(0)
	s_barrier
	buffer_gl0_inv
	v_cmpx_lt_u32_e32 31, v0
	s_cbranch_execz .LBB102_158
; %bb.157:
	v_lshl_add_u32 v5, v52, 4, -16
	v_cmp_eq_u32_e64 s13, 0, v51
	ds_read_b64 v[5:6], v5
	s_waitcnt lgkmcnt(0)
	v_cndmask_b32_e64 v52, 0, v5, s13
	v_cndmask_b32_e64 v51, 0, v6, s13
	v_add_co_u32 v3, s13, v52, v3
	v_add_co_ci_u32_e64 v4, null, v51, v4, s13
.LBB102_158:
	s_or_b32 exec_lo, exec_lo, s14
	v_add_nc_u32_e32 v51, -1, v54
	v_cmp_gt_i32_e64 s13, 0, v51
	v_cndmask_b32_e64 v51, v51, v54, s13
	v_lshlrev_b32_e32 v51, 2, v51
	ds_bpermute_b32 v3, v51, v3
	ds_bpermute_b32 v4, v51, v4
	s_and_saveexec_b32 s13, s0
	s_cbranch_execz .LBB102_160
; %bb.159:
	v_cmp_eq_u32_e64 s0, 0, v54
	v_mov_b32_e32 v27, 0
	;;#ASMSTART
	;;#ASMEND
	s_waitcnt lgkmcnt(1)
	v_cndmask_b32_e64 v3, v3, v5, s0
	s_waitcnt lgkmcnt(0)
	v_cndmask_b32_e64 v4, v4, v6, s0
	v_cmp_eq_u16_sdwa s0, v87, v27 src0_sel:BYTE_0 src1_sel:DWORD
	v_cndmask_b32_e64 v3, 0, v3, s0
	v_cndmask_b32_e64 v4, 0, v4, s0
	v_add_co_u32 v1, s0, v3, v1
	v_add_co_ci_u32_e64 v2, null, v4, v2, s0
	v_cndmask_b32_e64 v3, 0, v1, s1
	v_cndmask_b32_e64 v4, 0, v2, s1
	v_add_co_u32 v27, s0, v3, v9
	v_add_co_ci_u32_e64 v28, null, v4, v10, s0
	;; [unrolled: 4-line block ×13, first 2 shown]
.LBB102_160:
	s_or_b32 exec_lo, exec_lo, s13
	s_and_saveexec_b32 s0, vcc_lo
	s_cbranch_execz .LBB102_162
; %bb.161:
	v_mov_b32_e32 v5, 0
	v_mov_b32_e32 v7, 2
	s_waitcnt lgkmcnt(0)
	ds_read_b64 v[3:4], v5 offset:112
	ds_read_u8 v6, v5 offset:120
	s_waitcnt lgkmcnt(1)
	global_store_dwordx2 v5, v[3:4], s[22:23] offset:512
	s_waitcnt lgkmcnt(0)
	global_store_byte v5, v6, s[22:23] offset:520
	s_waitcnt_vscnt null, 0x0
	buffer_gl1_inv
	buffer_gl0_inv
	global_store_byte v5, v7, s[24:25] offset:32
.LBB102_162:
	s_or_b32 exec_lo, exec_lo, s0
	v_mov_b32_e32 v52, v2
	v_mov_b32_e32 v51, v1
.LBB102_163:
	s_waitcnt lgkmcnt(0)
	s_add_u32 s0, s18, s28
	s_addc_u32 s1, s19, s29
	s_add_u32 s0, s0, s30
	s_addc_u32 s1, s1, s31
	s_and_b32 vcc_lo, exec_lo, s27
	s_cbranch_vccz .LBB102_207
; %bb.164:
	v_mul_u32_u24_e32 v1, 13, v0
	s_add_i32 s33, s33, s26
	s_mov_b32 s2, exec_lo
	v_cmpx_gt_u32_e64 s33, v1
	s_cbranch_execz .LBB102_182
; %bb.165:
	v_add_nc_u32_e32 v2, 1, v1
	s_mov_b32 s3, exec_lo
	v_cmpx_gt_u32_e64 s33, v2
	s_cbranch_execz .LBB102_181
; %bb.166:
	v_add_nc_u32_e32 v2, 2, v1
	;; [unrolled: 5-line block ×8, first 2 shown]
	s_mov_b32 s10, exec_lo
	v_cmpx_gt_u32_e64 s33, v2
; %bb.173:
	v_add_nc_u32_e32 v2, 9, v1
	s_mov_b32 s11, exec_lo
	v_cmpx_gt_u32_e64 s33, v2
	s_or_b32 exec_lo, exec_lo, s11
; %bb.174:
	s_or_b32 exec_lo, exec_lo, s10
.LBB102_175:
	s_or_b32 exec_lo, exec_lo, s9
.LBB102_176:
	s_or_b32 exec_lo, exec_lo, s8
.LBB102_177:
	s_or_b32 exec_lo, exec_lo, s7
.LBB102_178:
	s_or_b32 exec_lo, exec_lo, s6
.LBB102_179:
	s_or_b32 exec_lo, exec_lo, s5
.LBB102_180:
	s_or_b32 exec_lo, exec_lo, s4
.LBB102_181:
	s_or_b32 exec_lo, exec_lo, s3
.LBB102_182:
	s_or_b32 exec_lo, exec_lo, s2
	v_lshlrev_b32_e32 v54, 3, v1
	s_waitcnt_vscnt null, 0x0
	s_barrier
	buffer_gl0_inv
	v_add_co_u32 v25, s2, s0, v53
	v_mad_i32_i24 v1, 0xffffffa0, v0, v54
	ds_write2_b64 v54, v[51:52], v[27:28] offset1:1
	ds_write2_b64 v54, v[29:30], v[31:32] offset0:2 offset1:3
	ds_write2_b64 v54, v[33:34], v[35:36] offset0:4 offset1:5
	;; [unrolled: 1-line block ×5, first 2 shown]
	ds_write_b64 v54, v[49:50] offset:96
	s_waitcnt lgkmcnt(0)
	s_barrier
	buffer_gl0_inv
	ds_read2st64_b64 v[21:24], v1 offset0:4 offset1:8
	ds_read2st64_b64 v[17:20], v1 offset0:12 offset1:16
	;; [unrolled: 1-line block ×6, first 2 shown]
	v_add_co_ci_u32_e64 v26, null, s1, 0, s2
	s_mov_b32 s2, exec_lo
	v_cmpx_gt_u32_e64 s33, v0
	s_cbranch_execz .LBB102_184
; %bb.183:
	v_mul_i32_i24_e32 v55, 0xffffffa0, v0
	v_add_nc_u32_e32 v54, v54, v55
	ds_read_b64 v[54:55], v54
	s_waitcnt lgkmcnt(0)
	global_store_dwordx2 v[25:26], v[54:55], off
.LBB102_184:
	s_or_b32 exec_lo, exec_lo, s2
	v_or_b32_e32 v54, 0x100, v0
	s_mov_b32 s2, exec_lo
	v_cmpx_gt_u32_e64 s33, v54
	s_cbranch_execz .LBB102_186
; %bb.185:
	v_add_co_u32 v54, vcc_lo, 0x800, v25
	v_add_co_ci_u32_e64 v55, null, 0, v26, vcc_lo
	s_waitcnt lgkmcnt(5)
	global_store_dwordx2 v[54:55], v[21:22], off
.LBB102_186:
	s_or_b32 exec_lo, exec_lo, s2
	s_waitcnt lgkmcnt(5)
	v_or_b32_e32 v21, 0x200, v0
	s_mov_b32 s2, exec_lo
	v_cmpx_gt_u32_e64 s33, v21
	s_cbranch_execz .LBB102_188
; %bb.187:
	v_add_co_u32 v21, vcc_lo, 0x1000, v25
	v_add_co_ci_u32_e64 v22, null, 0, v26, vcc_lo
	global_store_dwordx2 v[21:22], v[23:24], off
.LBB102_188:
	s_or_b32 exec_lo, exec_lo, s2
	v_or_b32_e32 v21, 0x300, v0
	s_mov_b32 s2, exec_lo
	v_cmpx_gt_u32_e64 s33, v21
	s_cbranch_execz .LBB102_190
; %bb.189:
	v_add_co_u32 v21, vcc_lo, 0x1800, v25
	v_add_co_ci_u32_e64 v22, null, 0, v26, vcc_lo
	s_waitcnt lgkmcnt(4)
	global_store_dwordx2 v[21:22], v[17:18], off
.LBB102_190:
	s_or_b32 exec_lo, exec_lo, s2
	s_waitcnt lgkmcnt(4)
	v_or_b32_e32 v17, 0x400, v0
	s_mov_b32 s2, exec_lo
	v_cmpx_gt_u32_e64 s33, v17
	s_cbranch_execz .LBB102_192
; %bb.191:
	v_add_co_u32 v17, vcc_lo, 0x2000, v25
	v_add_co_ci_u32_e64 v18, null, 0, v26, vcc_lo
	global_store_dwordx2 v[17:18], v[19:20], off
.LBB102_192:
	;; [unrolled: 22-line block ×5, first 2 shown]
	s_or_b32 exec_lo, exec_lo, s2
	v_or_b32_e32 v5, 0xb00, v0
	s_mov_b32 s2, exec_lo
	v_cmpx_gt_u32_e64 s33, v5
	s_cbranch_execz .LBB102_206
; %bb.205:
	v_add_co_u32 v5, vcc_lo, 0x5800, v25
	v_add_co_ci_u32_e64 v6, null, 0, v26, vcc_lo
	s_waitcnt lgkmcnt(0)
	global_store_dwordx2 v[5:6], v[1:2], off
.LBB102_206:
	s_or_b32 exec_lo, exec_lo, s2
	s_waitcnt lgkmcnt(0)
	v_or_b32_e32 v1, 0xc00, v0
	v_cmp_gt_u32_e64 s2, s33, v1
	s_branch .LBB102_209
.LBB102_207:
	s_mov_b32 s2, 0
                                        ; implicit-def: $vgpr3_vgpr4
	s_cbranch_execz .LBB102_209
; %bb.208:
	v_mul_i32_i24_e32 v2, 0xffffffa0, v0
	v_mul_u32_u24_e32 v1, 0x68, v0
	s_waitcnt_vscnt null, 0x0
	s_barrier
	buffer_gl0_inv
	v_mad_u32_u24 v3, 0x68, v0, v2
	ds_write2_b64 v1, v[51:52], v[27:28] offset1:1
	ds_write2_b64 v1, v[29:30], v[31:32] offset0:2 offset1:3
	ds_write2_b64 v1, v[33:34], v[35:36] offset0:4 offset1:5
	;; [unrolled: 1-line block ×5, first 2 shown]
	ds_write_b64 v1, v[49:50] offset:96
	s_waitcnt lgkmcnt(0)
	s_barrier
	buffer_gl0_inv
	ds_read2st64_b64 v[5:8], v3 offset1:4
	ds_read2st64_b64 v[9:12], v3 offset0:8 offset1:12
	ds_read2st64_b64 v[13:16], v3 offset0:16 offset1:20
	v_add_co_u32 v29, s3, s0, v53
	ds_read2st64_b64 v[17:20], v3 offset0:24 offset1:28
	v_add_co_ci_u32_e64 v30, null, s1, 0, s3
	v_add_co_u32 v1, vcc_lo, v29, 0x1000
	ds_read2st64_b64 v[21:24], v3 offset0:32 offset1:36
	ds_read2st64_b64 v[25:28], v3 offset0:40 offset1:44
	ds_read_b64 v[3:4], v3 offset:24576
	v_add_co_ci_u32_e64 v2, null, 0, v30, vcc_lo
	s_or_b32 s2, s2, exec_lo
	s_waitcnt lgkmcnt(6)
	global_store_dwordx2 v53, v[5:6], s[0:1]
	global_store_dwordx2 v[1:2], v[7:8], off offset:-2048
	s_waitcnt lgkmcnt(5)
	global_store_dwordx2 v[1:2], v[9:10], off
	v_add_co_u32 v1, vcc_lo, v29, 0x2000
	v_add_co_ci_u32_e64 v2, null, 0, v30, vcc_lo
	v_add_co_u32 v5, vcc_lo, v29, 0x3000
	v_add_co_ci_u32_e64 v6, null, 0, v30, vcc_lo
	;; [unrolled: 2-line block ×3, first 2 shown]
	global_store_dwordx2 v[1:2], v[11:12], off offset:-2048
	s_waitcnt lgkmcnt(4)
	global_store_dwordx2 v[1:2], v[13:14], off
	global_store_dwordx2 v[5:6], v[15:16], off offset:-2048
	s_waitcnt lgkmcnt(3)
	global_store_dwordx2 v[5:6], v[17:18], off
	global_store_dwordx2 v[7:8], v[19:20], off offset:-2048
	v_add_co_u32 v1, vcc_lo, v29, 0x5000
	v_add_co_ci_u32_e64 v2, null, 0, v30, vcc_lo
	v_add_co_u32 v5, vcc_lo, 0x5800, v29
	v_add_co_ci_u32_e64 v6, null, 0, v30, vcc_lo
	s_waitcnt lgkmcnt(2)
	global_store_dwordx2 v[7:8], v[21:22], off
	global_store_dwordx2 v[1:2], v[23:24], off offset:-2048
	s_waitcnt lgkmcnt(1)
	global_store_dwordx2 v[1:2], v[25:26], off
	global_store_dwordx2 v[5:6], v[27:28], off
.LBB102_209:
	s_and_saveexec_b32 s3, s2
	s_cbranch_execnz .LBB102_211
; %bb.210:
	s_endpgm
.LBB102_211:
	v_lshlrev_b32_e32 v0, 3, v0
	v_add_co_u32 v0, s0, s0, v0
	v_add_co_ci_u32_e64 v1, null, s1, 0, s0
	v_add_co_u32 v0, vcc_lo, 0x6000, v0
	v_add_co_ci_u32_e64 v1, null, 0, v1, vcc_lo
	s_waitcnt lgkmcnt(0)
	global_store_dwordx2 v[0:1], v[3:4], off
	s_endpgm
	.section	.rodata,"a",@progbits
	.p2align	6, 0x0
	.amdhsa_kernel _ZN7rocprim17ROCPRIM_400000_NS6detail17trampoline_kernelINS0_14default_configENS1_27scan_by_key_config_selectorIllEEZZNS1_16scan_by_key_implILNS1_25lookback_scan_determinismE0ELb0ES3_PKlN6hipcub16HIPCUB_304000_NS21ConstantInputIteratorIllEEPllNSB_3SumENSB_8EqualityElEE10hipError_tPvRmT2_T3_T4_T5_mT6_T7_P12ihipStream_tbENKUlT_T0_E_clISt17integral_constantIbLb0EESX_EEDaSS_ST_EUlSS_E_NS1_11comp_targetILNS1_3genE8ELNS1_11target_archE1030ELNS1_3gpuE2ELNS1_3repE0EEENS1_30default_config_static_selectorELNS0_4arch9wavefront6targetE0EEEvT1_
		.amdhsa_group_segment_fixed_size 30720
		.amdhsa_private_segment_fixed_size 0
		.amdhsa_kernarg_size 144
		.amdhsa_user_sgpr_count 6
		.amdhsa_user_sgpr_private_segment_buffer 1
		.amdhsa_user_sgpr_dispatch_ptr 0
		.amdhsa_user_sgpr_queue_ptr 0
		.amdhsa_user_sgpr_kernarg_segment_ptr 1
		.amdhsa_user_sgpr_dispatch_id 0
		.amdhsa_user_sgpr_flat_scratch_init 0
		.amdhsa_user_sgpr_private_segment_size 0
		.amdhsa_wavefront_size32 1
		.amdhsa_uses_dynamic_stack 0
		.amdhsa_system_sgpr_private_segment_wavefront_offset 0
		.amdhsa_system_sgpr_workgroup_id_x 1
		.amdhsa_system_sgpr_workgroup_id_y 0
		.amdhsa_system_sgpr_workgroup_id_z 0
		.amdhsa_system_sgpr_workgroup_info 0
		.amdhsa_system_vgpr_workitem_id 0
		.amdhsa_next_free_vgpr 113
		.amdhsa_next_free_sgpr 48
		.amdhsa_reserve_vcc 1
		.amdhsa_reserve_flat_scratch 0
		.amdhsa_float_round_mode_32 0
		.amdhsa_float_round_mode_16_64 0
		.amdhsa_float_denorm_mode_32 3
		.amdhsa_float_denorm_mode_16_64 3
		.amdhsa_dx10_clamp 1
		.amdhsa_ieee_mode 1
		.amdhsa_fp16_overflow 0
		.amdhsa_workgroup_processor_mode 1
		.amdhsa_memory_ordered 1
		.amdhsa_forward_progress 1
		.amdhsa_shared_vgpr_count 0
		.amdhsa_exception_fp_ieee_invalid_op 0
		.amdhsa_exception_fp_denorm_src 0
		.amdhsa_exception_fp_ieee_div_zero 0
		.amdhsa_exception_fp_ieee_overflow 0
		.amdhsa_exception_fp_ieee_underflow 0
		.amdhsa_exception_fp_ieee_inexact 0
		.amdhsa_exception_int_div_zero 0
	.end_amdhsa_kernel
	.section	.text._ZN7rocprim17ROCPRIM_400000_NS6detail17trampoline_kernelINS0_14default_configENS1_27scan_by_key_config_selectorIllEEZZNS1_16scan_by_key_implILNS1_25lookback_scan_determinismE0ELb0ES3_PKlN6hipcub16HIPCUB_304000_NS21ConstantInputIteratorIllEEPllNSB_3SumENSB_8EqualityElEE10hipError_tPvRmT2_T3_T4_T5_mT6_T7_P12ihipStream_tbENKUlT_T0_E_clISt17integral_constantIbLb0EESX_EEDaSS_ST_EUlSS_E_NS1_11comp_targetILNS1_3genE8ELNS1_11target_archE1030ELNS1_3gpuE2ELNS1_3repE0EEENS1_30default_config_static_selectorELNS0_4arch9wavefront6targetE0EEEvT1_,"axG",@progbits,_ZN7rocprim17ROCPRIM_400000_NS6detail17trampoline_kernelINS0_14default_configENS1_27scan_by_key_config_selectorIllEEZZNS1_16scan_by_key_implILNS1_25lookback_scan_determinismE0ELb0ES3_PKlN6hipcub16HIPCUB_304000_NS21ConstantInputIteratorIllEEPllNSB_3SumENSB_8EqualityElEE10hipError_tPvRmT2_T3_T4_T5_mT6_T7_P12ihipStream_tbENKUlT_T0_E_clISt17integral_constantIbLb0EESX_EEDaSS_ST_EUlSS_E_NS1_11comp_targetILNS1_3genE8ELNS1_11target_archE1030ELNS1_3gpuE2ELNS1_3repE0EEENS1_30default_config_static_selectorELNS0_4arch9wavefront6targetE0EEEvT1_,comdat
.Lfunc_end102:
	.size	_ZN7rocprim17ROCPRIM_400000_NS6detail17trampoline_kernelINS0_14default_configENS1_27scan_by_key_config_selectorIllEEZZNS1_16scan_by_key_implILNS1_25lookback_scan_determinismE0ELb0ES3_PKlN6hipcub16HIPCUB_304000_NS21ConstantInputIteratorIllEEPllNSB_3SumENSB_8EqualityElEE10hipError_tPvRmT2_T3_T4_T5_mT6_T7_P12ihipStream_tbENKUlT_T0_E_clISt17integral_constantIbLb0EESX_EEDaSS_ST_EUlSS_E_NS1_11comp_targetILNS1_3genE8ELNS1_11target_archE1030ELNS1_3gpuE2ELNS1_3repE0EEENS1_30default_config_static_selectorELNS0_4arch9wavefront6targetE0EEEvT1_, .Lfunc_end102-_ZN7rocprim17ROCPRIM_400000_NS6detail17trampoline_kernelINS0_14default_configENS1_27scan_by_key_config_selectorIllEEZZNS1_16scan_by_key_implILNS1_25lookback_scan_determinismE0ELb0ES3_PKlN6hipcub16HIPCUB_304000_NS21ConstantInputIteratorIllEEPllNSB_3SumENSB_8EqualityElEE10hipError_tPvRmT2_T3_T4_T5_mT6_T7_P12ihipStream_tbENKUlT_T0_E_clISt17integral_constantIbLb0EESX_EEDaSS_ST_EUlSS_E_NS1_11comp_targetILNS1_3genE8ELNS1_11target_archE1030ELNS1_3gpuE2ELNS1_3repE0EEENS1_30default_config_static_selectorELNS0_4arch9wavefront6targetE0EEEvT1_
                                        ; -- End function
	.set _ZN7rocprim17ROCPRIM_400000_NS6detail17trampoline_kernelINS0_14default_configENS1_27scan_by_key_config_selectorIllEEZZNS1_16scan_by_key_implILNS1_25lookback_scan_determinismE0ELb0ES3_PKlN6hipcub16HIPCUB_304000_NS21ConstantInputIteratorIllEEPllNSB_3SumENSB_8EqualityElEE10hipError_tPvRmT2_T3_T4_T5_mT6_T7_P12ihipStream_tbENKUlT_T0_E_clISt17integral_constantIbLb0EESX_EEDaSS_ST_EUlSS_E_NS1_11comp_targetILNS1_3genE8ELNS1_11target_archE1030ELNS1_3gpuE2ELNS1_3repE0EEENS1_30default_config_static_selectorELNS0_4arch9wavefront6targetE0EEEvT1_.num_vgpr, 108
	.set _ZN7rocprim17ROCPRIM_400000_NS6detail17trampoline_kernelINS0_14default_configENS1_27scan_by_key_config_selectorIllEEZZNS1_16scan_by_key_implILNS1_25lookback_scan_determinismE0ELb0ES3_PKlN6hipcub16HIPCUB_304000_NS21ConstantInputIteratorIllEEPllNSB_3SumENSB_8EqualityElEE10hipError_tPvRmT2_T3_T4_T5_mT6_T7_P12ihipStream_tbENKUlT_T0_E_clISt17integral_constantIbLb0EESX_EEDaSS_ST_EUlSS_E_NS1_11comp_targetILNS1_3genE8ELNS1_11target_archE1030ELNS1_3gpuE2ELNS1_3repE0EEENS1_30default_config_static_selectorELNS0_4arch9wavefront6targetE0EEEvT1_.num_agpr, 0
	.set _ZN7rocprim17ROCPRIM_400000_NS6detail17trampoline_kernelINS0_14default_configENS1_27scan_by_key_config_selectorIllEEZZNS1_16scan_by_key_implILNS1_25lookback_scan_determinismE0ELb0ES3_PKlN6hipcub16HIPCUB_304000_NS21ConstantInputIteratorIllEEPllNSB_3SumENSB_8EqualityElEE10hipError_tPvRmT2_T3_T4_T5_mT6_T7_P12ihipStream_tbENKUlT_T0_E_clISt17integral_constantIbLb0EESX_EEDaSS_ST_EUlSS_E_NS1_11comp_targetILNS1_3genE8ELNS1_11target_archE1030ELNS1_3gpuE2ELNS1_3repE0EEENS1_30default_config_static_selectorELNS0_4arch9wavefront6targetE0EEEvT1_.numbered_sgpr, 48
	.set _ZN7rocprim17ROCPRIM_400000_NS6detail17trampoline_kernelINS0_14default_configENS1_27scan_by_key_config_selectorIllEEZZNS1_16scan_by_key_implILNS1_25lookback_scan_determinismE0ELb0ES3_PKlN6hipcub16HIPCUB_304000_NS21ConstantInputIteratorIllEEPllNSB_3SumENSB_8EqualityElEE10hipError_tPvRmT2_T3_T4_T5_mT6_T7_P12ihipStream_tbENKUlT_T0_E_clISt17integral_constantIbLb0EESX_EEDaSS_ST_EUlSS_E_NS1_11comp_targetILNS1_3genE8ELNS1_11target_archE1030ELNS1_3gpuE2ELNS1_3repE0EEENS1_30default_config_static_selectorELNS0_4arch9wavefront6targetE0EEEvT1_.num_named_barrier, 0
	.set _ZN7rocprim17ROCPRIM_400000_NS6detail17trampoline_kernelINS0_14default_configENS1_27scan_by_key_config_selectorIllEEZZNS1_16scan_by_key_implILNS1_25lookback_scan_determinismE0ELb0ES3_PKlN6hipcub16HIPCUB_304000_NS21ConstantInputIteratorIllEEPllNSB_3SumENSB_8EqualityElEE10hipError_tPvRmT2_T3_T4_T5_mT6_T7_P12ihipStream_tbENKUlT_T0_E_clISt17integral_constantIbLb0EESX_EEDaSS_ST_EUlSS_E_NS1_11comp_targetILNS1_3genE8ELNS1_11target_archE1030ELNS1_3gpuE2ELNS1_3repE0EEENS1_30default_config_static_selectorELNS0_4arch9wavefront6targetE0EEEvT1_.private_seg_size, 0
	.set _ZN7rocprim17ROCPRIM_400000_NS6detail17trampoline_kernelINS0_14default_configENS1_27scan_by_key_config_selectorIllEEZZNS1_16scan_by_key_implILNS1_25lookback_scan_determinismE0ELb0ES3_PKlN6hipcub16HIPCUB_304000_NS21ConstantInputIteratorIllEEPllNSB_3SumENSB_8EqualityElEE10hipError_tPvRmT2_T3_T4_T5_mT6_T7_P12ihipStream_tbENKUlT_T0_E_clISt17integral_constantIbLb0EESX_EEDaSS_ST_EUlSS_E_NS1_11comp_targetILNS1_3genE8ELNS1_11target_archE1030ELNS1_3gpuE2ELNS1_3repE0EEENS1_30default_config_static_selectorELNS0_4arch9wavefront6targetE0EEEvT1_.uses_vcc, 1
	.set _ZN7rocprim17ROCPRIM_400000_NS6detail17trampoline_kernelINS0_14default_configENS1_27scan_by_key_config_selectorIllEEZZNS1_16scan_by_key_implILNS1_25lookback_scan_determinismE0ELb0ES3_PKlN6hipcub16HIPCUB_304000_NS21ConstantInputIteratorIllEEPllNSB_3SumENSB_8EqualityElEE10hipError_tPvRmT2_T3_T4_T5_mT6_T7_P12ihipStream_tbENKUlT_T0_E_clISt17integral_constantIbLb0EESX_EEDaSS_ST_EUlSS_E_NS1_11comp_targetILNS1_3genE8ELNS1_11target_archE1030ELNS1_3gpuE2ELNS1_3repE0EEENS1_30default_config_static_selectorELNS0_4arch9wavefront6targetE0EEEvT1_.uses_flat_scratch, 0
	.set _ZN7rocprim17ROCPRIM_400000_NS6detail17trampoline_kernelINS0_14default_configENS1_27scan_by_key_config_selectorIllEEZZNS1_16scan_by_key_implILNS1_25lookback_scan_determinismE0ELb0ES3_PKlN6hipcub16HIPCUB_304000_NS21ConstantInputIteratorIllEEPllNSB_3SumENSB_8EqualityElEE10hipError_tPvRmT2_T3_T4_T5_mT6_T7_P12ihipStream_tbENKUlT_T0_E_clISt17integral_constantIbLb0EESX_EEDaSS_ST_EUlSS_E_NS1_11comp_targetILNS1_3genE8ELNS1_11target_archE1030ELNS1_3gpuE2ELNS1_3repE0EEENS1_30default_config_static_selectorELNS0_4arch9wavefront6targetE0EEEvT1_.has_dyn_sized_stack, 0
	.set _ZN7rocprim17ROCPRIM_400000_NS6detail17trampoline_kernelINS0_14default_configENS1_27scan_by_key_config_selectorIllEEZZNS1_16scan_by_key_implILNS1_25lookback_scan_determinismE0ELb0ES3_PKlN6hipcub16HIPCUB_304000_NS21ConstantInputIteratorIllEEPllNSB_3SumENSB_8EqualityElEE10hipError_tPvRmT2_T3_T4_T5_mT6_T7_P12ihipStream_tbENKUlT_T0_E_clISt17integral_constantIbLb0EESX_EEDaSS_ST_EUlSS_E_NS1_11comp_targetILNS1_3genE8ELNS1_11target_archE1030ELNS1_3gpuE2ELNS1_3repE0EEENS1_30default_config_static_selectorELNS0_4arch9wavefront6targetE0EEEvT1_.has_recursion, 0
	.set _ZN7rocprim17ROCPRIM_400000_NS6detail17trampoline_kernelINS0_14default_configENS1_27scan_by_key_config_selectorIllEEZZNS1_16scan_by_key_implILNS1_25lookback_scan_determinismE0ELb0ES3_PKlN6hipcub16HIPCUB_304000_NS21ConstantInputIteratorIllEEPllNSB_3SumENSB_8EqualityElEE10hipError_tPvRmT2_T3_T4_T5_mT6_T7_P12ihipStream_tbENKUlT_T0_E_clISt17integral_constantIbLb0EESX_EEDaSS_ST_EUlSS_E_NS1_11comp_targetILNS1_3genE8ELNS1_11target_archE1030ELNS1_3gpuE2ELNS1_3repE0EEENS1_30default_config_static_selectorELNS0_4arch9wavefront6targetE0EEEvT1_.has_indirect_call, 0
	.section	.AMDGPU.csdata,"",@progbits
; Kernel info:
; codeLenInByte = 13832
; TotalNumSgprs: 50
; NumVgprs: 108
; ScratchSize: 0
; MemoryBound: 0
; FloatMode: 240
; IeeeMode: 1
; LDSByteSize: 30720 bytes/workgroup (compile time only)
; SGPRBlocks: 0
; VGPRBlocks: 14
; NumSGPRsForWavesPerEU: 50
; NumVGPRsForWavesPerEU: 113
; Occupancy: 8
; WaveLimiterHint : 1
; COMPUTE_PGM_RSRC2:SCRATCH_EN: 0
; COMPUTE_PGM_RSRC2:USER_SGPR: 6
; COMPUTE_PGM_RSRC2:TRAP_HANDLER: 0
; COMPUTE_PGM_RSRC2:TGID_X_EN: 1
; COMPUTE_PGM_RSRC2:TGID_Y_EN: 0
; COMPUTE_PGM_RSRC2:TGID_Z_EN: 0
; COMPUTE_PGM_RSRC2:TIDIG_COMP_CNT: 0
	.section	.text._ZN7rocprim17ROCPRIM_400000_NS6detail30init_device_scan_by_key_kernelINS1_19lookback_scan_stateINS0_5tupleIJlbEEELb1ELb0EEEPKljNS1_16block_id_wrapperIjLb1EEEEEvT_jjPNSB_10value_typeET0_PNSt15iterator_traitsISE_E10value_typeEmT1_T2_,"axG",@progbits,_ZN7rocprim17ROCPRIM_400000_NS6detail30init_device_scan_by_key_kernelINS1_19lookback_scan_stateINS0_5tupleIJlbEEELb1ELb0EEEPKljNS1_16block_id_wrapperIjLb1EEEEEvT_jjPNSB_10value_typeET0_PNSt15iterator_traitsISE_E10value_typeEmT1_T2_,comdat
	.protected	_ZN7rocprim17ROCPRIM_400000_NS6detail30init_device_scan_by_key_kernelINS1_19lookback_scan_stateINS0_5tupleIJlbEEELb1ELb0EEEPKljNS1_16block_id_wrapperIjLb1EEEEEvT_jjPNSB_10value_typeET0_PNSt15iterator_traitsISE_E10value_typeEmT1_T2_ ; -- Begin function _ZN7rocprim17ROCPRIM_400000_NS6detail30init_device_scan_by_key_kernelINS1_19lookback_scan_stateINS0_5tupleIJlbEEELb1ELb0EEEPKljNS1_16block_id_wrapperIjLb1EEEEEvT_jjPNSB_10value_typeET0_PNSt15iterator_traitsISE_E10value_typeEmT1_T2_
	.globl	_ZN7rocprim17ROCPRIM_400000_NS6detail30init_device_scan_by_key_kernelINS1_19lookback_scan_stateINS0_5tupleIJlbEEELb1ELb0EEEPKljNS1_16block_id_wrapperIjLb1EEEEEvT_jjPNSB_10value_typeET0_PNSt15iterator_traitsISE_E10value_typeEmT1_T2_
	.p2align	8
	.type	_ZN7rocprim17ROCPRIM_400000_NS6detail30init_device_scan_by_key_kernelINS1_19lookback_scan_stateINS0_5tupleIJlbEEELb1ELb0EEEPKljNS1_16block_id_wrapperIjLb1EEEEEvT_jjPNSB_10value_typeET0_PNSt15iterator_traitsISE_E10value_typeEmT1_T2_,@function
_ZN7rocprim17ROCPRIM_400000_NS6detail30init_device_scan_by_key_kernelINS1_19lookback_scan_stateINS0_5tupleIJlbEEELb1ELb0EEEPKljNS1_16block_id_wrapperIjLb1EEEEEvT_jjPNSB_10value_typeET0_PNSt15iterator_traitsISE_E10value_typeEmT1_T2_: ; @_ZN7rocprim17ROCPRIM_400000_NS6detail30init_device_scan_by_key_kernelINS1_19lookback_scan_stateINS0_5tupleIJlbEEELb1ELb0EEEPKljNS1_16block_id_wrapperIjLb1EEEEEvT_jjPNSB_10value_typeET0_PNSt15iterator_traitsISE_E10value_typeEmT1_T2_
; %bb.0:
	s_clause 0x2
	s_load_dword s0, s[4:5], 0x5c
	s_load_dwordx8 s[8:15], s[4:5], 0x10
	s_load_dword s18, s[4:5], 0x50
	s_waitcnt lgkmcnt(0)
	s_and_b32 s19, s0, 0xffff
	s_cmp_eq_u64 s[12:13], 0
	v_mad_u64_u32 v[0:1], null, s6, s19, v[0:1]
	s_cbranch_scc1 .LBB103_9
; %bb.1:
	s_cmp_lt_u32 s11, s10
	s_mov_b32 s7, 0
	s_cselect_b32 s0, s11, 0
	s_mov_b32 s20, exec_lo
	v_cmpx_eq_u32_e64 s0, v0
	s_cbranch_execz .LBB103_8
; %bb.2:
	s_add_i32 s6, s11, 32
	s_load_dwordx4 s[0:3], s[4:5], 0x0
	v_mov_b32_e32 v1, s6
	s_add_u32 s16, s8, s6
	s_addc_u32 s17, s9, 0
	global_load_ubyte v2, v1, s[8:9] glc dlc
	v_mov_b32_e32 v1, 0
	s_waitcnt vmcnt(0)
	v_cmp_ne_u32_sdwa s11, v2, v1 src0_sel:WORD_0 src1_sel:DWORD
	v_readfirstlane_b32 s21, v2
	s_and_b32 vcc_lo, exec_lo, s11
	s_cbranch_vccnz .LBB103_7
; %bb.3:
	s_mov_b32 s11, 1
.LBB103_4:                              ; =>This Loop Header: Depth=1
                                        ;     Child Loop BB103_5 Depth 2
	s_mov_b32 s21, s11
.LBB103_5:                              ;   Parent Loop BB103_4 Depth=1
                                        ; =>  This Inner Loop Header: Depth=2
	s_add_i32 s21, s21, -1
	s_sleep 1
	s_cmp_eq_u32 s21, 0
	s_cbranch_scc0 .LBB103_5
; %bb.6:                                ;   in Loop: Header=BB103_4 Depth=1
	global_load_ubyte v2, v1, s[16:17] glc dlc
	s_cmp_lt_u32 s11, 32
	s_cselect_b32 s21, -1, 0
	s_cmp_lg_u32 s21, 0
	s_addc_u32 s11, s11, 0
	s_waitcnt vmcnt(0)
	v_cmp_ne_u32_sdwa s22, v2, v1 src0_sel:WORD_0 src1_sel:DWORD
	v_readfirstlane_b32 s21, v2
	s_and_b32 vcc_lo, exec_lo, s22
	s_cbranch_vccz .LBB103_4
.LBB103_7:
	s_and_b32 s11, 0xffff, s21
	v_mov_b32_e32 v3, 0
	s_cmp_eq_u32 s11, 1
	s_waitcnt lgkmcnt(0)
	buffer_gl1_inv
	buffer_gl0_inv
	s_cselect_b32 s3, s1, s3
	s_cselect_b32 s2, s0, s2
	s_lshl_b64 s[0:1], s[6:7], 4
	s_add_u32 s0, s2, s0
	s_addc_u32 s1, s3, s1
	s_clause 0x1
	global_load_dwordx2 v[1:2], v3, s[0:1]
	global_load_ubyte v4, v3, s[0:1] offset:8
	s_waitcnt vmcnt(1)
	global_store_dwordx2 v3, v[1:2], s[12:13]
	s_waitcnt vmcnt(0)
	global_store_byte v3, v4, s[12:13] offset:8
.LBB103_8:
	s_or_b32 exec_lo, exec_lo, s20
.LBB103_9:
	s_mov_b32 s0, exec_lo
	v_cmpx_eq_u32_e32 0, v0
	s_cbranch_execz .LBB103_11
; %bb.10:
	s_load_dwordx2 s[2:3], s[4:5], 0x48
	v_mov_b32_e32 v1, 0
	s_waitcnt lgkmcnt(0)
	global_store_dword v1, v1, s[2:3]
.LBB103_11:
	s_or_b32 exec_lo, exec_lo, s0
	s_mov_b32 s0, exec_lo
	v_cmpx_gt_u32_e64 s10, v0
	s_cbranch_execz .LBB103_13
; %bb.12:
	v_add_nc_u32_e32 v1, 32, v0
	v_mov_b32_e32 v2, 0
	global_store_byte v1, v2, s[8:9]
.LBB103_13:
	s_or_b32 exec_lo, exec_lo, s0
	v_mov_b32_e32 v1, 0
	s_mov_b32 s0, exec_lo
	v_cmpx_gt_u32_e32 32, v0
	s_cbranch_execz .LBB103_15
; %bb.14:
	v_add_co_u32 v2, s1, s8, v0
	v_add_co_ci_u32_e64 v3, null, s9, 0, s1
	v_mov_b32_e32 v4, 0xff
	global_store_byte v[2:3], v4, off
.LBB103_15:
	s_or_b32 exec_lo, exec_lo, s0
	s_load_dwordx2 s[2:3], s[4:5], 0x38
	s_mov_b32 s0, exec_lo
	s_waitcnt lgkmcnt(0)
	v_cmpx_gt_u64_e64 s[2:3], v[0:1]
	s_cbranch_execz .LBB103_18
; %bb.16:
	s_clause 0x1
	s_load_dword s8, s[4:5], 0x40
	s_load_dwordx2 s[6:7], s[4:5], 0x30
	s_mov_b32 s1, 0
	v_lshlrev_b64 v[4:5], 3, v[0:1]
	s_mul_i32 s4, s18, s19
	s_waitcnt lgkmcnt(0)
	v_mad_u64_u32 v[2:3], null, s8, v0, 0
	s_add_i32 s0, s8, -1
	s_mul_hi_u32 s9, s8, s4
	s_lshl_b64 s[10:11], s[0:1], 3
	s_mul_i32 s8, s8, s4
	s_add_u32 s0, s14, s10
	s_addc_u32 s5, s15, s11
	v_lshlrev_b64 v[2:3], 3, v[2:3]
	v_add_co_u32 v2, vcc_lo, s0, v2
	v_add_co_ci_u32_e64 v3, null, s5, v3, vcc_lo
	v_add_co_u32 v4, vcc_lo, s6, v4
	v_add_co_ci_u32_e64 v5, null, s7, v5, vcc_lo
	s_mov_b32 s5, s1
	s_lshl_b64 s[6:7], s[8:9], 3
	s_lshl_b64 s[8:9], s[4:5], 3
	.p2align	6
.LBB103_17:                             ; =>This Inner Loop Header: Depth=1
	global_load_dwordx2 v[6:7], v[2:3], off
	v_add_co_u32 v0, vcc_lo, v0, s4
	v_add_co_ci_u32_e64 v1, null, 0, v1, vcc_lo
	v_add_co_u32 v2, vcc_lo, v2, s6
	v_add_co_ci_u32_e64 v3, null, s7, v3, vcc_lo
	v_cmp_le_u64_e32 vcc_lo, s[2:3], v[0:1]
	s_or_b32 s1, vcc_lo, s1
	s_waitcnt vmcnt(0)
	global_store_dwordx2 v[4:5], v[6:7], off
	v_add_co_u32 v4, s0, v4, s8
	v_add_co_ci_u32_e64 v5, null, s9, v5, s0
	s_andn2_b32 exec_lo, exec_lo, s1
	s_cbranch_execnz .LBB103_17
.LBB103_18:
	s_endpgm
	.section	.rodata,"a",@progbits
	.p2align	6, 0x0
	.amdhsa_kernel _ZN7rocprim17ROCPRIM_400000_NS6detail30init_device_scan_by_key_kernelINS1_19lookback_scan_stateINS0_5tupleIJlbEEELb1ELb0EEEPKljNS1_16block_id_wrapperIjLb1EEEEEvT_jjPNSB_10value_typeET0_PNSt15iterator_traitsISE_E10value_typeEmT1_T2_
		.amdhsa_group_segment_fixed_size 0
		.amdhsa_private_segment_fixed_size 0
		.amdhsa_kernarg_size 336
		.amdhsa_user_sgpr_count 6
		.amdhsa_user_sgpr_private_segment_buffer 1
		.amdhsa_user_sgpr_dispatch_ptr 0
		.amdhsa_user_sgpr_queue_ptr 0
		.amdhsa_user_sgpr_kernarg_segment_ptr 1
		.amdhsa_user_sgpr_dispatch_id 0
		.amdhsa_user_sgpr_flat_scratch_init 0
		.amdhsa_user_sgpr_private_segment_size 0
		.amdhsa_wavefront_size32 1
		.amdhsa_uses_dynamic_stack 0
		.amdhsa_system_sgpr_private_segment_wavefront_offset 0
		.amdhsa_system_sgpr_workgroup_id_x 1
		.amdhsa_system_sgpr_workgroup_id_y 0
		.amdhsa_system_sgpr_workgroup_id_z 0
		.amdhsa_system_sgpr_workgroup_info 0
		.amdhsa_system_vgpr_workitem_id 0
		.amdhsa_next_free_vgpr 8
		.amdhsa_next_free_sgpr 23
		.amdhsa_reserve_vcc 1
		.amdhsa_reserve_flat_scratch 0
		.amdhsa_float_round_mode_32 0
		.amdhsa_float_round_mode_16_64 0
		.amdhsa_float_denorm_mode_32 3
		.amdhsa_float_denorm_mode_16_64 3
		.amdhsa_dx10_clamp 1
		.amdhsa_ieee_mode 1
		.amdhsa_fp16_overflow 0
		.amdhsa_workgroup_processor_mode 1
		.amdhsa_memory_ordered 1
		.amdhsa_forward_progress 1
		.amdhsa_shared_vgpr_count 0
		.amdhsa_exception_fp_ieee_invalid_op 0
		.amdhsa_exception_fp_denorm_src 0
		.amdhsa_exception_fp_ieee_div_zero 0
		.amdhsa_exception_fp_ieee_overflow 0
		.amdhsa_exception_fp_ieee_underflow 0
		.amdhsa_exception_fp_ieee_inexact 0
		.amdhsa_exception_int_div_zero 0
	.end_amdhsa_kernel
	.section	.text._ZN7rocprim17ROCPRIM_400000_NS6detail30init_device_scan_by_key_kernelINS1_19lookback_scan_stateINS0_5tupleIJlbEEELb1ELb0EEEPKljNS1_16block_id_wrapperIjLb1EEEEEvT_jjPNSB_10value_typeET0_PNSt15iterator_traitsISE_E10value_typeEmT1_T2_,"axG",@progbits,_ZN7rocprim17ROCPRIM_400000_NS6detail30init_device_scan_by_key_kernelINS1_19lookback_scan_stateINS0_5tupleIJlbEEELb1ELb0EEEPKljNS1_16block_id_wrapperIjLb1EEEEEvT_jjPNSB_10value_typeET0_PNSt15iterator_traitsISE_E10value_typeEmT1_T2_,comdat
.Lfunc_end103:
	.size	_ZN7rocprim17ROCPRIM_400000_NS6detail30init_device_scan_by_key_kernelINS1_19lookback_scan_stateINS0_5tupleIJlbEEELb1ELb0EEEPKljNS1_16block_id_wrapperIjLb1EEEEEvT_jjPNSB_10value_typeET0_PNSt15iterator_traitsISE_E10value_typeEmT1_T2_, .Lfunc_end103-_ZN7rocprim17ROCPRIM_400000_NS6detail30init_device_scan_by_key_kernelINS1_19lookback_scan_stateINS0_5tupleIJlbEEELb1ELb0EEEPKljNS1_16block_id_wrapperIjLb1EEEEEvT_jjPNSB_10value_typeET0_PNSt15iterator_traitsISE_E10value_typeEmT1_T2_
                                        ; -- End function
	.set _ZN7rocprim17ROCPRIM_400000_NS6detail30init_device_scan_by_key_kernelINS1_19lookback_scan_stateINS0_5tupleIJlbEEELb1ELb0EEEPKljNS1_16block_id_wrapperIjLb1EEEEEvT_jjPNSB_10value_typeET0_PNSt15iterator_traitsISE_E10value_typeEmT1_T2_.num_vgpr, 8
	.set _ZN7rocprim17ROCPRIM_400000_NS6detail30init_device_scan_by_key_kernelINS1_19lookback_scan_stateINS0_5tupleIJlbEEELb1ELb0EEEPKljNS1_16block_id_wrapperIjLb1EEEEEvT_jjPNSB_10value_typeET0_PNSt15iterator_traitsISE_E10value_typeEmT1_T2_.num_agpr, 0
	.set _ZN7rocprim17ROCPRIM_400000_NS6detail30init_device_scan_by_key_kernelINS1_19lookback_scan_stateINS0_5tupleIJlbEEELb1ELb0EEEPKljNS1_16block_id_wrapperIjLb1EEEEEvT_jjPNSB_10value_typeET0_PNSt15iterator_traitsISE_E10value_typeEmT1_T2_.numbered_sgpr, 23
	.set _ZN7rocprim17ROCPRIM_400000_NS6detail30init_device_scan_by_key_kernelINS1_19lookback_scan_stateINS0_5tupleIJlbEEELb1ELb0EEEPKljNS1_16block_id_wrapperIjLb1EEEEEvT_jjPNSB_10value_typeET0_PNSt15iterator_traitsISE_E10value_typeEmT1_T2_.num_named_barrier, 0
	.set _ZN7rocprim17ROCPRIM_400000_NS6detail30init_device_scan_by_key_kernelINS1_19lookback_scan_stateINS0_5tupleIJlbEEELb1ELb0EEEPKljNS1_16block_id_wrapperIjLb1EEEEEvT_jjPNSB_10value_typeET0_PNSt15iterator_traitsISE_E10value_typeEmT1_T2_.private_seg_size, 0
	.set _ZN7rocprim17ROCPRIM_400000_NS6detail30init_device_scan_by_key_kernelINS1_19lookback_scan_stateINS0_5tupleIJlbEEELb1ELb0EEEPKljNS1_16block_id_wrapperIjLb1EEEEEvT_jjPNSB_10value_typeET0_PNSt15iterator_traitsISE_E10value_typeEmT1_T2_.uses_vcc, 1
	.set _ZN7rocprim17ROCPRIM_400000_NS6detail30init_device_scan_by_key_kernelINS1_19lookback_scan_stateINS0_5tupleIJlbEEELb1ELb0EEEPKljNS1_16block_id_wrapperIjLb1EEEEEvT_jjPNSB_10value_typeET0_PNSt15iterator_traitsISE_E10value_typeEmT1_T2_.uses_flat_scratch, 0
	.set _ZN7rocprim17ROCPRIM_400000_NS6detail30init_device_scan_by_key_kernelINS1_19lookback_scan_stateINS0_5tupleIJlbEEELb1ELb0EEEPKljNS1_16block_id_wrapperIjLb1EEEEEvT_jjPNSB_10value_typeET0_PNSt15iterator_traitsISE_E10value_typeEmT1_T2_.has_dyn_sized_stack, 0
	.set _ZN7rocprim17ROCPRIM_400000_NS6detail30init_device_scan_by_key_kernelINS1_19lookback_scan_stateINS0_5tupleIJlbEEELb1ELb0EEEPKljNS1_16block_id_wrapperIjLb1EEEEEvT_jjPNSB_10value_typeET0_PNSt15iterator_traitsISE_E10value_typeEmT1_T2_.has_recursion, 0
	.set _ZN7rocprim17ROCPRIM_400000_NS6detail30init_device_scan_by_key_kernelINS1_19lookback_scan_stateINS0_5tupleIJlbEEELb1ELb0EEEPKljNS1_16block_id_wrapperIjLb1EEEEEvT_jjPNSB_10value_typeET0_PNSt15iterator_traitsISE_E10value_typeEmT1_T2_.has_indirect_call, 0
	.section	.AMDGPU.csdata,"",@progbits
; Kernel info:
; codeLenInByte = 728
; TotalNumSgprs: 25
; NumVgprs: 8
; ScratchSize: 0
; MemoryBound: 0
; FloatMode: 240
; IeeeMode: 1
; LDSByteSize: 0 bytes/workgroup (compile time only)
; SGPRBlocks: 0
; VGPRBlocks: 0
; NumSGPRsForWavesPerEU: 25
; NumVGPRsForWavesPerEU: 8
; Occupancy: 16
; WaveLimiterHint : 0
; COMPUTE_PGM_RSRC2:SCRATCH_EN: 0
; COMPUTE_PGM_RSRC2:USER_SGPR: 6
; COMPUTE_PGM_RSRC2:TRAP_HANDLER: 0
; COMPUTE_PGM_RSRC2:TGID_X_EN: 1
; COMPUTE_PGM_RSRC2:TGID_Y_EN: 0
; COMPUTE_PGM_RSRC2:TGID_Z_EN: 0
; COMPUTE_PGM_RSRC2:TIDIG_COMP_CNT: 0
	.section	.text._ZN7rocprim17ROCPRIM_400000_NS6detail30init_device_scan_by_key_kernelINS1_19lookback_scan_stateINS0_5tupleIJlbEEELb1ELb0EEENS1_16block_id_wrapperIjLb1EEEEEvT_jjPNS9_10value_typeET0_,"axG",@progbits,_ZN7rocprim17ROCPRIM_400000_NS6detail30init_device_scan_by_key_kernelINS1_19lookback_scan_stateINS0_5tupleIJlbEEELb1ELb0EEENS1_16block_id_wrapperIjLb1EEEEEvT_jjPNS9_10value_typeET0_,comdat
	.protected	_ZN7rocprim17ROCPRIM_400000_NS6detail30init_device_scan_by_key_kernelINS1_19lookback_scan_stateINS0_5tupleIJlbEEELb1ELb0EEENS1_16block_id_wrapperIjLb1EEEEEvT_jjPNS9_10value_typeET0_ ; -- Begin function _ZN7rocprim17ROCPRIM_400000_NS6detail30init_device_scan_by_key_kernelINS1_19lookback_scan_stateINS0_5tupleIJlbEEELb1ELb0EEENS1_16block_id_wrapperIjLb1EEEEEvT_jjPNS9_10value_typeET0_
	.globl	_ZN7rocprim17ROCPRIM_400000_NS6detail30init_device_scan_by_key_kernelINS1_19lookback_scan_stateINS0_5tupleIJlbEEELb1ELb0EEENS1_16block_id_wrapperIjLb1EEEEEvT_jjPNS9_10value_typeET0_
	.p2align	8
	.type	_ZN7rocprim17ROCPRIM_400000_NS6detail30init_device_scan_by_key_kernelINS1_19lookback_scan_stateINS0_5tupleIJlbEEELb1ELb0EEENS1_16block_id_wrapperIjLb1EEEEEvT_jjPNS9_10value_typeET0_,@function
_ZN7rocprim17ROCPRIM_400000_NS6detail30init_device_scan_by_key_kernelINS1_19lookback_scan_stateINS0_5tupleIJlbEEELb1ELb0EEENS1_16block_id_wrapperIjLb1EEEEEvT_jjPNS9_10value_typeET0_: ; @_ZN7rocprim17ROCPRIM_400000_NS6detail30init_device_scan_by_key_kernelINS1_19lookback_scan_stateINS0_5tupleIJlbEEELb1ELb0EEENS1_16block_id_wrapperIjLb1EEEEEvT_jjPNS9_10value_typeET0_
; %bb.0:
	s_clause 0x1
	s_load_dword s0, s[4:5], 0x3c
	s_load_dwordx8 s[8:15], s[4:5], 0x10
	s_waitcnt lgkmcnt(0)
	s_and_b32 s0, s0, 0xffff
	s_cmp_eq_u64 s[12:13], 0
	v_mad_u64_u32 v[0:1], null, s6, s0, v[0:1]
	s_cbranch_scc1 .LBB104_9
; %bb.1:
	s_cmp_lt_u32 s11, s10
	s_mov_b32 s7, 0
	s_cselect_b32 s0, s11, 0
	s_mov_b32 s16, exec_lo
	v_cmpx_eq_u32_e64 s0, v0
	s_cbranch_execz .LBB104_8
; %bb.2:
	s_add_i32 s6, s11, 32
	s_load_dwordx4 s[0:3], s[4:5], 0x0
	v_mov_b32_e32 v1, s6
	s_add_u32 s4, s8, s6
	s_addc_u32 s5, s9, 0
	global_load_ubyte v2, v1, s[8:9] glc dlc
	v_mov_b32_e32 v1, 0
	s_waitcnt vmcnt(0)
	v_cmp_ne_u32_sdwa s11, v2, v1 src0_sel:WORD_0 src1_sel:DWORD
	v_readfirstlane_b32 s17, v2
	s_and_b32 vcc_lo, exec_lo, s11
	s_cbranch_vccnz .LBB104_7
; %bb.3:
	s_mov_b32 s11, 1
.LBB104_4:                              ; =>This Loop Header: Depth=1
                                        ;     Child Loop BB104_5 Depth 2
	s_mov_b32 s17, s11
.LBB104_5:                              ;   Parent Loop BB104_4 Depth=1
                                        ; =>  This Inner Loop Header: Depth=2
	s_add_i32 s17, s17, -1
	s_sleep 1
	s_cmp_eq_u32 s17, 0
	s_cbranch_scc0 .LBB104_5
; %bb.6:                                ;   in Loop: Header=BB104_4 Depth=1
	global_load_ubyte v2, v1, s[4:5] glc dlc
	s_cmp_lt_u32 s11, 32
	s_cselect_b32 s17, -1, 0
	s_cmp_lg_u32 s17, 0
	s_addc_u32 s11, s11, 0
	s_waitcnt vmcnt(0)
	v_cmp_ne_u32_sdwa s18, v2, v1 src0_sel:WORD_0 src1_sel:DWORD
	v_readfirstlane_b32 s17, v2
	s_and_b32 vcc_lo, exec_lo, s18
	s_cbranch_vccz .LBB104_4
.LBB104_7:
	s_and_b32 s4, 0xffff, s17
	v_mov_b32_e32 v3, 0
	s_cmp_eq_u32 s4, 1
	s_waitcnt lgkmcnt(0)
	buffer_gl1_inv
	buffer_gl0_inv
	s_cselect_b32 s3, s1, s3
	s_cselect_b32 s2, s0, s2
	s_lshl_b64 s[0:1], s[6:7], 4
	s_add_u32 s0, s2, s0
	s_addc_u32 s1, s3, s1
	s_clause 0x1
	global_load_dwordx2 v[1:2], v3, s[0:1]
	global_load_ubyte v4, v3, s[0:1] offset:8
	s_waitcnt vmcnt(1)
	global_store_dwordx2 v3, v[1:2], s[12:13]
	s_waitcnt vmcnt(0)
	global_store_byte v3, v4, s[12:13] offset:8
.LBB104_8:
	s_or_b32 exec_lo, exec_lo, s16
.LBB104_9:
	s_mov_b32 s0, exec_lo
	v_cmpx_eq_u32_e32 0, v0
	s_cbranch_execz .LBB104_11
; %bb.10:
	v_mov_b32_e32 v1, 0
	global_store_dword v1, v1, s[14:15]
.LBB104_11:
	s_or_b32 exec_lo, exec_lo, s0
	s_mov_b32 s0, exec_lo
	v_cmpx_gt_u32_e64 s10, v0
	s_cbranch_execz .LBB104_13
; %bb.12:
	v_add_nc_u32_e32 v1, 32, v0
	v_mov_b32_e32 v2, 0
	global_store_byte v1, v2, s[8:9]
.LBB104_13:
	s_or_b32 exec_lo, exec_lo, s0
	s_mov_b32 s0, exec_lo
	v_cmpx_gt_u32_e32 32, v0
	s_cbranch_execz .LBB104_15
; %bb.14:
	v_mov_b32_e32 v1, 0xff
	global_store_byte v0, v1, s[8:9]
.LBB104_15:
	s_endpgm
	.section	.rodata,"a",@progbits
	.p2align	6, 0x0
	.amdhsa_kernel _ZN7rocprim17ROCPRIM_400000_NS6detail30init_device_scan_by_key_kernelINS1_19lookback_scan_stateINS0_5tupleIJlbEEELb1ELb0EEENS1_16block_id_wrapperIjLb1EEEEEvT_jjPNS9_10value_typeET0_
		.amdhsa_group_segment_fixed_size 0
		.amdhsa_private_segment_fixed_size 0
		.amdhsa_kernarg_size 304
		.amdhsa_user_sgpr_count 6
		.amdhsa_user_sgpr_private_segment_buffer 1
		.amdhsa_user_sgpr_dispatch_ptr 0
		.amdhsa_user_sgpr_queue_ptr 0
		.amdhsa_user_sgpr_kernarg_segment_ptr 1
		.amdhsa_user_sgpr_dispatch_id 0
		.amdhsa_user_sgpr_flat_scratch_init 0
		.amdhsa_user_sgpr_private_segment_size 0
		.amdhsa_wavefront_size32 1
		.amdhsa_uses_dynamic_stack 0
		.amdhsa_system_sgpr_private_segment_wavefront_offset 0
		.amdhsa_system_sgpr_workgroup_id_x 1
		.amdhsa_system_sgpr_workgroup_id_y 0
		.amdhsa_system_sgpr_workgroup_id_z 0
		.amdhsa_system_sgpr_workgroup_info 0
		.amdhsa_system_vgpr_workitem_id 0
		.amdhsa_next_free_vgpr 5
		.amdhsa_next_free_sgpr 19
		.amdhsa_reserve_vcc 1
		.amdhsa_reserve_flat_scratch 0
		.amdhsa_float_round_mode_32 0
		.amdhsa_float_round_mode_16_64 0
		.amdhsa_float_denorm_mode_32 3
		.amdhsa_float_denorm_mode_16_64 3
		.amdhsa_dx10_clamp 1
		.amdhsa_ieee_mode 1
		.amdhsa_fp16_overflow 0
		.amdhsa_workgroup_processor_mode 1
		.amdhsa_memory_ordered 1
		.amdhsa_forward_progress 1
		.amdhsa_shared_vgpr_count 0
		.amdhsa_exception_fp_ieee_invalid_op 0
		.amdhsa_exception_fp_denorm_src 0
		.amdhsa_exception_fp_ieee_div_zero 0
		.amdhsa_exception_fp_ieee_overflow 0
		.amdhsa_exception_fp_ieee_underflow 0
		.amdhsa_exception_fp_ieee_inexact 0
		.amdhsa_exception_int_div_zero 0
	.end_amdhsa_kernel
	.section	.text._ZN7rocprim17ROCPRIM_400000_NS6detail30init_device_scan_by_key_kernelINS1_19lookback_scan_stateINS0_5tupleIJlbEEELb1ELb0EEENS1_16block_id_wrapperIjLb1EEEEEvT_jjPNS9_10value_typeET0_,"axG",@progbits,_ZN7rocprim17ROCPRIM_400000_NS6detail30init_device_scan_by_key_kernelINS1_19lookback_scan_stateINS0_5tupleIJlbEEELb1ELb0EEENS1_16block_id_wrapperIjLb1EEEEEvT_jjPNS9_10value_typeET0_,comdat
.Lfunc_end104:
	.size	_ZN7rocprim17ROCPRIM_400000_NS6detail30init_device_scan_by_key_kernelINS1_19lookback_scan_stateINS0_5tupleIJlbEEELb1ELb0EEENS1_16block_id_wrapperIjLb1EEEEEvT_jjPNS9_10value_typeET0_, .Lfunc_end104-_ZN7rocprim17ROCPRIM_400000_NS6detail30init_device_scan_by_key_kernelINS1_19lookback_scan_stateINS0_5tupleIJlbEEELb1ELb0EEENS1_16block_id_wrapperIjLb1EEEEEvT_jjPNS9_10value_typeET0_
                                        ; -- End function
	.set _ZN7rocprim17ROCPRIM_400000_NS6detail30init_device_scan_by_key_kernelINS1_19lookback_scan_stateINS0_5tupleIJlbEEELb1ELb0EEENS1_16block_id_wrapperIjLb1EEEEEvT_jjPNS9_10value_typeET0_.num_vgpr, 5
	.set _ZN7rocprim17ROCPRIM_400000_NS6detail30init_device_scan_by_key_kernelINS1_19lookback_scan_stateINS0_5tupleIJlbEEELb1ELb0EEENS1_16block_id_wrapperIjLb1EEEEEvT_jjPNS9_10value_typeET0_.num_agpr, 0
	.set _ZN7rocprim17ROCPRIM_400000_NS6detail30init_device_scan_by_key_kernelINS1_19lookback_scan_stateINS0_5tupleIJlbEEELb1ELb0EEENS1_16block_id_wrapperIjLb1EEEEEvT_jjPNS9_10value_typeET0_.numbered_sgpr, 19
	.set _ZN7rocprim17ROCPRIM_400000_NS6detail30init_device_scan_by_key_kernelINS1_19lookback_scan_stateINS0_5tupleIJlbEEELb1ELb0EEENS1_16block_id_wrapperIjLb1EEEEEvT_jjPNS9_10value_typeET0_.num_named_barrier, 0
	.set _ZN7rocprim17ROCPRIM_400000_NS6detail30init_device_scan_by_key_kernelINS1_19lookback_scan_stateINS0_5tupleIJlbEEELb1ELb0EEENS1_16block_id_wrapperIjLb1EEEEEvT_jjPNS9_10value_typeET0_.private_seg_size, 0
	.set _ZN7rocprim17ROCPRIM_400000_NS6detail30init_device_scan_by_key_kernelINS1_19lookback_scan_stateINS0_5tupleIJlbEEELb1ELb0EEENS1_16block_id_wrapperIjLb1EEEEEvT_jjPNS9_10value_typeET0_.uses_vcc, 1
	.set _ZN7rocprim17ROCPRIM_400000_NS6detail30init_device_scan_by_key_kernelINS1_19lookback_scan_stateINS0_5tupleIJlbEEELb1ELb0EEENS1_16block_id_wrapperIjLb1EEEEEvT_jjPNS9_10value_typeET0_.uses_flat_scratch, 0
	.set _ZN7rocprim17ROCPRIM_400000_NS6detail30init_device_scan_by_key_kernelINS1_19lookback_scan_stateINS0_5tupleIJlbEEELb1ELb0EEENS1_16block_id_wrapperIjLb1EEEEEvT_jjPNS9_10value_typeET0_.has_dyn_sized_stack, 0
	.set _ZN7rocprim17ROCPRIM_400000_NS6detail30init_device_scan_by_key_kernelINS1_19lookback_scan_stateINS0_5tupleIJlbEEELb1ELb0EEENS1_16block_id_wrapperIjLb1EEEEEvT_jjPNS9_10value_typeET0_.has_recursion, 0
	.set _ZN7rocprim17ROCPRIM_400000_NS6detail30init_device_scan_by_key_kernelINS1_19lookback_scan_stateINS0_5tupleIJlbEEELb1ELb0EEENS1_16block_id_wrapperIjLb1EEEEEvT_jjPNS9_10value_typeET0_.has_indirect_call, 0
	.section	.AMDGPU.csdata,"",@progbits
; Kernel info:
; codeLenInByte = 408
; TotalNumSgprs: 21
; NumVgprs: 5
; ScratchSize: 0
; MemoryBound: 0
; FloatMode: 240
; IeeeMode: 1
; LDSByteSize: 0 bytes/workgroup (compile time only)
; SGPRBlocks: 0
; VGPRBlocks: 0
; NumSGPRsForWavesPerEU: 21
; NumVGPRsForWavesPerEU: 5
; Occupancy: 16
; WaveLimiterHint : 0
; COMPUTE_PGM_RSRC2:SCRATCH_EN: 0
; COMPUTE_PGM_RSRC2:USER_SGPR: 6
; COMPUTE_PGM_RSRC2:TRAP_HANDLER: 0
; COMPUTE_PGM_RSRC2:TGID_X_EN: 1
; COMPUTE_PGM_RSRC2:TGID_Y_EN: 0
; COMPUTE_PGM_RSRC2:TGID_Z_EN: 0
; COMPUTE_PGM_RSRC2:TIDIG_COMP_CNT: 0
	.section	.text._ZN7rocprim17ROCPRIM_400000_NS6detail17trampoline_kernelINS0_14default_configENS1_27scan_by_key_config_selectorIllEEZZNS1_16scan_by_key_implILNS1_25lookback_scan_determinismE0ELb0ES3_PKlN6hipcub16HIPCUB_304000_NS21ConstantInputIteratorIllEEPllNSB_3SumENSB_8EqualityElEE10hipError_tPvRmT2_T3_T4_T5_mT6_T7_P12ihipStream_tbENKUlT_T0_E_clISt17integral_constantIbLb1EESX_EEDaSS_ST_EUlSS_E_NS1_11comp_targetILNS1_3genE0ELNS1_11target_archE4294967295ELNS1_3gpuE0ELNS1_3repE0EEENS1_30default_config_static_selectorELNS0_4arch9wavefront6targetE0EEEvT1_,"axG",@progbits,_ZN7rocprim17ROCPRIM_400000_NS6detail17trampoline_kernelINS0_14default_configENS1_27scan_by_key_config_selectorIllEEZZNS1_16scan_by_key_implILNS1_25lookback_scan_determinismE0ELb0ES3_PKlN6hipcub16HIPCUB_304000_NS21ConstantInputIteratorIllEEPllNSB_3SumENSB_8EqualityElEE10hipError_tPvRmT2_T3_T4_T5_mT6_T7_P12ihipStream_tbENKUlT_T0_E_clISt17integral_constantIbLb1EESX_EEDaSS_ST_EUlSS_E_NS1_11comp_targetILNS1_3genE0ELNS1_11target_archE4294967295ELNS1_3gpuE0ELNS1_3repE0EEENS1_30default_config_static_selectorELNS0_4arch9wavefront6targetE0EEEvT1_,comdat
	.protected	_ZN7rocprim17ROCPRIM_400000_NS6detail17trampoline_kernelINS0_14default_configENS1_27scan_by_key_config_selectorIllEEZZNS1_16scan_by_key_implILNS1_25lookback_scan_determinismE0ELb0ES3_PKlN6hipcub16HIPCUB_304000_NS21ConstantInputIteratorIllEEPllNSB_3SumENSB_8EqualityElEE10hipError_tPvRmT2_T3_T4_T5_mT6_T7_P12ihipStream_tbENKUlT_T0_E_clISt17integral_constantIbLb1EESX_EEDaSS_ST_EUlSS_E_NS1_11comp_targetILNS1_3genE0ELNS1_11target_archE4294967295ELNS1_3gpuE0ELNS1_3repE0EEENS1_30default_config_static_selectorELNS0_4arch9wavefront6targetE0EEEvT1_ ; -- Begin function _ZN7rocprim17ROCPRIM_400000_NS6detail17trampoline_kernelINS0_14default_configENS1_27scan_by_key_config_selectorIllEEZZNS1_16scan_by_key_implILNS1_25lookback_scan_determinismE0ELb0ES3_PKlN6hipcub16HIPCUB_304000_NS21ConstantInputIteratorIllEEPllNSB_3SumENSB_8EqualityElEE10hipError_tPvRmT2_T3_T4_T5_mT6_T7_P12ihipStream_tbENKUlT_T0_E_clISt17integral_constantIbLb1EESX_EEDaSS_ST_EUlSS_E_NS1_11comp_targetILNS1_3genE0ELNS1_11target_archE4294967295ELNS1_3gpuE0ELNS1_3repE0EEENS1_30default_config_static_selectorELNS0_4arch9wavefront6targetE0EEEvT1_
	.globl	_ZN7rocprim17ROCPRIM_400000_NS6detail17trampoline_kernelINS0_14default_configENS1_27scan_by_key_config_selectorIllEEZZNS1_16scan_by_key_implILNS1_25lookback_scan_determinismE0ELb0ES3_PKlN6hipcub16HIPCUB_304000_NS21ConstantInputIteratorIllEEPllNSB_3SumENSB_8EqualityElEE10hipError_tPvRmT2_T3_T4_T5_mT6_T7_P12ihipStream_tbENKUlT_T0_E_clISt17integral_constantIbLb1EESX_EEDaSS_ST_EUlSS_E_NS1_11comp_targetILNS1_3genE0ELNS1_11target_archE4294967295ELNS1_3gpuE0ELNS1_3repE0EEENS1_30default_config_static_selectorELNS0_4arch9wavefront6targetE0EEEvT1_
	.p2align	8
	.type	_ZN7rocprim17ROCPRIM_400000_NS6detail17trampoline_kernelINS0_14default_configENS1_27scan_by_key_config_selectorIllEEZZNS1_16scan_by_key_implILNS1_25lookback_scan_determinismE0ELb0ES3_PKlN6hipcub16HIPCUB_304000_NS21ConstantInputIteratorIllEEPllNSB_3SumENSB_8EqualityElEE10hipError_tPvRmT2_T3_T4_T5_mT6_T7_P12ihipStream_tbENKUlT_T0_E_clISt17integral_constantIbLb1EESX_EEDaSS_ST_EUlSS_E_NS1_11comp_targetILNS1_3genE0ELNS1_11target_archE4294967295ELNS1_3gpuE0ELNS1_3repE0EEENS1_30default_config_static_selectorELNS0_4arch9wavefront6targetE0EEEvT1_,@function
_ZN7rocprim17ROCPRIM_400000_NS6detail17trampoline_kernelINS0_14default_configENS1_27scan_by_key_config_selectorIllEEZZNS1_16scan_by_key_implILNS1_25lookback_scan_determinismE0ELb0ES3_PKlN6hipcub16HIPCUB_304000_NS21ConstantInputIteratorIllEEPllNSB_3SumENSB_8EqualityElEE10hipError_tPvRmT2_T3_T4_T5_mT6_T7_P12ihipStream_tbENKUlT_T0_E_clISt17integral_constantIbLb1EESX_EEDaSS_ST_EUlSS_E_NS1_11comp_targetILNS1_3genE0ELNS1_11target_archE4294967295ELNS1_3gpuE0ELNS1_3repE0EEENS1_30default_config_static_selectorELNS0_4arch9wavefront6targetE0EEEvT1_: ; @_ZN7rocprim17ROCPRIM_400000_NS6detail17trampoline_kernelINS0_14default_configENS1_27scan_by_key_config_selectorIllEEZZNS1_16scan_by_key_implILNS1_25lookback_scan_determinismE0ELb0ES3_PKlN6hipcub16HIPCUB_304000_NS21ConstantInputIteratorIllEEPllNSB_3SumENSB_8EqualityElEE10hipError_tPvRmT2_T3_T4_T5_mT6_T7_P12ihipStream_tbENKUlT_T0_E_clISt17integral_constantIbLb1EESX_EEDaSS_ST_EUlSS_E_NS1_11comp_targetILNS1_3genE0ELNS1_11target_archE4294967295ELNS1_3gpuE0ELNS1_3repE0EEENS1_30default_config_static_selectorELNS0_4arch9wavefront6targetE0EEEvT1_
; %bb.0:
	.section	.rodata,"a",@progbits
	.p2align	6, 0x0
	.amdhsa_kernel _ZN7rocprim17ROCPRIM_400000_NS6detail17trampoline_kernelINS0_14default_configENS1_27scan_by_key_config_selectorIllEEZZNS1_16scan_by_key_implILNS1_25lookback_scan_determinismE0ELb0ES3_PKlN6hipcub16HIPCUB_304000_NS21ConstantInputIteratorIllEEPllNSB_3SumENSB_8EqualityElEE10hipError_tPvRmT2_T3_T4_T5_mT6_T7_P12ihipStream_tbENKUlT_T0_E_clISt17integral_constantIbLb1EESX_EEDaSS_ST_EUlSS_E_NS1_11comp_targetILNS1_3genE0ELNS1_11target_archE4294967295ELNS1_3gpuE0ELNS1_3repE0EEENS1_30default_config_static_selectorELNS0_4arch9wavefront6targetE0EEEvT1_
		.amdhsa_group_segment_fixed_size 0
		.amdhsa_private_segment_fixed_size 0
		.amdhsa_kernarg_size 144
		.amdhsa_user_sgpr_count 6
		.amdhsa_user_sgpr_private_segment_buffer 1
		.amdhsa_user_sgpr_dispatch_ptr 0
		.amdhsa_user_sgpr_queue_ptr 0
		.amdhsa_user_sgpr_kernarg_segment_ptr 1
		.amdhsa_user_sgpr_dispatch_id 0
		.amdhsa_user_sgpr_flat_scratch_init 0
		.amdhsa_user_sgpr_private_segment_size 0
		.amdhsa_wavefront_size32 1
		.amdhsa_uses_dynamic_stack 0
		.amdhsa_system_sgpr_private_segment_wavefront_offset 0
		.amdhsa_system_sgpr_workgroup_id_x 1
		.amdhsa_system_sgpr_workgroup_id_y 0
		.amdhsa_system_sgpr_workgroup_id_z 0
		.amdhsa_system_sgpr_workgroup_info 0
		.amdhsa_system_vgpr_workitem_id 0
		.amdhsa_next_free_vgpr 1
		.amdhsa_next_free_sgpr 1
		.amdhsa_reserve_vcc 0
		.amdhsa_reserve_flat_scratch 0
		.amdhsa_float_round_mode_32 0
		.amdhsa_float_round_mode_16_64 0
		.amdhsa_float_denorm_mode_32 3
		.amdhsa_float_denorm_mode_16_64 3
		.amdhsa_dx10_clamp 1
		.amdhsa_ieee_mode 1
		.amdhsa_fp16_overflow 0
		.amdhsa_workgroup_processor_mode 1
		.amdhsa_memory_ordered 1
		.amdhsa_forward_progress 1
		.amdhsa_shared_vgpr_count 0
		.amdhsa_exception_fp_ieee_invalid_op 0
		.amdhsa_exception_fp_denorm_src 0
		.amdhsa_exception_fp_ieee_div_zero 0
		.amdhsa_exception_fp_ieee_overflow 0
		.amdhsa_exception_fp_ieee_underflow 0
		.amdhsa_exception_fp_ieee_inexact 0
		.amdhsa_exception_int_div_zero 0
	.end_amdhsa_kernel
	.section	.text._ZN7rocprim17ROCPRIM_400000_NS6detail17trampoline_kernelINS0_14default_configENS1_27scan_by_key_config_selectorIllEEZZNS1_16scan_by_key_implILNS1_25lookback_scan_determinismE0ELb0ES3_PKlN6hipcub16HIPCUB_304000_NS21ConstantInputIteratorIllEEPllNSB_3SumENSB_8EqualityElEE10hipError_tPvRmT2_T3_T4_T5_mT6_T7_P12ihipStream_tbENKUlT_T0_E_clISt17integral_constantIbLb1EESX_EEDaSS_ST_EUlSS_E_NS1_11comp_targetILNS1_3genE0ELNS1_11target_archE4294967295ELNS1_3gpuE0ELNS1_3repE0EEENS1_30default_config_static_selectorELNS0_4arch9wavefront6targetE0EEEvT1_,"axG",@progbits,_ZN7rocprim17ROCPRIM_400000_NS6detail17trampoline_kernelINS0_14default_configENS1_27scan_by_key_config_selectorIllEEZZNS1_16scan_by_key_implILNS1_25lookback_scan_determinismE0ELb0ES3_PKlN6hipcub16HIPCUB_304000_NS21ConstantInputIteratorIllEEPllNSB_3SumENSB_8EqualityElEE10hipError_tPvRmT2_T3_T4_T5_mT6_T7_P12ihipStream_tbENKUlT_T0_E_clISt17integral_constantIbLb1EESX_EEDaSS_ST_EUlSS_E_NS1_11comp_targetILNS1_3genE0ELNS1_11target_archE4294967295ELNS1_3gpuE0ELNS1_3repE0EEENS1_30default_config_static_selectorELNS0_4arch9wavefront6targetE0EEEvT1_,comdat
.Lfunc_end105:
	.size	_ZN7rocprim17ROCPRIM_400000_NS6detail17trampoline_kernelINS0_14default_configENS1_27scan_by_key_config_selectorIllEEZZNS1_16scan_by_key_implILNS1_25lookback_scan_determinismE0ELb0ES3_PKlN6hipcub16HIPCUB_304000_NS21ConstantInputIteratorIllEEPllNSB_3SumENSB_8EqualityElEE10hipError_tPvRmT2_T3_T4_T5_mT6_T7_P12ihipStream_tbENKUlT_T0_E_clISt17integral_constantIbLb1EESX_EEDaSS_ST_EUlSS_E_NS1_11comp_targetILNS1_3genE0ELNS1_11target_archE4294967295ELNS1_3gpuE0ELNS1_3repE0EEENS1_30default_config_static_selectorELNS0_4arch9wavefront6targetE0EEEvT1_, .Lfunc_end105-_ZN7rocprim17ROCPRIM_400000_NS6detail17trampoline_kernelINS0_14default_configENS1_27scan_by_key_config_selectorIllEEZZNS1_16scan_by_key_implILNS1_25lookback_scan_determinismE0ELb0ES3_PKlN6hipcub16HIPCUB_304000_NS21ConstantInputIteratorIllEEPllNSB_3SumENSB_8EqualityElEE10hipError_tPvRmT2_T3_T4_T5_mT6_T7_P12ihipStream_tbENKUlT_T0_E_clISt17integral_constantIbLb1EESX_EEDaSS_ST_EUlSS_E_NS1_11comp_targetILNS1_3genE0ELNS1_11target_archE4294967295ELNS1_3gpuE0ELNS1_3repE0EEENS1_30default_config_static_selectorELNS0_4arch9wavefront6targetE0EEEvT1_
                                        ; -- End function
	.set _ZN7rocprim17ROCPRIM_400000_NS6detail17trampoline_kernelINS0_14default_configENS1_27scan_by_key_config_selectorIllEEZZNS1_16scan_by_key_implILNS1_25lookback_scan_determinismE0ELb0ES3_PKlN6hipcub16HIPCUB_304000_NS21ConstantInputIteratorIllEEPllNSB_3SumENSB_8EqualityElEE10hipError_tPvRmT2_T3_T4_T5_mT6_T7_P12ihipStream_tbENKUlT_T0_E_clISt17integral_constantIbLb1EESX_EEDaSS_ST_EUlSS_E_NS1_11comp_targetILNS1_3genE0ELNS1_11target_archE4294967295ELNS1_3gpuE0ELNS1_3repE0EEENS1_30default_config_static_selectorELNS0_4arch9wavefront6targetE0EEEvT1_.num_vgpr, 0
	.set _ZN7rocprim17ROCPRIM_400000_NS6detail17trampoline_kernelINS0_14default_configENS1_27scan_by_key_config_selectorIllEEZZNS1_16scan_by_key_implILNS1_25lookback_scan_determinismE0ELb0ES3_PKlN6hipcub16HIPCUB_304000_NS21ConstantInputIteratorIllEEPllNSB_3SumENSB_8EqualityElEE10hipError_tPvRmT2_T3_T4_T5_mT6_T7_P12ihipStream_tbENKUlT_T0_E_clISt17integral_constantIbLb1EESX_EEDaSS_ST_EUlSS_E_NS1_11comp_targetILNS1_3genE0ELNS1_11target_archE4294967295ELNS1_3gpuE0ELNS1_3repE0EEENS1_30default_config_static_selectorELNS0_4arch9wavefront6targetE0EEEvT1_.num_agpr, 0
	.set _ZN7rocprim17ROCPRIM_400000_NS6detail17trampoline_kernelINS0_14default_configENS1_27scan_by_key_config_selectorIllEEZZNS1_16scan_by_key_implILNS1_25lookback_scan_determinismE0ELb0ES3_PKlN6hipcub16HIPCUB_304000_NS21ConstantInputIteratorIllEEPllNSB_3SumENSB_8EqualityElEE10hipError_tPvRmT2_T3_T4_T5_mT6_T7_P12ihipStream_tbENKUlT_T0_E_clISt17integral_constantIbLb1EESX_EEDaSS_ST_EUlSS_E_NS1_11comp_targetILNS1_3genE0ELNS1_11target_archE4294967295ELNS1_3gpuE0ELNS1_3repE0EEENS1_30default_config_static_selectorELNS0_4arch9wavefront6targetE0EEEvT1_.numbered_sgpr, 0
	.set _ZN7rocprim17ROCPRIM_400000_NS6detail17trampoline_kernelINS0_14default_configENS1_27scan_by_key_config_selectorIllEEZZNS1_16scan_by_key_implILNS1_25lookback_scan_determinismE0ELb0ES3_PKlN6hipcub16HIPCUB_304000_NS21ConstantInputIteratorIllEEPllNSB_3SumENSB_8EqualityElEE10hipError_tPvRmT2_T3_T4_T5_mT6_T7_P12ihipStream_tbENKUlT_T0_E_clISt17integral_constantIbLb1EESX_EEDaSS_ST_EUlSS_E_NS1_11comp_targetILNS1_3genE0ELNS1_11target_archE4294967295ELNS1_3gpuE0ELNS1_3repE0EEENS1_30default_config_static_selectorELNS0_4arch9wavefront6targetE0EEEvT1_.num_named_barrier, 0
	.set _ZN7rocprim17ROCPRIM_400000_NS6detail17trampoline_kernelINS0_14default_configENS1_27scan_by_key_config_selectorIllEEZZNS1_16scan_by_key_implILNS1_25lookback_scan_determinismE0ELb0ES3_PKlN6hipcub16HIPCUB_304000_NS21ConstantInputIteratorIllEEPllNSB_3SumENSB_8EqualityElEE10hipError_tPvRmT2_T3_T4_T5_mT6_T7_P12ihipStream_tbENKUlT_T0_E_clISt17integral_constantIbLb1EESX_EEDaSS_ST_EUlSS_E_NS1_11comp_targetILNS1_3genE0ELNS1_11target_archE4294967295ELNS1_3gpuE0ELNS1_3repE0EEENS1_30default_config_static_selectorELNS0_4arch9wavefront6targetE0EEEvT1_.private_seg_size, 0
	.set _ZN7rocprim17ROCPRIM_400000_NS6detail17trampoline_kernelINS0_14default_configENS1_27scan_by_key_config_selectorIllEEZZNS1_16scan_by_key_implILNS1_25lookback_scan_determinismE0ELb0ES3_PKlN6hipcub16HIPCUB_304000_NS21ConstantInputIteratorIllEEPllNSB_3SumENSB_8EqualityElEE10hipError_tPvRmT2_T3_T4_T5_mT6_T7_P12ihipStream_tbENKUlT_T0_E_clISt17integral_constantIbLb1EESX_EEDaSS_ST_EUlSS_E_NS1_11comp_targetILNS1_3genE0ELNS1_11target_archE4294967295ELNS1_3gpuE0ELNS1_3repE0EEENS1_30default_config_static_selectorELNS0_4arch9wavefront6targetE0EEEvT1_.uses_vcc, 0
	.set _ZN7rocprim17ROCPRIM_400000_NS6detail17trampoline_kernelINS0_14default_configENS1_27scan_by_key_config_selectorIllEEZZNS1_16scan_by_key_implILNS1_25lookback_scan_determinismE0ELb0ES3_PKlN6hipcub16HIPCUB_304000_NS21ConstantInputIteratorIllEEPllNSB_3SumENSB_8EqualityElEE10hipError_tPvRmT2_T3_T4_T5_mT6_T7_P12ihipStream_tbENKUlT_T0_E_clISt17integral_constantIbLb1EESX_EEDaSS_ST_EUlSS_E_NS1_11comp_targetILNS1_3genE0ELNS1_11target_archE4294967295ELNS1_3gpuE0ELNS1_3repE0EEENS1_30default_config_static_selectorELNS0_4arch9wavefront6targetE0EEEvT1_.uses_flat_scratch, 0
	.set _ZN7rocprim17ROCPRIM_400000_NS6detail17trampoline_kernelINS0_14default_configENS1_27scan_by_key_config_selectorIllEEZZNS1_16scan_by_key_implILNS1_25lookback_scan_determinismE0ELb0ES3_PKlN6hipcub16HIPCUB_304000_NS21ConstantInputIteratorIllEEPllNSB_3SumENSB_8EqualityElEE10hipError_tPvRmT2_T3_T4_T5_mT6_T7_P12ihipStream_tbENKUlT_T0_E_clISt17integral_constantIbLb1EESX_EEDaSS_ST_EUlSS_E_NS1_11comp_targetILNS1_3genE0ELNS1_11target_archE4294967295ELNS1_3gpuE0ELNS1_3repE0EEENS1_30default_config_static_selectorELNS0_4arch9wavefront6targetE0EEEvT1_.has_dyn_sized_stack, 0
	.set _ZN7rocprim17ROCPRIM_400000_NS6detail17trampoline_kernelINS0_14default_configENS1_27scan_by_key_config_selectorIllEEZZNS1_16scan_by_key_implILNS1_25lookback_scan_determinismE0ELb0ES3_PKlN6hipcub16HIPCUB_304000_NS21ConstantInputIteratorIllEEPllNSB_3SumENSB_8EqualityElEE10hipError_tPvRmT2_T3_T4_T5_mT6_T7_P12ihipStream_tbENKUlT_T0_E_clISt17integral_constantIbLb1EESX_EEDaSS_ST_EUlSS_E_NS1_11comp_targetILNS1_3genE0ELNS1_11target_archE4294967295ELNS1_3gpuE0ELNS1_3repE0EEENS1_30default_config_static_selectorELNS0_4arch9wavefront6targetE0EEEvT1_.has_recursion, 0
	.set _ZN7rocprim17ROCPRIM_400000_NS6detail17trampoline_kernelINS0_14default_configENS1_27scan_by_key_config_selectorIllEEZZNS1_16scan_by_key_implILNS1_25lookback_scan_determinismE0ELb0ES3_PKlN6hipcub16HIPCUB_304000_NS21ConstantInputIteratorIllEEPllNSB_3SumENSB_8EqualityElEE10hipError_tPvRmT2_T3_T4_T5_mT6_T7_P12ihipStream_tbENKUlT_T0_E_clISt17integral_constantIbLb1EESX_EEDaSS_ST_EUlSS_E_NS1_11comp_targetILNS1_3genE0ELNS1_11target_archE4294967295ELNS1_3gpuE0ELNS1_3repE0EEENS1_30default_config_static_selectorELNS0_4arch9wavefront6targetE0EEEvT1_.has_indirect_call, 0
	.section	.AMDGPU.csdata,"",@progbits
; Kernel info:
; codeLenInByte = 0
; TotalNumSgprs: 0
; NumVgprs: 0
; ScratchSize: 0
; MemoryBound: 0
; FloatMode: 240
; IeeeMode: 1
; LDSByteSize: 0 bytes/workgroup (compile time only)
; SGPRBlocks: 0
; VGPRBlocks: 0
; NumSGPRsForWavesPerEU: 1
; NumVGPRsForWavesPerEU: 1
; Occupancy: 16
; WaveLimiterHint : 0
; COMPUTE_PGM_RSRC2:SCRATCH_EN: 0
; COMPUTE_PGM_RSRC2:USER_SGPR: 6
; COMPUTE_PGM_RSRC2:TRAP_HANDLER: 0
; COMPUTE_PGM_RSRC2:TGID_X_EN: 1
; COMPUTE_PGM_RSRC2:TGID_Y_EN: 0
; COMPUTE_PGM_RSRC2:TGID_Z_EN: 0
; COMPUTE_PGM_RSRC2:TIDIG_COMP_CNT: 0
	.section	.text._ZN7rocprim17ROCPRIM_400000_NS6detail17trampoline_kernelINS0_14default_configENS1_27scan_by_key_config_selectorIllEEZZNS1_16scan_by_key_implILNS1_25lookback_scan_determinismE0ELb0ES3_PKlN6hipcub16HIPCUB_304000_NS21ConstantInputIteratorIllEEPllNSB_3SumENSB_8EqualityElEE10hipError_tPvRmT2_T3_T4_T5_mT6_T7_P12ihipStream_tbENKUlT_T0_E_clISt17integral_constantIbLb1EESX_EEDaSS_ST_EUlSS_E_NS1_11comp_targetILNS1_3genE10ELNS1_11target_archE1201ELNS1_3gpuE5ELNS1_3repE0EEENS1_30default_config_static_selectorELNS0_4arch9wavefront6targetE0EEEvT1_,"axG",@progbits,_ZN7rocprim17ROCPRIM_400000_NS6detail17trampoline_kernelINS0_14default_configENS1_27scan_by_key_config_selectorIllEEZZNS1_16scan_by_key_implILNS1_25lookback_scan_determinismE0ELb0ES3_PKlN6hipcub16HIPCUB_304000_NS21ConstantInputIteratorIllEEPllNSB_3SumENSB_8EqualityElEE10hipError_tPvRmT2_T3_T4_T5_mT6_T7_P12ihipStream_tbENKUlT_T0_E_clISt17integral_constantIbLb1EESX_EEDaSS_ST_EUlSS_E_NS1_11comp_targetILNS1_3genE10ELNS1_11target_archE1201ELNS1_3gpuE5ELNS1_3repE0EEENS1_30default_config_static_selectorELNS0_4arch9wavefront6targetE0EEEvT1_,comdat
	.protected	_ZN7rocprim17ROCPRIM_400000_NS6detail17trampoline_kernelINS0_14default_configENS1_27scan_by_key_config_selectorIllEEZZNS1_16scan_by_key_implILNS1_25lookback_scan_determinismE0ELb0ES3_PKlN6hipcub16HIPCUB_304000_NS21ConstantInputIteratorIllEEPllNSB_3SumENSB_8EqualityElEE10hipError_tPvRmT2_T3_T4_T5_mT6_T7_P12ihipStream_tbENKUlT_T0_E_clISt17integral_constantIbLb1EESX_EEDaSS_ST_EUlSS_E_NS1_11comp_targetILNS1_3genE10ELNS1_11target_archE1201ELNS1_3gpuE5ELNS1_3repE0EEENS1_30default_config_static_selectorELNS0_4arch9wavefront6targetE0EEEvT1_ ; -- Begin function _ZN7rocprim17ROCPRIM_400000_NS6detail17trampoline_kernelINS0_14default_configENS1_27scan_by_key_config_selectorIllEEZZNS1_16scan_by_key_implILNS1_25lookback_scan_determinismE0ELb0ES3_PKlN6hipcub16HIPCUB_304000_NS21ConstantInputIteratorIllEEPllNSB_3SumENSB_8EqualityElEE10hipError_tPvRmT2_T3_T4_T5_mT6_T7_P12ihipStream_tbENKUlT_T0_E_clISt17integral_constantIbLb1EESX_EEDaSS_ST_EUlSS_E_NS1_11comp_targetILNS1_3genE10ELNS1_11target_archE1201ELNS1_3gpuE5ELNS1_3repE0EEENS1_30default_config_static_selectorELNS0_4arch9wavefront6targetE0EEEvT1_
	.globl	_ZN7rocprim17ROCPRIM_400000_NS6detail17trampoline_kernelINS0_14default_configENS1_27scan_by_key_config_selectorIllEEZZNS1_16scan_by_key_implILNS1_25lookback_scan_determinismE0ELb0ES3_PKlN6hipcub16HIPCUB_304000_NS21ConstantInputIteratorIllEEPllNSB_3SumENSB_8EqualityElEE10hipError_tPvRmT2_T3_T4_T5_mT6_T7_P12ihipStream_tbENKUlT_T0_E_clISt17integral_constantIbLb1EESX_EEDaSS_ST_EUlSS_E_NS1_11comp_targetILNS1_3genE10ELNS1_11target_archE1201ELNS1_3gpuE5ELNS1_3repE0EEENS1_30default_config_static_selectorELNS0_4arch9wavefront6targetE0EEEvT1_
	.p2align	8
	.type	_ZN7rocprim17ROCPRIM_400000_NS6detail17trampoline_kernelINS0_14default_configENS1_27scan_by_key_config_selectorIllEEZZNS1_16scan_by_key_implILNS1_25lookback_scan_determinismE0ELb0ES3_PKlN6hipcub16HIPCUB_304000_NS21ConstantInputIteratorIllEEPllNSB_3SumENSB_8EqualityElEE10hipError_tPvRmT2_T3_T4_T5_mT6_T7_P12ihipStream_tbENKUlT_T0_E_clISt17integral_constantIbLb1EESX_EEDaSS_ST_EUlSS_E_NS1_11comp_targetILNS1_3genE10ELNS1_11target_archE1201ELNS1_3gpuE5ELNS1_3repE0EEENS1_30default_config_static_selectorELNS0_4arch9wavefront6targetE0EEEvT1_,@function
_ZN7rocprim17ROCPRIM_400000_NS6detail17trampoline_kernelINS0_14default_configENS1_27scan_by_key_config_selectorIllEEZZNS1_16scan_by_key_implILNS1_25lookback_scan_determinismE0ELb0ES3_PKlN6hipcub16HIPCUB_304000_NS21ConstantInputIteratorIllEEPllNSB_3SumENSB_8EqualityElEE10hipError_tPvRmT2_T3_T4_T5_mT6_T7_P12ihipStream_tbENKUlT_T0_E_clISt17integral_constantIbLb1EESX_EEDaSS_ST_EUlSS_E_NS1_11comp_targetILNS1_3genE10ELNS1_11target_archE1201ELNS1_3gpuE5ELNS1_3repE0EEENS1_30default_config_static_selectorELNS0_4arch9wavefront6targetE0EEEvT1_: ; @_ZN7rocprim17ROCPRIM_400000_NS6detail17trampoline_kernelINS0_14default_configENS1_27scan_by_key_config_selectorIllEEZZNS1_16scan_by_key_implILNS1_25lookback_scan_determinismE0ELb0ES3_PKlN6hipcub16HIPCUB_304000_NS21ConstantInputIteratorIllEEPllNSB_3SumENSB_8EqualityElEE10hipError_tPvRmT2_T3_T4_T5_mT6_T7_P12ihipStream_tbENKUlT_T0_E_clISt17integral_constantIbLb1EESX_EEDaSS_ST_EUlSS_E_NS1_11comp_targetILNS1_3genE10ELNS1_11target_archE1201ELNS1_3gpuE5ELNS1_3repE0EEENS1_30default_config_static_selectorELNS0_4arch9wavefront6targetE0EEEvT1_
; %bb.0:
	.section	.rodata,"a",@progbits
	.p2align	6, 0x0
	.amdhsa_kernel _ZN7rocprim17ROCPRIM_400000_NS6detail17trampoline_kernelINS0_14default_configENS1_27scan_by_key_config_selectorIllEEZZNS1_16scan_by_key_implILNS1_25lookback_scan_determinismE0ELb0ES3_PKlN6hipcub16HIPCUB_304000_NS21ConstantInputIteratorIllEEPllNSB_3SumENSB_8EqualityElEE10hipError_tPvRmT2_T3_T4_T5_mT6_T7_P12ihipStream_tbENKUlT_T0_E_clISt17integral_constantIbLb1EESX_EEDaSS_ST_EUlSS_E_NS1_11comp_targetILNS1_3genE10ELNS1_11target_archE1201ELNS1_3gpuE5ELNS1_3repE0EEENS1_30default_config_static_selectorELNS0_4arch9wavefront6targetE0EEEvT1_
		.amdhsa_group_segment_fixed_size 0
		.amdhsa_private_segment_fixed_size 0
		.amdhsa_kernarg_size 144
		.amdhsa_user_sgpr_count 6
		.amdhsa_user_sgpr_private_segment_buffer 1
		.amdhsa_user_sgpr_dispatch_ptr 0
		.amdhsa_user_sgpr_queue_ptr 0
		.amdhsa_user_sgpr_kernarg_segment_ptr 1
		.amdhsa_user_sgpr_dispatch_id 0
		.amdhsa_user_sgpr_flat_scratch_init 0
		.amdhsa_user_sgpr_private_segment_size 0
		.amdhsa_wavefront_size32 1
		.amdhsa_uses_dynamic_stack 0
		.amdhsa_system_sgpr_private_segment_wavefront_offset 0
		.amdhsa_system_sgpr_workgroup_id_x 1
		.amdhsa_system_sgpr_workgroup_id_y 0
		.amdhsa_system_sgpr_workgroup_id_z 0
		.amdhsa_system_sgpr_workgroup_info 0
		.amdhsa_system_vgpr_workitem_id 0
		.amdhsa_next_free_vgpr 1
		.amdhsa_next_free_sgpr 1
		.amdhsa_reserve_vcc 0
		.amdhsa_reserve_flat_scratch 0
		.amdhsa_float_round_mode_32 0
		.amdhsa_float_round_mode_16_64 0
		.amdhsa_float_denorm_mode_32 3
		.amdhsa_float_denorm_mode_16_64 3
		.amdhsa_dx10_clamp 1
		.amdhsa_ieee_mode 1
		.amdhsa_fp16_overflow 0
		.amdhsa_workgroup_processor_mode 1
		.amdhsa_memory_ordered 1
		.amdhsa_forward_progress 1
		.amdhsa_shared_vgpr_count 0
		.amdhsa_exception_fp_ieee_invalid_op 0
		.amdhsa_exception_fp_denorm_src 0
		.amdhsa_exception_fp_ieee_div_zero 0
		.amdhsa_exception_fp_ieee_overflow 0
		.amdhsa_exception_fp_ieee_underflow 0
		.amdhsa_exception_fp_ieee_inexact 0
		.amdhsa_exception_int_div_zero 0
	.end_amdhsa_kernel
	.section	.text._ZN7rocprim17ROCPRIM_400000_NS6detail17trampoline_kernelINS0_14default_configENS1_27scan_by_key_config_selectorIllEEZZNS1_16scan_by_key_implILNS1_25lookback_scan_determinismE0ELb0ES3_PKlN6hipcub16HIPCUB_304000_NS21ConstantInputIteratorIllEEPllNSB_3SumENSB_8EqualityElEE10hipError_tPvRmT2_T3_T4_T5_mT6_T7_P12ihipStream_tbENKUlT_T0_E_clISt17integral_constantIbLb1EESX_EEDaSS_ST_EUlSS_E_NS1_11comp_targetILNS1_3genE10ELNS1_11target_archE1201ELNS1_3gpuE5ELNS1_3repE0EEENS1_30default_config_static_selectorELNS0_4arch9wavefront6targetE0EEEvT1_,"axG",@progbits,_ZN7rocprim17ROCPRIM_400000_NS6detail17trampoline_kernelINS0_14default_configENS1_27scan_by_key_config_selectorIllEEZZNS1_16scan_by_key_implILNS1_25lookback_scan_determinismE0ELb0ES3_PKlN6hipcub16HIPCUB_304000_NS21ConstantInputIteratorIllEEPllNSB_3SumENSB_8EqualityElEE10hipError_tPvRmT2_T3_T4_T5_mT6_T7_P12ihipStream_tbENKUlT_T0_E_clISt17integral_constantIbLb1EESX_EEDaSS_ST_EUlSS_E_NS1_11comp_targetILNS1_3genE10ELNS1_11target_archE1201ELNS1_3gpuE5ELNS1_3repE0EEENS1_30default_config_static_selectorELNS0_4arch9wavefront6targetE0EEEvT1_,comdat
.Lfunc_end106:
	.size	_ZN7rocprim17ROCPRIM_400000_NS6detail17trampoline_kernelINS0_14default_configENS1_27scan_by_key_config_selectorIllEEZZNS1_16scan_by_key_implILNS1_25lookback_scan_determinismE0ELb0ES3_PKlN6hipcub16HIPCUB_304000_NS21ConstantInputIteratorIllEEPllNSB_3SumENSB_8EqualityElEE10hipError_tPvRmT2_T3_T4_T5_mT6_T7_P12ihipStream_tbENKUlT_T0_E_clISt17integral_constantIbLb1EESX_EEDaSS_ST_EUlSS_E_NS1_11comp_targetILNS1_3genE10ELNS1_11target_archE1201ELNS1_3gpuE5ELNS1_3repE0EEENS1_30default_config_static_selectorELNS0_4arch9wavefront6targetE0EEEvT1_, .Lfunc_end106-_ZN7rocprim17ROCPRIM_400000_NS6detail17trampoline_kernelINS0_14default_configENS1_27scan_by_key_config_selectorIllEEZZNS1_16scan_by_key_implILNS1_25lookback_scan_determinismE0ELb0ES3_PKlN6hipcub16HIPCUB_304000_NS21ConstantInputIteratorIllEEPllNSB_3SumENSB_8EqualityElEE10hipError_tPvRmT2_T3_T4_T5_mT6_T7_P12ihipStream_tbENKUlT_T0_E_clISt17integral_constantIbLb1EESX_EEDaSS_ST_EUlSS_E_NS1_11comp_targetILNS1_3genE10ELNS1_11target_archE1201ELNS1_3gpuE5ELNS1_3repE0EEENS1_30default_config_static_selectorELNS0_4arch9wavefront6targetE0EEEvT1_
                                        ; -- End function
	.set _ZN7rocprim17ROCPRIM_400000_NS6detail17trampoline_kernelINS0_14default_configENS1_27scan_by_key_config_selectorIllEEZZNS1_16scan_by_key_implILNS1_25lookback_scan_determinismE0ELb0ES3_PKlN6hipcub16HIPCUB_304000_NS21ConstantInputIteratorIllEEPllNSB_3SumENSB_8EqualityElEE10hipError_tPvRmT2_T3_T4_T5_mT6_T7_P12ihipStream_tbENKUlT_T0_E_clISt17integral_constantIbLb1EESX_EEDaSS_ST_EUlSS_E_NS1_11comp_targetILNS1_3genE10ELNS1_11target_archE1201ELNS1_3gpuE5ELNS1_3repE0EEENS1_30default_config_static_selectorELNS0_4arch9wavefront6targetE0EEEvT1_.num_vgpr, 0
	.set _ZN7rocprim17ROCPRIM_400000_NS6detail17trampoline_kernelINS0_14default_configENS1_27scan_by_key_config_selectorIllEEZZNS1_16scan_by_key_implILNS1_25lookback_scan_determinismE0ELb0ES3_PKlN6hipcub16HIPCUB_304000_NS21ConstantInputIteratorIllEEPllNSB_3SumENSB_8EqualityElEE10hipError_tPvRmT2_T3_T4_T5_mT6_T7_P12ihipStream_tbENKUlT_T0_E_clISt17integral_constantIbLb1EESX_EEDaSS_ST_EUlSS_E_NS1_11comp_targetILNS1_3genE10ELNS1_11target_archE1201ELNS1_3gpuE5ELNS1_3repE0EEENS1_30default_config_static_selectorELNS0_4arch9wavefront6targetE0EEEvT1_.num_agpr, 0
	.set _ZN7rocprim17ROCPRIM_400000_NS6detail17trampoline_kernelINS0_14default_configENS1_27scan_by_key_config_selectorIllEEZZNS1_16scan_by_key_implILNS1_25lookback_scan_determinismE0ELb0ES3_PKlN6hipcub16HIPCUB_304000_NS21ConstantInputIteratorIllEEPllNSB_3SumENSB_8EqualityElEE10hipError_tPvRmT2_T3_T4_T5_mT6_T7_P12ihipStream_tbENKUlT_T0_E_clISt17integral_constantIbLb1EESX_EEDaSS_ST_EUlSS_E_NS1_11comp_targetILNS1_3genE10ELNS1_11target_archE1201ELNS1_3gpuE5ELNS1_3repE0EEENS1_30default_config_static_selectorELNS0_4arch9wavefront6targetE0EEEvT1_.numbered_sgpr, 0
	.set _ZN7rocprim17ROCPRIM_400000_NS6detail17trampoline_kernelINS0_14default_configENS1_27scan_by_key_config_selectorIllEEZZNS1_16scan_by_key_implILNS1_25lookback_scan_determinismE0ELb0ES3_PKlN6hipcub16HIPCUB_304000_NS21ConstantInputIteratorIllEEPllNSB_3SumENSB_8EqualityElEE10hipError_tPvRmT2_T3_T4_T5_mT6_T7_P12ihipStream_tbENKUlT_T0_E_clISt17integral_constantIbLb1EESX_EEDaSS_ST_EUlSS_E_NS1_11comp_targetILNS1_3genE10ELNS1_11target_archE1201ELNS1_3gpuE5ELNS1_3repE0EEENS1_30default_config_static_selectorELNS0_4arch9wavefront6targetE0EEEvT1_.num_named_barrier, 0
	.set _ZN7rocprim17ROCPRIM_400000_NS6detail17trampoline_kernelINS0_14default_configENS1_27scan_by_key_config_selectorIllEEZZNS1_16scan_by_key_implILNS1_25lookback_scan_determinismE0ELb0ES3_PKlN6hipcub16HIPCUB_304000_NS21ConstantInputIteratorIllEEPllNSB_3SumENSB_8EqualityElEE10hipError_tPvRmT2_T3_T4_T5_mT6_T7_P12ihipStream_tbENKUlT_T0_E_clISt17integral_constantIbLb1EESX_EEDaSS_ST_EUlSS_E_NS1_11comp_targetILNS1_3genE10ELNS1_11target_archE1201ELNS1_3gpuE5ELNS1_3repE0EEENS1_30default_config_static_selectorELNS0_4arch9wavefront6targetE0EEEvT1_.private_seg_size, 0
	.set _ZN7rocprim17ROCPRIM_400000_NS6detail17trampoline_kernelINS0_14default_configENS1_27scan_by_key_config_selectorIllEEZZNS1_16scan_by_key_implILNS1_25lookback_scan_determinismE0ELb0ES3_PKlN6hipcub16HIPCUB_304000_NS21ConstantInputIteratorIllEEPllNSB_3SumENSB_8EqualityElEE10hipError_tPvRmT2_T3_T4_T5_mT6_T7_P12ihipStream_tbENKUlT_T0_E_clISt17integral_constantIbLb1EESX_EEDaSS_ST_EUlSS_E_NS1_11comp_targetILNS1_3genE10ELNS1_11target_archE1201ELNS1_3gpuE5ELNS1_3repE0EEENS1_30default_config_static_selectorELNS0_4arch9wavefront6targetE0EEEvT1_.uses_vcc, 0
	.set _ZN7rocprim17ROCPRIM_400000_NS6detail17trampoline_kernelINS0_14default_configENS1_27scan_by_key_config_selectorIllEEZZNS1_16scan_by_key_implILNS1_25lookback_scan_determinismE0ELb0ES3_PKlN6hipcub16HIPCUB_304000_NS21ConstantInputIteratorIllEEPllNSB_3SumENSB_8EqualityElEE10hipError_tPvRmT2_T3_T4_T5_mT6_T7_P12ihipStream_tbENKUlT_T0_E_clISt17integral_constantIbLb1EESX_EEDaSS_ST_EUlSS_E_NS1_11comp_targetILNS1_3genE10ELNS1_11target_archE1201ELNS1_3gpuE5ELNS1_3repE0EEENS1_30default_config_static_selectorELNS0_4arch9wavefront6targetE0EEEvT1_.uses_flat_scratch, 0
	.set _ZN7rocprim17ROCPRIM_400000_NS6detail17trampoline_kernelINS0_14default_configENS1_27scan_by_key_config_selectorIllEEZZNS1_16scan_by_key_implILNS1_25lookback_scan_determinismE0ELb0ES3_PKlN6hipcub16HIPCUB_304000_NS21ConstantInputIteratorIllEEPllNSB_3SumENSB_8EqualityElEE10hipError_tPvRmT2_T3_T4_T5_mT6_T7_P12ihipStream_tbENKUlT_T0_E_clISt17integral_constantIbLb1EESX_EEDaSS_ST_EUlSS_E_NS1_11comp_targetILNS1_3genE10ELNS1_11target_archE1201ELNS1_3gpuE5ELNS1_3repE0EEENS1_30default_config_static_selectorELNS0_4arch9wavefront6targetE0EEEvT1_.has_dyn_sized_stack, 0
	.set _ZN7rocprim17ROCPRIM_400000_NS6detail17trampoline_kernelINS0_14default_configENS1_27scan_by_key_config_selectorIllEEZZNS1_16scan_by_key_implILNS1_25lookback_scan_determinismE0ELb0ES3_PKlN6hipcub16HIPCUB_304000_NS21ConstantInputIteratorIllEEPllNSB_3SumENSB_8EqualityElEE10hipError_tPvRmT2_T3_T4_T5_mT6_T7_P12ihipStream_tbENKUlT_T0_E_clISt17integral_constantIbLb1EESX_EEDaSS_ST_EUlSS_E_NS1_11comp_targetILNS1_3genE10ELNS1_11target_archE1201ELNS1_3gpuE5ELNS1_3repE0EEENS1_30default_config_static_selectorELNS0_4arch9wavefront6targetE0EEEvT1_.has_recursion, 0
	.set _ZN7rocprim17ROCPRIM_400000_NS6detail17trampoline_kernelINS0_14default_configENS1_27scan_by_key_config_selectorIllEEZZNS1_16scan_by_key_implILNS1_25lookback_scan_determinismE0ELb0ES3_PKlN6hipcub16HIPCUB_304000_NS21ConstantInputIteratorIllEEPllNSB_3SumENSB_8EqualityElEE10hipError_tPvRmT2_T3_T4_T5_mT6_T7_P12ihipStream_tbENKUlT_T0_E_clISt17integral_constantIbLb1EESX_EEDaSS_ST_EUlSS_E_NS1_11comp_targetILNS1_3genE10ELNS1_11target_archE1201ELNS1_3gpuE5ELNS1_3repE0EEENS1_30default_config_static_selectorELNS0_4arch9wavefront6targetE0EEEvT1_.has_indirect_call, 0
	.section	.AMDGPU.csdata,"",@progbits
; Kernel info:
; codeLenInByte = 0
; TotalNumSgprs: 0
; NumVgprs: 0
; ScratchSize: 0
; MemoryBound: 0
; FloatMode: 240
; IeeeMode: 1
; LDSByteSize: 0 bytes/workgroup (compile time only)
; SGPRBlocks: 0
; VGPRBlocks: 0
; NumSGPRsForWavesPerEU: 1
; NumVGPRsForWavesPerEU: 1
; Occupancy: 16
; WaveLimiterHint : 0
; COMPUTE_PGM_RSRC2:SCRATCH_EN: 0
; COMPUTE_PGM_RSRC2:USER_SGPR: 6
; COMPUTE_PGM_RSRC2:TRAP_HANDLER: 0
; COMPUTE_PGM_RSRC2:TGID_X_EN: 1
; COMPUTE_PGM_RSRC2:TGID_Y_EN: 0
; COMPUTE_PGM_RSRC2:TGID_Z_EN: 0
; COMPUTE_PGM_RSRC2:TIDIG_COMP_CNT: 0
	.section	.text._ZN7rocprim17ROCPRIM_400000_NS6detail17trampoline_kernelINS0_14default_configENS1_27scan_by_key_config_selectorIllEEZZNS1_16scan_by_key_implILNS1_25lookback_scan_determinismE0ELb0ES3_PKlN6hipcub16HIPCUB_304000_NS21ConstantInputIteratorIllEEPllNSB_3SumENSB_8EqualityElEE10hipError_tPvRmT2_T3_T4_T5_mT6_T7_P12ihipStream_tbENKUlT_T0_E_clISt17integral_constantIbLb1EESX_EEDaSS_ST_EUlSS_E_NS1_11comp_targetILNS1_3genE5ELNS1_11target_archE942ELNS1_3gpuE9ELNS1_3repE0EEENS1_30default_config_static_selectorELNS0_4arch9wavefront6targetE0EEEvT1_,"axG",@progbits,_ZN7rocprim17ROCPRIM_400000_NS6detail17trampoline_kernelINS0_14default_configENS1_27scan_by_key_config_selectorIllEEZZNS1_16scan_by_key_implILNS1_25lookback_scan_determinismE0ELb0ES3_PKlN6hipcub16HIPCUB_304000_NS21ConstantInputIteratorIllEEPllNSB_3SumENSB_8EqualityElEE10hipError_tPvRmT2_T3_T4_T5_mT6_T7_P12ihipStream_tbENKUlT_T0_E_clISt17integral_constantIbLb1EESX_EEDaSS_ST_EUlSS_E_NS1_11comp_targetILNS1_3genE5ELNS1_11target_archE942ELNS1_3gpuE9ELNS1_3repE0EEENS1_30default_config_static_selectorELNS0_4arch9wavefront6targetE0EEEvT1_,comdat
	.protected	_ZN7rocprim17ROCPRIM_400000_NS6detail17trampoline_kernelINS0_14default_configENS1_27scan_by_key_config_selectorIllEEZZNS1_16scan_by_key_implILNS1_25lookback_scan_determinismE0ELb0ES3_PKlN6hipcub16HIPCUB_304000_NS21ConstantInputIteratorIllEEPllNSB_3SumENSB_8EqualityElEE10hipError_tPvRmT2_T3_T4_T5_mT6_T7_P12ihipStream_tbENKUlT_T0_E_clISt17integral_constantIbLb1EESX_EEDaSS_ST_EUlSS_E_NS1_11comp_targetILNS1_3genE5ELNS1_11target_archE942ELNS1_3gpuE9ELNS1_3repE0EEENS1_30default_config_static_selectorELNS0_4arch9wavefront6targetE0EEEvT1_ ; -- Begin function _ZN7rocprim17ROCPRIM_400000_NS6detail17trampoline_kernelINS0_14default_configENS1_27scan_by_key_config_selectorIllEEZZNS1_16scan_by_key_implILNS1_25lookback_scan_determinismE0ELb0ES3_PKlN6hipcub16HIPCUB_304000_NS21ConstantInputIteratorIllEEPllNSB_3SumENSB_8EqualityElEE10hipError_tPvRmT2_T3_T4_T5_mT6_T7_P12ihipStream_tbENKUlT_T0_E_clISt17integral_constantIbLb1EESX_EEDaSS_ST_EUlSS_E_NS1_11comp_targetILNS1_3genE5ELNS1_11target_archE942ELNS1_3gpuE9ELNS1_3repE0EEENS1_30default_config_static_selectorELNS0_4arch9wavefront6targetE0EEEvT1_
	.globl	_ZN7rocprim17ROCPRIM_400000_NS6detail17trampoline_kernelINS0_14default_configENS1_27scan_by_key_config_selectorIllEEZZNS1_16scan_by_key_implILNS1_25lookback_scan_determinismE0ELb0ES3_PKlN6hipcub16HIPCUB_304000_NS21ConstantInputIteratorIllEEPllNSB_3SumENSB_8EqualityElEE10hipError_tPvRmT2_T3_T4_T5_mT6_T7_P12ihipStream_tbENKUlT_T0_E_clISt17integral_constantIbLb1EESX_EEDaSS_ST_EUlSS_E_NS1_11comp_targetILNS1_3genE5ELNS1_11target_archE942ELNS1_3gpuE9ELNS1_3repE0EEENS1_30default_config_static_selectorELNS0_4arch9wavefront6targetE0EEEvT1_
	.p2align	8
	.type	_ZN7rocprim17ROCPRIM_400000_NS6detail17trampoline_kernelINS0_14default_configENS1_27scan_by_key_config_selectorIllEEZZNS1_16scan_by_key_implILNS1_25lookback_scan_determinismE0ELb0ES3_PKlN6hipcub16HIPCUB_304000_NS21ConstantInputIteratorIllEEPllNSB_3SumENSB_8EqualityElEE10hipError_tPvRmT2_T3_T4_T5_mT6_T7_P12ihipStream_tbENKUlT_T0_E_clISt17integral_constantIbLb1EESX_EEDaSS_ST_EUlSS_E_NS1_11comp_targetILNS1_3genE5ELNS1_11target_archE942ELNS1_3gpuE9ELNS1_3repE0EEENS1_30default_config_static_selectorELNS0_4arch9wavefront6targetE0EEEvT1_,@function
_ZN7rocprim17ROCPRIM_400000_NS6detail17trampoline_kernelINS0_14default_configENS1_27scan_by_key_config_selectorIllEEZZNS1_16scan_by_key_implILNS1_25lookback_scan_determinismE0ELb0ES3_PKlN6hipcub16HIPCUB_304000_NS21ConstantInputIteratorIllEEPllNSB_3SumENSB_8EqualityElEE10hipError_tPvRmT2_T3_T4_T5_mT6_T7_P12ihipStream_tbENKUlT_T0_E_clISt17integral_constantIbLb1EESX_EEDaSS_ST_EUlSS_E_NS1_11comp_targetILNS1_3genE5ELNS1_11target_archE942ELNS1_3gpuE9ELNS1_3repE0EEENS1_30default_config_static_selectorELNS0_4arch9wavefront6targetE0EEEvT1_: ; @_ZN7rocprim17ROCPRIM_400000_NS6detail17trampoline_kernelINS0_14default_configENS1_27scan_by_key_config_selectorIllEEZZNS1_16scan_by_key_implILNS1_25lookback_scan_determinismE0ELb0ES3_PKlN6hipcub16HIPCUB_304000_NS21ConstantInputIteratorIllEEPllNSB_3SumENSB_8EqualityElEE10hipError_tPvRmT2_T3_T4_T5_mT6_T7_P12ihipStream_tbENKUlT_T0_E_clISt17integral_constantIbLb1EESX_EEDaSS_ST_EUlSS_E_NS1_11comp_targetILNS1_3genE5ELNS1_11target_archE942ELNS1_3gpuE9ELNS1_3repE0EEENS1_30default_config_static_selectorELNS0_4arch9wavefront6targetE0EEEvT1_
; %bb.0:
	.section	.rodata,"a",@progbits
	.p2align	6, 0x0
	.amdhsa_kernel _ZN7rocprim17ROCPRIM_400000_NS6detail17trampoline_kernelINS0_14default_configENS1_27scan_by_key_config_selectorIllEEZZNS1_16scan_by_key_implILNS1_25lookback_scan_determinismE0ELb0ES3_PKlN6hipcub16HIPCUB_304000_NS21ConstantInputIteratorIllEEPllNSB_3SumENSB_8EqualityElEE10hipError_tPvRmT2_T3_T4_T5_mT6_T7_P12ihipStream_tbENKUlT_T0_E_clISt17integral_constantIbLb1EESX_EEDaSS_ST_EUlSS_E_NS1_11comp_targetILNS1_3genE5ELNS1_11target_archE942ELNS1_3gpuE9ELNS1_3repE0EEENS1_30default_config_static_selectorELNS0_4arch9wavefront6targetE0EEEvT1_
		.amdhsa_group_segment_fixed_size 0
		.amdhsa_private_segment_fixed_size 0
		.amdhsa_kernarg_size 144
		.amdhsa_user_sgpr_count 6
		.amdhsa_user_sgpr_private_segment_buffer 1
		.amdhsa_user_sgpr_dispatch_ptr 0
		.amdhsa_user_sgpr_queue_ptr 0
		.amdhsa_user_sgpr_kernarg_segment_ptr 1
		.amdhsa_user_sgpr_dispatch_id 0
		.amdhsa_user_sgpr_flat_scratch_init 0
		.amdhsa_user_sgpr_private_segment_size 0
		.amdhsa_wavefront_size32 1
		.amdhsa_uses_dynamic_stack 0
		.amdhsa_system_sgpr_private_segment_wavefront_offset 0
		.amdhsa_system_sgpr_workgroup_id_x 1
		.amdhsa_system_sgpr_workgroup_id_y 0
		.amdhsa_system_sgpr_workgroup_id_z 0
		.amdhsa_system_sgpr_workgroup_info 0
		.amdhsa_system_vgpr_workitem_id 0
		.amdhsa_next_free_vgpr 1
		.amdhsa_next_free_sgpr 1
		.amdhsa_reserve_vcc 0
		.amdhsa_reserve_flat_scratch 0
		.amdhsa_float_round_mode_32 0
		.amdhsa_float_round_mode_16_64 0
		.amdhsa_float_denorm_mode_32 3
		.amdhsa_float_denorm_mode_16_64 3
		.amdhsa_dx10_clamp 1
		.amdhsa_ieee_mode 1
		.amdhsa_fp16_overflow 0
		.amdhsa_workgroup_processor_mode 1
		.amdhsa_memory_ordered 1
		.amdhsa_forward_progress 1
		.amdhsa_shared_vgpr_count 0
		.amdhsa_exception_fp_ieee_invalid_op 0
		.amdhsa_exception_fp_denorm_src 0
		.amdhsa_exception_fp_ieee_div_zero 0
		.amdhsa_exception_fp_ieee_overflow 0
		.amdhsa_exception_fp_ieee_underflow 0
		.amdhsa_exception_fp_ieee_inexact 0
		.amdhsa_exception_int_div_zero 0
	.end_amdhsa_kernel
	.section	.text._ZN7rocprim17ROCPRIM_400000_NS6detail17trampoline_kernelINS0_14default_configENS1_27scan_by_key_config_selectorIllEEZZNS1_16scan_by_key_implILNS1_25lookback_scan_determinismE0ELb0ES3_PKlN6hipcub16HIPCUB_304000_NS21ConstantInputIteratorIllEEPllNSB_3SumENSB_8EqualityElEE10hipError_tPvRmT2_T3_T4_T5_mT6_T7_P12ihipStream_tbENKUlT_T0_E_clISt17integral_constantIbLb1EESX_EEDaSS_ST_EUlSS_E_NS1_11comp_targetILNS1_3genE5ELNS1_11target_archE942ELNS1_3gpuE9ELNS1_3repE0EEENS1_30default_config_static_selectorELNS0_4arch9wavefront6targetE0EEEvT1_,"axG",@progbits,_ZN7rocprim17ROCPRIM_400000_NS6detail17trampoline_kernelINS0_14default_configENS1_27scan_by_key_config_selectorIllEEZZNS1_16scan_by_key_implILNS1_25lookback_scan_determinismE0ELb0ES3_PKlN6hipcub16HIPCUB_304000_NS21ConstantInputIteratorIllEEPllNSB_3SumENSB_8EqualityElEE10hipError_tPvRmT2_T3_T4_T5_mT6_T7_P12ihipStream_tbENKUlT_T0_E_clISt17integral_constantIbLb1EESX_EEDaSS_ST_EUlSS_E_NS1_11comp_targetILNS1_3genE5ELNS1_11target_archE942ELNS1_3gpuE9ELNS1_3repE0EEENS1_30default_config_static_selectorELNS0_4arch9wavefront6targetE0EEEvT1_,comdat
.Lfunc_end107:
	.size	_ZN7rocprim17ROCPRIM_400000_NS6detail17trampoline_kernelINS0_14default_configENS1_27scan_by_key_config_selectorIllEEZZNS1_16scan_by_key_implILNS1_25lookback_scan_determinismE0ELb0ES3_PKlN6hipcub16HIPCUB_304000_NS21ConstantInputIteratorIllEEPllNSB_3SumENSB_8EqualityElEE10hipError_tPvRmT2_T3_T4_T5_mT6_T7_P12ihipStream_tbENKUlT_T0_E_clISt17integral_constantIbLb1EESX_EEDaSS_ST_EUlSS_E_NS1_11comp_targetILNS1_3genE5ELNS1_11target_archE942ELNS1_3gpuE9ELNS1_3repE0EEENS1_30default_config_static_selectorELNS0_4arch9wavefront6targetE0EEEvT1_, .Lfunc_end107-_ZN7rocprim17ROCPRIM_400000_NS6detail17trampoline_kernelINS0_14default_configENS1_27scan_by_key_config_selectorIllEEZZNS1_16scan_by_key_implILNS1_25lookback_scan_determinismE0ELb0ES3_PKlN6hipcub16HIPCUB_304000_NS21ConstantInputIteratorIllEEPllNSB_3SumENSB_8EqualityElEE10hipError_tPvRmT2_T3_T4_T5_mT6_T7_P12ihipStream_tbENKUlT_T0_E_clISt17integral_constantIbLb1EESX_EEDaSS_ST_EUlSS_E_NS1_11comp_targetILNS1_3genE5ELNS1_11target_archE942ELNS1_3gpuE9ELNS1_3repE0EEENS1_30default_config_static_selectorELNS0_4arch9wavefront6targetE0EEEvT1_
                                        ; -- End function
	.set _ZN7rocprim17ROCPRIM_400000_NS6detail17trampoline_kernelINS0_14default_configENS1_27scan_by_key_config_selectorIllEEZZNS1_16scan_by_key_implILNS1_25lookback_scan_determinismE0ELb0ES3_PKlN6hipcub16HIPCUB_304000_NS21ConstantInputIteratorIllEEPllNSB_3SumENSB_8EqualityElEE10hipError_tPvRmT2_T3_T4_T5_mT6_T7_P12ihipStream_tbENKUlT_T0_E_clISt17integral_constantIbLb1EESX_EEDaSS_ST_EUlSS_E_NS1_11comp_targetILNS1_3genE5ELNS1_11target_archE942ELNS1_3gpuE9ELNS1_3repE0EEENS1_30default_config_static_selectorELNS0_4arch9wavefront6targetE0EEEvT1_.num_vgpr, 0
	.set _ZN7rocprim17ROCPRIM_400000_NS6detail17trampoline_kernelINS0_14default_configENS1_27scan_by_key_config_selectorIllEEZZNS1_16scan_by_key_implILNS1_25lookback_scan_determinismE0ELb0ES3_PKlN6hipcub16HIPCUB_304000_NS21ConstantInputIteratorIllEEPllNSB_3SumENSB_8EqualityElEE10hipError_tPvRmT2_T3_T4_T5_mT6_T7_P12ihipStream_tbENKUlT_T0_E_clISt17integral_constantIbLb1EESX_EEDaSS_ST_EUlSS_E_NS1_11comp_targetILNS1_3genE5ELNS1_11target_archE942ELNS1_3gpuE9ELNS1_3repE0EEENS1_30default_config_static_selectorELNS0_4arch9wavefront6targetE0EEEvT1_.num_agpr, 0
	.set _ZN7rocprim17ROCPRIM_400000_NS6detail17trampoline_kernelINS0_14default_configENS1_27scan_by_key_config_selectorIllEEZZNS1_16scan_by_key_implILNS1_25lookback_scan_determinismE0ELb0ES3_PKlN6hipcub16HIPCUB_304000_NS21ConstantInputIteratorIllEEPllNSB_3SumENSB_8EqualityElEE10hipError_tPvRmT2_T3_T4_T5_mT6_T7_P12ihipStream_tbENKUlT_T0_E_clISt17integral_constantIbLb1EESX_EEDaSS_ST_EUlSS_E_NS1_11comp_targetILNS1_3genE5ELNS1_11target_archE942ELNS1_3gpuE9ELNS1_3repE0EEENS1_30default_config_static_selectorELNS0_4arch9wavefront6targetE0EEEvT1_.numbered_sgpr, 0
	.set _ZN7rocprim17ROCPRIM_400000_NS6detail17trampoline_kernelINS0_14default_configENS1_27scan_by_key_config_selectorIllEEZZNS1_16scan_by_key_implILNS1_25lookback_scan_determinismE0ELb0ES3_PKlN6hipcub16HIPCUB_304000_NS21ConstantInputIteratorIllEEPllNSB_3SumENSB_8EqualityElEE10hipError_tPvRmT2_T3_T4_T5_mT6_T7_P12ihipStream_tbENKUlT_T0_E_clISt17integral_constantIbLb1EESX_EEDaSS_ST_EUlSS_E_NS1_11comp_targetILNS1_3genE5ELNS1_11target_archE942ELNS1_3gpuE9ELNS1_3repE0EEENS1_30default_config_static_selectorELNS0_4arch9wavefront6targetE0EEEvT1_.num_named_barrier, 0
	.set _ZN7rocprim17ROCPRIM_400000_NS6detail17trampoline_kernelINS0_14default_configENS1_27scan_by_key_config_selectorIllEEZZNS1_16scan_by_key_implILNS1_25lookback_scan_determinismE0ELb0ES3_PKlN6hipcub16HIPCUB_304000_NS21ConstantInputIteratorIllEEPllNSB_3SumENSB_8EqualityElEE10hipError_tPvRmT2_T3_T4_T5_mT6_T7_P12ihipStream_tbENKUlT_T0_E_clISt17integral_constantIbLb1EESX_EEDaSS_ST_EUlSS_E_NS1_11comp_targetILNS1_3genE5ELNS1_11target_archE942ELNS1_3gpuE9ELNS1_3repE0EEENS1_30default_config_static_selectorELNS0_4arch9wavefront6targetE0EEEvT1_.private_seg_size, 0
	.set _ZN7rocprim17ROCPRIM_400000_NS6detail17trampoline_kernelINS0_14default_configENS1_27scan_by_key_config_selectorIllEEZZNS1_16scan_by_key_implILNS1_25lookback_scan_determinismE0ELb0ES3_PKlN6hipcub16HIPCUB_304000_NS21ConstantInputIteratorIllEEPllNSB_3SumENSB_8EqualityElEE10hipError_tPvRmT2_T3_T4_T5_mT6_T7_P12ihipStream_tbENKUlT_T0_E_clISt17integral_constantIbLb1EESX_EEDaSS_ST_EUlSS_E_NS1_11comp_targetILNS1_3genE5ELNS1_11target_archE942ELNS1_3gpuE9ELNS1_3repE0EEENS1_30default_config_static_selectorELNS0_4arch9wavefront6targetE0EEEvT1_.uses_vcc, 0
	.set _ZN7rocprim17ROCPRIM_400000_NS6detail17trampoline_kernelINS0_14default_configENS1_27scan_by_key_config_selectorIllEEZZNS1_16scan_by_key_implILNS1_25lookback_scan_determinismE0ELb0ES3_PKlN6hipcub16HIPCUB_304000_NS21ConstantInputIteratorIllEEPllNSB_3SumENSB_8EqualityElEE10hipError_tPvRmT2_T3_T4_T5_mT6_T7_P12ihipStream_tbENKUlT_T0_E_clISt17integral_constantIbLb1EESX_EEDaSS_ST_EUlSS_E_NS1_11comp_targetILNS1_3genE5ELNS1_11target_archE942ELNS1_3gpuE9ELNS1_3repE0EEENS1_30default_config_static_selectorELNS0_4arch9wavefront6targetE0EEEvT1_.uses_flat_scratch, 0
	.set _ZN7rocprim17ROCPRIM_400000_NS6detail17trampoline_kernelINS0_14default_configENS1_27scan_by_key_config_selectorIllEEZZNS1_16scan_by_key_implILNS1_25lookback_scan_determinismE0ELb0ES3_PKlN6hipcub16HIPCUB_304000_NS21ConstantInputIteratorIllEEPllNSB_3SumENSB_8EqualityElEE10hipError_tPvRmT2_T3_T4_T5_mT6_T7_P12ihipStream_tbENKUlT_T0_E_clISt17integral_constantIbLb1EESX_EEDaSS_ST_EUlSS_E_NS1_11comp_targetILNS1_3genE5ELNS1_11target_archE942ELNS1_3gpuE9ELNS1_3repE0EEENS1_30default_config_static_selectorELNS0_4arch9wavefront6targetE0EEEvT1_.has_dyn_sized_stack, 0
	.set _ZN7rocprim17ROCPRIM_400000_NS6detail17trampoline_kernelINS0_14default_configENS1_27scan_by_key_config_selectorIllEEZZNS1_16scan_by_key_implILNS1_25lookback_scan_determinismE0ELb0ES3_PKlN6hipcub16HIPCUB_304000_NS21ConstantInputIteratorIllEEPllNSB_3SumENSB_8EqualityElEE10hipError_tPvRmT2_T3_T4_T5_mT6_T7_P12ihipStream_tbENKUlT_T0_E_clISt17integral_constantIbLb1EESX_EEDaSS_ST_EUlSS_E_NS1_11comp_targetILNS1_3genE5ELNS1_11target_archE942ELNS1_3gpuE9ELNS1_3repE0EEENS1_30default_config_static_selectorELNS0_4arch9wavefront6targetE0EEEvT1_.has_recursion, 0
	.set _ZN7rocprim17ROCPRIM_400000_NS6detail17trampoline_kernelINS0_14default_configENS1_27scan_by_key_config_selectorIllEEZZNS1_16scan_by_key_implILNS1_25lookback_scan_determinismE0ELb0ES3_PKlN6hipcub16HIPCUB_304000_NS21ConstantInputIteratorIllEEPllNSB_3SumENSB_8EqualityElEE10hipError_tPvRmT2_T3_T4_T5_mT6_T7_P12ihipStream_tbENKUlT_T0_E_clISt17integral_constantIbLb1EESX_EEDaSS_ST_EUlSS_E_NS1_11comp_targetILNS1_3genE5ELNS1_11target_archE942ELNS1_3gpuE9ELNS1_3repE0EEENS1_30default_config_static_selectorELNS0_4arch9wavefront6targetE0EEEvT1_.has_indirect_call, 0
	.section	.AMDGPU.csdata,"",@progbits
; Kernel info:
; codeLenInByte = 0
; TotalNumSgprs: 0
; NumVgprs: 0
; ScratchSize: 0
; MemoryBound: 0
; FloatMode: 240
; IeeeMode: 1
; LDSByteSize: 0 bytes/workgroup (compile time only)
; SGPRBlocks: 0
; VGPRBlocks: 0
; NumSGPRsForWavesPerEU: 1
; NumVGPRsForWavesPerEU: 1
; Occupancy: 16
; WaveLimiterHint : 0
; COMPUTE_PGM_RSRC2:SCRATCH_EN: 0
; COMPUTE_PGM_RSRC2:USER_SGPR: 6
; COMPUTE_PGM_RSRC2:TRAP_HANDLER: 0
; COMPUTE_PGM_RSRC2:TGID_X_EN: 1
; COMPUTE_PGM_RSRC2:TGID_Y_EN: 0
; COMPUTE_PGM_RSRC2:TGID_Z_EN: 0
; COMPUTE_PGM_RSRC2:TIDIG_COMP_CNT: 0
	.section	.text._ZN7rocprim17ROCPRIM_400000_NS6detail17trampoline_kernelINS0_14default_configENS1_27scan_by_key_config_selectorIllEEZZNS1_16scan_by_key_implILNS1_25lookback_scan_determinismE0ELb0ES3_PKlN6hipcub16HIPCUB_304000_NS21ConstantInputIteratorIllEEPllNSB_3SumENSB_8EqualityElEE10hipError_tPvRmT2_T3_T4_T5_mT6_T7_P12ihipStream_tbENKUlT_T0_E_clISt17integral_constantIbLb1EESX_EEDaSS_ST_EUlSS_E_NS1_11comp_targetILNS1_3genE4ELNS1_11target_archE910ELNS1_3gpuE8ELNS1_3repE0EEENS1_30default_config_static_selectorELNS0_4arch9wavefront6targetE0EEEvT1_,"axG",@progbits,_ZN7rocprim17ROCPRIM_400000_NS6detail17trampoline_kernelINS0_14default_configENS1_27scan_by_key_config_selectorIllEEZZNS1_16scan_by_key_implILNS1_25lookback_scan_determinismE0ELb0ES3_PKlN6hipcub16HIPCUB_304000_NS21ConstantInputIteratorIllEEPllNSB_3SumENSB_8EqualityElEE10hipError_tPvRmT2_T3_T4_T5_mT6_T7_P12ihipStream_tbENKUlT_T0_E_clISt17integral_constantIbLb1EESX_EEDaSS_ST_EUlSS_E_NS1_11comp_targetILNS1_3genE4ELNS1_11target_archE910ELNS1_3gpuE8ELNS1_3repE0EEENS1_30default_config_static_selectorELNS0_4arch9wavefront6targetE0EEEvT1_,comdat
	.protected	_ZN7rocprim17ROCPRIM_400000_NS6detail17trampoline_kernelINS0_14default_configENS1_27scan_by_key_config_selectorIllEEZZNS1_16scan_by_key_implILNS1_25lookback_scan_determinismE0ELb0ES3_PKlN6hipcub16HIPCUB_304000_NS21ConstantInputIteratorIllEEPllNSB_3SumENSB_8EqualityElEE10hipError_tPvRmT2_T3_T4_T5_mT6_T7_P12ihipStream_tbENKUlT_T0_E_clISt17integral_constantIbLb1EESX_EEDaSS_ST_EUlSS_E_NS1_11comp_targetILNS1_3genE4ELNS1_11target_archE910ELNS1_3gpuE8ELNS1_3repE0EEENS1_30default_config_static_selectorELNS0_4arch9wavefront6targetE0EEEvT1_ ; -- Begin function _ZN7rocprim17ROCPRIM_400000_NS6detail17trampoline_kernelINS0_14default_configENS1_27scan_by_key_config_selectorIllEEZZNS1_16scan_by_key_implILNS1_25lookback_scan_determinismE0ELb0ES3_PKlN6hipcub16HIPCUB_304000_NS21ConstantInputIteratorIllEEPllNSB_3SumENSB_8EqualityElEE10hipError_tPvRmT2_T3_T4_T5_mT6_T7_P12ihipStream_tbENKUlT_T0_E_clISt17integral_constantIbLb1EESX_EEDaSS_ST_EUlSS_E_NS1_11comp_targetILNS1_3genE4ELNS1_11target_archE910ELNS1_3gpuE8ELNS1_3repE0EEENS1_30default_config_static_selectorELNS0_4arch9wavefront6targetE0EEEvT1_
	.globl	_ZN7rocprim17ROCPRIM_400000_NS6detail17trampoline_kernelINS0_14default_configENS1_27scan_by_key_config_selectorIllEEZZNS1_16scan_by_key_implILNS1_25lookback_scan_determinismE0ELb0ES3_PKlN6hipcub16HIPCUB_304000_NS21ConstantInputIteratorIllEEPllNSB_3SumENSB_8EqualityElEE10hipError_tPvRmT2_T3_T4_T5_mT6_T7_P12ihipStream_tbENKUlT_T0_E_clISt17integral_constantIbLb1EESX_EEDaSS_ST_EUlSS_E_NS1_11comp_targetILNS1_3genE4ELNS1_11target_archE910ELNS1_3gpuE8ELNS1_3repE0EEENS1_30default_config_static_selectorELNS0_4arch9wavefront6targetE0EEEvT1_
	.p2align	8
	.type	_ZN7rocprim17ROCPRIM_400000_NS6detail17trampoline_kernelINS0_14default_configENS1_27scan_by_key_config_selectorIllEEZZNS1_16scan_by_key_implILNS1_25lookback_scan_determinismE0ELb0ES3_PKlN6hipcub16HIPCUB_304000_NS21ConstantInputIteratorIllEEPllNSB_3SumENSB_8EqualityElEE10hipError_tPvRmT2_T3_T4_T5_mT6_T7_P12ihipStream_tbENKUlT_T0_E_clISt17integral_constantIbLb1EESX_EEDaSS_ST_EUlSS_E_NS1_11comp_targetILNS1_3genE4ELNS1_11target_archE910ELNS1_3gpuE8ELNS1_3repE0EEENS1_30default_config_static_selectorELNS0_4arch9wavefront6targetE0EEEvT1_,@function
_ZN7rocprim17ROCPRIM_400000_NS6detail17trampoline_kernelINS0_14default_configENS1_27scan_by_key_config_selectorIllEEZZNS1_16scan_by_key_implILNS1_25lookback_scan_determinismE0ELb0ES3_PKlN6hipcub16HIPCUB_304000_NS21ConstantInputIteratorIllEEPllNSB_3SumENSB_8EqualityElEE10hipError_tPvRmT2_T3_T4_T5_mT6_T7_P12ihipStream_tbENKUlT_T0_E_clISt17integral_constantIbLb1EESX_EEDaSS_ST_EUlSS_E_NS1_11comp_targetILNS1_3genE4ELNS1_11target_archE910ELNS1_3gpuE8ELNS1_3repE0EEENS1_30default_config_static_selectorELNS0_4arch9wavefront6targetE0EEEvT1_: ; @_ZN7rocprim17ROCPRIM_400000_NS6detail17trampoline_kernelINS0_14default_configENS1_27scan_by_key_config_selectorIllEEZZNS1_16scan_by_key_implILNS1_25lookback_scan_determinismE0ELb0ES3_PKlN6hipcub16HIPCUB_304000_NS21ConstantInputIteratorIllEEPllNSB_3SumENSB_8EqualityElEE10hipError_tPvRmT2_T3_T4_T5_mT6_T7_P12ihipStream_tbENKUlT_T0_E_clISt17integral_constantIbLb1EESX_EEDaSS_ST_EUlSS_E_NS1_11comp_targetILNS1_3genE4ELNS1_11target_archE910ELNS1_3gpuE8ELNS1_3repE0EEENS1_30default_config_static_selectorELNS0_4arch9wavefront6targetE0EEEvT1_
; %bb.0:
	.section	.rodata,"a",@progbits
	.p2align	6, 0x0
	.amdhsa_kernel _ZN7rocprim17ROCPRIM_400000_NS6detail17trampoline_kernelINS0_14default_configENS1_27scan_by_key_config_selectorIllEEZZNS1_16scan_by_key_implILNS1_25lookback_scan_determinismE0ELb0ES3_PKlN6hipcub16HIPCUB_304000_NS21ConstantInputIteratorIllEEPllNSB_3SumENSB_8EqualityElEE10hipError_tPvRmT2_T3_T4_T5_mT6_T7_P12ihipStream_tbENKUlT_T0_E_clISt17integral_constantIbLb1EESX_EEDaSS_ST_EUlSS_E_NS1_11comp_targetILNS1_3genE4ELNS1_11target_archE910ELNS1_3gpuE8ELNS1_3repE0EEENS1_30default_config_static_selectorELNS0_4arch9wavefront6targetE0EEEvT1_
		.amdhsa_group_segment_fixed_size 0
		.amdhsa_private_segment_fixed_size 0
		.amdhsa_kernarg_size 144
		.amdhsa_user_sgpr_count 6
		.amdhsa_user_sgpr_private_segment_buffer 1
		.amdhsa_user_sgpr_dispatch_ptr 0
		.amdhsa_user_sgpr_queue_ptr 0
		.amdhsa_user_sgpr_kernarg_segment_ptr 1
		.amdhsa_user_sgpr_dispatch_id 0
		.amdhsa_user_sgpr_flat_scratch_init 0
		.amdhsa_user_sgpr_private_segment_size 0
		.amdhsa_wavefront_size32 1
		.amdhsa_uses_dynamic_stack 0
		.amdhsa_system_sgpr_private_segment_wavefront_offset 0
		.amdhsa_system_sgpr_workgroup_id_x 1
		.amdhsa_system_sgpr_workgroup_id_y 0
		.amdhsa_system_sgpr_workgroup_id_z 0
		.amdhsa_system_sgpr_workgroup_info 0
		.amdhsa_system_vgpr_workitem_id 0
		.amdhsa_next_free_vgpr 1
		.amdhsa_next_free_sgpr 1
		.amdhsa_reserve_vcc 0
		.amdhsa_reserve_flat_scratch 0
		.amdhsa_float_round_mode_32 0
		.amdhsa_float_round_mode_16_64 0
		.amdhsa_float_denorm_mode_32 3
		.amdhsa_float_denorm_mode_16_64 3
		.amdhsa_dx10_clamp 1
		.amdhsa_ieee_mode 1
		.amdhsa_fp16_overflow 0
		.amdhsa_workgroup_processor_mode 1
		.amdhsa_memory_ordered 1
		.amdhsa_forward_progress 1
		.amdhsa_shared_vgpr_count 0
		.amdhsa_exception_fp_ieee_invalid_op 0
		.amdhsa_exception_fp_denorm_src 0
		.amdhsa_exception_fp_ieee_div_zero 0
		.amdhsa_exception_fp_ieee_overflow 0
		.amdhsa_exception_fp_ieee_underflow 0
		.amdhsa_exception_fp_ieee_inexact 0
		.amdhsa_exception_int_div_zero 0
	.end_amdhsa_kernel
	.section	.text._ZN7rocprim17ROCPRIM_400000_NS6detail17trampoline_kernelINS0_14default_configENS1_27scan_by_key_config_selectorIllEEZZNS1_16scan_by_key_implILNS1_25lookback_scan_determinismE0ELb0ES3_PKlN6hipcub16HIPCUB_304000_NS21ConstantInputIteratorIllEEPllNSB_3SumENSB_8EqualityElEE10hipError_tPvRmT2_T3_T4_T5_mT6_T7_P12ihipStream_tbENKUlT_T0_E_clISt17integral_constantIbLb1EESX_EEDaSS_ST_EUlSS_E_NS1_11comp_targetILNS1_3genE4ELNS1_11target_archE910ELNS1_3gpuE8ELNS1_3repE0EEENS1_30default_config_static_selectorELNS0_4arch9wavefront6targetE0EEEvT1_,"axG",@progbits,_ZN7rocprim17ROCPRIM_400000_NS6detail17trampoline_kernelINS0_14default_configENS1_27scan_by_key_config_selectorIllEEZZNS1_16scan_by_key_implILNS1_25lookback_scan_determinismE0ELb0ES3_PKlN6hipcub16HIPCUB_304000_NS21ConstantInputIteratorIllEEPllNSB_3SumENSB_8EqualityElEE10hipError_tPvRmT2_T3_T4_T5_mT6_T7_P12ihipStream_tbENKUlT_T0_E_clISt17integral_constantIbLb1EESX_EEDaSS_ST_EUlSS_E_NS1_11comp_targetILNS1_3genE4ELNS1_11target_archE910ELNS1_3gpuE8ELNS1_3repE0EEENS1_30default_config_static_selectorELNS0_4arch9wavefront6targetE0EEEvT1_,comdat
.Lfunc_end108:
	.size	_ZN7rocprim17ROCPRIM_400000_NS6detail17trampoline_kernelINS0_14default_configENS1_27scan_by_key_config_selectorIllEEZZNS1_16scan_by_key_implILNS1_25lookback_scan_determinismE0ELb0ES3_PKlN6hipcub16HIPCUB_304000_NS21ConstantInputIteratorIllEEPllNSB_3SumENSB_8EqualityElEE10hipError_tPvRmT2_T3_T4_T5_mT6_T7_P12ihipStream_tbENKUlT_T0_E_clISt17integral_constantIbLb1EESX_EEDaSS_ST_EUlSS_E_NS1_11comp_targetILNS1_3genE4ELNS1_11target_archE910ELNS1_3gpuE8ELNS1_3repE0EEENS1_30default_config_static_selectorELNS0_4arch9wavefront6targetE0EEEvT1_, .Lfunc_end108-_ZN7rocprim17ROCPRIM_400000_NS6detail17trampoline_kernelINS0_14default_configENS1_27scan_by_key_config_selectorIllEEZZNS1_16scan_by_key_implILNS1_25lookback_scan_determinismE0ELb0ES3_PKlN6hipcub16HIPCUB_304000_NS21ConstantInputIteratorIllEEPllNSB_3SumENSB_8EqualityElEE10hipError_tPvRmT2_T3_T4_T5_mT6_T7_P12ihipStream_tbENKUlT_T0_E_clISt17integral_constantIbLb1EESX_EEDaSS_ST_EUlSS_E_NS1_11comp_targetILNS1_3genE4ELNS1_11target_archE910ELNS1_3gpuE8ELNS1_3repE0EEENS1_30default_config_static_selectorELNS0_4arch9wavefront6targetE0EEEvT1_
                                        ; -- End function
	.set _ZN7rocprim17ROCPRIM_400000_NS6detail17trampoline_kernelINS0_14default_configENS1_27scan_by_key_config_selectorIllEEZZNS1_16scan_by_key_implILNS1_25lookback_scan_determinismE0ELb0ES3_PKlN6hipcub16HIPCUB_304000_NS21ConstantInputIteratorIllEEPllNSB_3SumENSB_8EqualityElEE10hipError_tPvRmT2_T3_T4_T5_mT6_T7_P12ihipStream_tbENKUlT_T0_E_clISt17integral_constantIbLb1EESX_EEDaSS_ST_EUlSS_E_NS1_11comp_targetILNS1_3genE4ELNS1_11target_archE910ELNS1_3gpuE8ELNS1_3repE0EEENS1_30default_config_static_selectorELNS0_4arch9wavefront6targetE0EEEvT1_.num_vgpr, 0
	.set _ZN7rocprim17ROCPRIM_400000_NS6detail17trampoline_kernelINS0_14default_configENS1_27scan_by_key_config_selectorIllEEZZNS1_16scan_by_key_implILNS1_25lookback_scan_determinismE0ELb0ES3_PKlN6hipcub16HIPCUB_304000_NS21ConstantInputIteratorIllEEPllNSB_3SumENSB_8EqualityElEE10hipError_tPvRmT2_T3_T4_T5_mT6_T7_P12ihipStream_tbENKUlT_T0_E_clISt17integral_constantIbLb1EESX_EEDaSS_ST_EUlSS_E_NS1_11comp_targetILNS1_3genE4ELNS1_11target_archE910ELNS1_3gpuE8ELNS1_3repE0EEENS1_30default_config_static_selectorELNS0_4arch9wavefront6targetE0EEEvT1_.num_agpr, 0
	.set _ZN7rocprim17ROCPRIM_400000_NS6detail17trampoline_kernelINS0_14default_configENS1_27scan_by_key_config_selectorIllEEZZNS1_16scan_by_key_implILNS1_25lookback_scan_determinismE0ELb0ES3_PKlN6hipcub16HIPCUB_304000_NS21ConstantInputIteratorIllEEPllNSB_3SumENSB_8EqualityElEE10hipError_tPvRmT2_T3_T4_T5_mT6_T7_P12ihipStream_tbENKUlT_T0_E_clISt17integral_constantIbLb1EESX_EEDaSS_ST_EUlSS_E_NS1_11comp_targetILNS1_3genE4ELNS1_11target_archE910ELNS1_3gpuE8ELNS1_3repE0EEENS1_30default_config_static_selectorELNS0_4arch9wavefront6targetE0EEEvT1_.numbered_sgpr, 0
	.set _ZN7rocprim17ROCPRIM_400000_NS6detail17trampoline_kernelINS0_14default_configENS1_27scan_by_key_config_selectorIllEEZZNS1_16scan_by_key_implILNS1_25lookback_scan_determinismE0ELb0ES3_PKlN6hipcub16HIPCUB_304000_NS21ConstantInputIteratorIllEEPllNSB_3SumENSB_8EqualityElEE10hipError_tPvRmT2_T3_T4_T5_mT6_T7_P12ihipStream_tbENKUlT_T0_E_clISt17integral_constantIbLb1EESX_EEDaSS_ST_EUlSS_E_NS1_11comp_targetILNS1_3genE4ELNS1_11target_archE910ELNS1_3gpuE8ELNS1_3repE0EEENS1_30default_config_static_selectorELNS0_4arch9wavefront6targetE0EEEvT1_.num_named_barrier, 0
	.set _ZN7rocprim17ROCPRIM_400000_NS6detail17trampoline_kernelINS0_14default_configENS1_27scan_by_key_config_selectorIllEEZZNS1_16scan_by_key_implILNS1_25lookback_scan_determinismE0ELb0ES3_PKlN6hipcub16HIPCUB_304000_NS21ConstantInputIteratorIllEEPllNSB_3SumENSB_8EqualityElEE10hipError_tPvRmT2_T3_T4_T5_mT6_T7_P12ihipStream_tbENKUlT_T0_E_clISt17integral_constantIbLb1EESX_EEDaSS_ST_EUlSS_E_NS1_11comp_targetILNS1_3genE4ELNS1_11target_archE910ELNS1_3gpuE8ELNS1_3repE0EEENS1_30default_config_static_selectorELNS0_4arch9wavefront6targetE0EEEvT1_.private_seg_size, 0
	.set _ZN7rocprim17ROCPRIM_400000_NS6detail17trampoline_kernelINS0_14default_configENS1_27scan_by_key_config_selectorIllEEZZNS1_16scan_by_key_implILNS1_25lookback_scan_determinismE0ELb0ES3_PKlN6hipcub16HIPCUB_304000_NS21ConstantInputIteratorIllEEPllNSB_3SumENSB_8EqualityElEE10hipError_tPvRmT2_T3_T4_T5_mT6_T7_P12ihipStream_tbENKUlT_T0_E_clISt17integral_constantIbLb1EESX_EEDaSS_ST_EUlSS_E_NS1_11comp_targetILNS1_3genE4ELNS1_11target_archE910ELNS1_3gpuE8ELNS1_3repE0EEENS1_30default_config_static_selectorELNS0_4arch9wavefront6targetE0EEEvT1_.uses_vcc, 0
	.set _ZN7rocprim17ROCPRIM_400000_NS6detail17trampoline_kernelINS0_14default_configENS1_27scan_by_key_config_selectorIllEEZZNS1_16scan_by_key_implILNS1_25lookback_scan_determinismE0ELb0ES3_PKlN6hipcub16HIPCUB_304000_NS21ConstantInputIteratorIllEEPllNSB_3SumENSB_8EqualityElEE10hipError_tPvRmT2_T3_T4_T5_mT6_T7_P12ihipStream_tbENKUlT_T0_E_clISt17integral_constantIbLb1EESX_EEDaSS_ST_EUlSS_E_NS1_11comp_targetILNS1_3genE4ELNS1_11target_archE910ELNS1_3gpuE8ELNS1_3repE0EEENS1_30default_config_static_selectorELNS0_4arch9wavefront6targetE0EEEvT1_.uses_flat_scratch, 0
	.set _ZN7rocprim17ROCPRIM_400000_NS6detail17trampoline_kernelINS0_14default_configENS1_27scan_by_key_config_selectorIllEEZZNS1_16scan_by_key_implILNS1_25lookback_scan_determinismE0ELb0ES3_PKlN6hipcub16HIPCUB_304000_NS21ConstantInputIteratorIllEEPllNSB_3SumENSB_8EqualityElEE10hipError_tPvRmT2_T3_T4_T5_mT6_T7_P12ihipStream_tbENKUlT_T0_E_clISt17integral_constantIbLb1EESX_EEDaSS_ST_EUlSS_E_NS1_11comp_targetILNS1_3genE4ELNS1_11target_archE910ELNS1_3gpuE8ELNS1_3repE0EEENS1_30default_config_static_selectorELNS0_4arch9wavefront6targetE0EEEvT1_.has_dyn_sized_stack, 0
	.set _ZN7rocprim17ROCPRIM_400000_NS6detail17trampoline_kernelINS0_14default_configENS1_27scan_by_key_config_selectorIllEEZZNS1_16scan_by_key_implILNS1_25lookback_scan_determinismE0ELb0ES3_PKlN6hipcub16HIPCUB_304000_NS21ConstantInputIteratorIllEEPllNSB_3SumENSB_8EqualityElEE10hipError_tPvRmT2_T3_T4_T5_mT6_T7_P12ihipStream_tbENKUlT_T0_E_clISt17integral_constantIbLb1EESX_EEDaSS_ST_EUlSS_E_NS1_11comp_targetILNS1_3genE4ELNS1_11target_archE910ELNS1_3gpuE8ELNS1_3repE0EEENS1_30default_config_static_selectorELNS0_4arch9wavefront6targetE0EEEvT1_.has_recursion, 0
	.set _ZN7rocprim17ROCPRIM_400000_NS6detail17trampoline_kernelINS0_14default_configENS1_27scan_by_key_config_selectorIllEEZZNS1_16scan_by_key_implILNS1_25lookback_scan_determinismE0ELb0ES3_PKlN6hipcub16HIPCUB_304000_NS21ConstantInputIteratorIllEEPllNSB_3SumENSB_8EqualityElEE10hipError_tPvRmT2_T3_T4_T5_mT6_T7_P12ihipStream_tbENKUlT_T0_E_clISt17integral_constantIbLb1EESX_EEDaSS_ST_EUlSS_E_NS1_11comp_targetILNS1_3genE4ELNS1_11target_archE910ELNS1_3gpuE8ELNS1_3repE0EEENS1_30default_config_static_selectorELNS0_4arch9wavefront6targetE0EEEvT1_.has_indirect_call, 0
	.section	.AMDGPU.csdata,"",@progbits
; Kernel info:
; codeLenInByte = 0
; TotalNumSgprs: 0
; NumVgprs: 0
; ScratchSize: 0
; MemoryBound: 0
; FloatMode: 240
; IeeeMode: 1
; LDSByteSize: 0 bytes/workgroup (compile time only)
; SGPRBlocks: 0
; VGPRBlocks: 0
; NumSGPRsForWavesPerEU: 1
; NumVGPRsForWavesPerEU: 1
; Occupancy: 16
; WaveLimiterHint : 0
; COMPUTE_PGM_RSRC2:SCRATCH_EN: 0
; COMPUTE_PGM_RSRC2:USER_SGPR: 6
; COMPUTE_PGM_RSRC2:TRAP_HANDLER: 0
; COMPUTE_PGM_RSRC2:TGID_X_EN: 1
; COMPUTE_PGM_RSRC2:TGID_Y_EN: 0
; COMPUTE_PGM_RSRC2:TGID_Z_EN: 0
; COMPUTE_PGM_RSRC2:TIDIG_COMP_CNT: 0
	.section	.text._ZN7rocprim17ROCPRIM_400000_NS6detail17trampoline_kernelINS0_14default_configENS1_27scan_by_key_config_selectorIllEEZZNS1_16scan_by_key_implILNS1_25lookback_scan_determinismE0ELb0ES3_PKlN6hipcub16HIPCUB_304000_NS21ConstantInputIteratorIllEEPllNSB_3SumENSB_8EqualityElEE10hipError_tPvRmT2_T3_T4_T5_mT6_T7_P12ihipStream_tbENKUlT_T0_E_clISt17integral_constantIbLb1EESX_EEDaSS_ST_EUlSS_E_NS1_11comp_targetILNS1_3genE3ELNS1_11target_archE908ELNS1_3gpuE7ELNS1_3repE0EEENS1_30default_config_static_selectorELNS0_4arch9wavefront6targetE0EEEvT1_,"axG",@progbits,_ZN7rocprim17ROCPRIM_400000_NS6detail17trampoline_kernelINS0_14default_configENS1_27scan_by_key_config_selectorIllEEZZNS1_16scan_by_key_implILNS1_25lookback_scan_determinismE0ELb0ES3_PKlN6hipcub16HIPCUB_304000_NS21ConstantInputIteratorIllEEPllNSB_3SumENSB_8EqualityElEE10hipError_tPvRmT2_T3_T4_T5_mT6_T7_P12ihipStream_tbENKUlT_T0_E_clISt17integral_constantIbLb1EESX_EEDaSS_ST_EUlSS_E_NS1_11comp_targetILNS1_3genE3ELNS1_11target_archE908ELNS1_3gpuE7ELNS1_3repE0EEENS1_30default_config_static_selectorELNS0_4arch9wavefront6targetE0EEEvT1_,comdat
	.protected	_ZN7rocprim17ROCPRIM_400000_NS6detail17trampoline_kernelINS0_14default_configENS1_27scan_by_key_config_selectorIllEEZZNS1_16scan_by_key_implILNS1_25lookback_scan_determinismE0ELb0ES3_PKlN6hipcub16HIPCUB_304000_NS21ConstantInputIteratorIllEEPllNSB_3SumENSB_8EqualityElEE10hipError_tPvRmT2_T3_T4_T5_mT6_T7_P12ihipStream_tbENKUlT_T0_E_clISt17integral_constantIbLb1EESX_EEDaSS_ST_EUlSS_E_NS1_11comp_targetILNS1_3genE3ELNS1_11target_archE908ELNS1_3gpuE7ELNS1_3repE0EEENS1_30default_config_static_selectorELNS0_4arch9wavefront6targetE0EEEvT1_ ; -- Begin function _ZN7rocprim17ROCPRIM_400000_NS6detail17trampoline_kernelINS0_14default_configENS1_27scan_by_key_config_selectorIllEEZZNS1_16scan_by_key_implILNS1_25lookback_scan_determinismE0ELb0ES3_PKlN6hipcub16HIPCUB_304000_NS21ConstantInputIteratorIllEEPllNSB_3SumENSB_8EqualityElEE10hipError_tPvRmT2_T3_T4_T5_mT6_T7_P12ihipStream_tbENKUlT_T0_E_clISt17integral_constantIbLb1EESX_EEDaSS_ST_EUlSS_E_NS1_11comp_targetILNS1_3genE3ELNS1_11target_archE908ELNS1_3gpuE7ELNS1_3repE0EEENS1_30default_config_static_selectorELNS0_4arch9wavefront6targetE0EEEvT1_
	.globl	_ZN7rocprim17ROCPRIM_400000_NS6detail17trampoline_kernelINS0_14default_configENS1_27scan_by_key_config_selectorIllEEZZNS1_16scan_by_key_implILNS1_25lookback_scan_determinismE0ELb0ES3_PKlN6hipcub16HIPCUB_304000_NS21ConstantInputIteratorIllEEPllNSB_3SumENSB_8EqualityElEE10hipError_tPvRmT2_T3_T4_T5_mT6_T7_P12ihipStream_tbENKUlT_T0_E_clISt17integral_constantIbLb1EESX_EEDaSS_ST_EUlSS_E_NS1_11comp_targetILNS1_3genE3ELNS1_11target_archE908ELNS1_3gpuE7ELNS1_3repE0EEENS1_30default_config_static_selectorELNS0_4arch9wavefront6targetE0EEEvT1_
	.p2align	8
	.type	_ZN7rocprim17ROCPRIM_400000_NS6detail17trampoline_kernelINS0_14default_configENS1_27scan_by_key_config_selectorIllEEZZNS1_16scan_by_key_implILNS1_25lookback_scan_determinismE0ELb0ES3_PKlN6hipcub16HIPCUB_304000_NS21ConstantInputIteratorIllEEPllNSB_3SumENSB_8EqualityElEE10hipError_tPvRmT2_T3_T4_T5_mT6_T7_P12ihipStream_tbENKUlT_T0_E_clISt17integral_constantIbLb1EESX_EEDaSS_ST_EUlSS_E_NS1_11comp_targetILNS1_3genE3ELNS1_11target_archE908ELNS1_3gpuE7ELNS1_3repE0EEENS1_30default_config_static_selectorELNS0_4arch9wavefront6targetE0EEEvT1_,@function
_ZN7rocprim17ROCPRIM_400000_NS6detail17trampoline_kernelINS0_14default_configENS1_27scan_by_key_config_selectorIllEEZZNS1_16scan_by_key_implILNS1_25lookback_scan_determinismE0ELb0ES3_PKlN6hipcub16HIPCUB_304000_NS21ConstantInputIteratorIllEEPllNSB_3SumENSB_8EqualityElEE10hipError_tPvRmT2_T3_T4_T5_mT6_T7_P12ihipStream_tbENKUlT_T0_E_clISt17integral_constantIbLb1EESX_EEDaSS_ST_EUlSS_E_NS1_11comp_targetILNS1_3genE3ELNS1_11target_archE908ELNS1_3gpuE7ELNS1_3repE0EEENS1_30default_config_static_selectorELNS0_4arch9wavefront6targetE0EEEvT1_: ; @_ZN7rocprim17ROCPRIM_400000_NS6detail17trampoline_kernelINS0_14default_configENS1_27scan_by_key_config_selectorIllEEZZNS1_16scan_by_key_implILNS1_25lookback_scan_determinismE0ELb0ES3_PKlN6hipcub16HIPCUB_304000_NS21ConstantInputIteratorIllEEPllNSB_3SumENSB_8EqualityElEE10hipError_tPvRmT2_T3_T4_T5_mT6_T7_P12ihipStream_tbENKUlT_T0_E_clISt17integral_constantIbLb1EESX_EEDaSS_ST_EUlSS_E_NS1_11comp_targetILNS1_3genE3ELNS1_11target_archE908ELNS1_3gpuE7ELNS1_3repE0EEENS1_30default_config_static_selectorELNS0_4arch9wavefront6targetE0EEEvT1_
; %bb.0:
	.section	.rodata,"a",@progbits
	.p2align	6, 0x0
	.amdhsa_kernel _ZN7rocprim17ROCPRIM_400000_NS6detail17trampoline_kernelINS0_14default_configENS1_27scan_by_key_config_selectorIllEEZZNS1_16scan_by_key_implILNS1_25lookback_scan_determinismE0ELb0ES3_PKlN6hipcub16HIPCUB_304000_NS21ConstantInputIteratorIllEEPllNSB_3SumENSB_8EqualityElEE10hipError_tPvRmT2_T3_T4_T5_mT6_T7_P12ihipStream_tbENKUlT_T0_E_clISt17integral_constantIbLb1EESX_EEDaSS_ST_EUlSS_E_NS1_11comp_targetILNS1_3genE3ELNS1_11target_archE908ELNS1_3gpuE7ELNS1_3repE0EEENS1_30default_config_static_selectorELNS0_4arch9wavefront6targetE0EEEvT1_
		.amdhsa_group_segment_fixed_size 0
		.amdhsa_private_segment_fixed_size 0
		.amdhsa_kernarg_size 144
		.amdhsa_user_sgpr_count 6
		.amdhsa_user_sgpr_private_segment_buffer 1
		.amdhsa_user_sgpr_dispatch_ptr 0
		.amdhsa_user_sgpr_queue_ptr 0
		.amdhsa_user_sgpr_kernarg_segment_ptr 1
		.amdhsa_user_sgpr_dispatch_id 0
		.amdhsa_user_sgpr_flat_scratch_init 0
		.amdhsa_user_sgpr_private_segment_size 0
		.amdhsa_wavefront_size32 1
		.amdhsa_uses_dynamic_stack 0
		.amdhsa_system_sgpr_private_segment_wavefront_offset 0
		.amdhsa_system_sgpr_workgroup_id_x 1
		.amdhsa_system_sgpr_workgroup_id_y 0
		.amdhsa_system_sgpr_workgroup_id_z 0
		.amdhsa_system_sgpr_workgroup_info 0
		.amdhsa_system_vgpr_workitem_id 0
		.amdhsa_next_free_vgpr 1
		.amdhsa_next_free_sgpr 1
		.amdhsa_reserve_vcc 0
		.amdhsa_reserve_flat_scratch 0
		.amdhsa_float_round_mode_32 0
		.amdhsa_float_round_mode_16_64 0
		.amdhsa_float_denorm_mode_32 3
		.amdhsa_float_denorm_mode_16_64 3
		.amdhsa_dx10_clamp 1
		.amdhsa_ieee_mode 1
		.amdhsa_fp16_overflow 0
		.amdhsa_workgroup_processor_mode 1
		.amdhsa_memory_ordered 1
		.amdhsa_forward_progress 1
		.amdhsa_shared_vgpr_count 0
		.amdhsa_exception_fp_ieee_invalid_op 0
		.amdhsa_exception_fp_denorm_src 0
		.amdhsa_exception_fp_ieee_div_zero 0
		.amdhsa_exception_fp_ieee_overflow 0
		.amdhsa_exception_fp_ieee_underflow 0
		.amdhsa_exception_fp_ieee_inexact 0
		.amdhsa_exception_int_div_zero 0
	.end_amdhsa_kernel
	.section	.text._ZN7rocprim17ROCPRIM_400000_NS6detail17trampoline_kernelINS0_14default_configENS1_27scan_by_key_config_selectorIllEEZZNS1_16scan_by_key_implILNS1_25lookback_scan_determinismE0ELb0ES3_PKlN6hipcub16HIPCUB_304000_NS21ConstantInputIteratorIllEEPllNSB_3SumENSB_8EqualityElEE10hipError_tPvRmT2_T3_T4_T5_mT6_T7_P12ihipStream_tbENKUlT_T0_E_clISt17integral_constantIbLb1EESX_EEDaSS_ST_EUlSS_E_NS1_11comp_targetILNS1_3genE3ELNS1_11target_archE908ELNS1_3gpuE7ELNS1_3repE0EEENS1_30default_config_static_selectorELNS0_4arch9wavefront6targetE0EEEvT1_,"axG",@progbits,_ZN7rocprim17ROCPRIM_400000_NS6detail17trampoline_kernelINS0_14default_configENS1_27scan_by_key_config_selectorIllEEZZNS1_16scan_by_key_implILNS1_25lookback_scan_determinismE0ELb0ES3_PKlN6hipcub16HIPCUB_304000_NS21ConstantInputIteratorIllEEPllNSB_3SumENSB_8EqualityElEE10hipError_tPvRmT2_T3_T4_T5_mT6_T7_P12ihipStream_tbENKUlT_T0_E_clISt17integral_constantIbLb1EESX_EEDaSS_ST_EUlSS_E_NS1_11comp_targetILNS1_3genE3ELNS1_11target_archE908ELNS1_3gpuE7ELNS1_3repE0EEENS1_30default_config_static_selectorELNS0_4arch9wavefront6targetE0EEEvT1_,comdat
.Lfunc_end109:
	.size	_ZN7rocprim17ROCPRIM_400000_NS6detail17trampoline_kernelINS0_14default_configENS1_27scan_by_key_config_selectorIllEEZZNS1_16scan_by_key_implILNS1_25lookback_scan_determinismE0ELb0ES3_PKlN6hipcub16HIPCUB_304000_NS21ConstantInputIteratorIllEEPllNSB_3SumENSB_8EqualityElEE10hipError_tPvRmT2_T3_T4_T5_mT6_T7_P12ihipStream_tbENKUlT_T0_E_clISt17integral_constantIbLb1EESX_EEDaSS_ST_EUlSS_E_NS1_11comp_targetILNS1_3genE3ELNS1_11target_archE908ELNS1_3gpuE7ELNS1_3repE0EEENS1_30default_config_static_selectorELNS0_4arch9wavefront6targetE0EEEvT1_, .Lfunc_end109-_ZN7rocprim17ROCPRIM_400000_NS6detail17trampoline_kernelINS0_14default_configENS1_27scan_by_key_config_selectorIllEEZZNS1_16scan_by_key_implILNS1_25lookback_scan_determinismE0ELb0ES3_PKlN6hipcub16HIPCUB_304000_NS21ConstantInputIteratorIllEEPllNSB_3SumENSB_8EqualityElEE10hipError_tPvRmT2_T3_T4_T5_mT6_T7_P12ihipStream_tbENKUlT_T0_E_clISt17integral_constantIbLb1EESX_EEDaSS_ST_EUlSS_E_NS1_11comp_targetILNS1_3genE3ELNS1_11target_archE908ELNS1_3gpuE7ELNS1_3repE0EEENS1_30default_config_static_selectorELNS0_4arch9wavefront6targetE0EEEvT1_
                                        ; -- End function
	.set _ZN7rocprim17ROCPRIM_400000_NS6detail17trampoline_kernelINS0_14default_configENS1_27scan_by_key_config_selectorIllEEZZNS1_16scan_by_key_implILNS1_25lookback_scan_determinismE0ELb0ES3_PKlN6hipcub16HIPCUB_304000_NS21ConstantInputIteratorIllEEPllNSB_3SumENSB_8EqualityElEE10hipError_tPvRmT2_T3_T4_T5_mT6_T7_P12ihipStream_tbENKUlT_T0_E_clISt17integral_constantIbLb1EESX_EEDaSS_ST_EUlSS_E_NS1_11comp_targetILNS1_3genE3ELNS1_11target_archE908ELNS1_3gpuE7ELNS1_3repE0EEENS1_30default_config_static_selectorELNS0_4arch9wavefront6targetE0EEEvT1_.num_vgpr, 0
	.set _ZN7rocprim17ROCPRIM_400000_NS6detail17trampoline_kernelINS0_14default_configENS1_27scan_by_key_config_selectorIllEEZZNS1_16scan_by_key_implILNS1_25lookback_scan_determinismE0ELb0ES3_PKlN6hipcub16HIPCUB_304000_NS21ConstantInputIteratorIllEEPllNSB_3SumENSB_8EqualityElEE10hipError_tPvRmT2_T3_T4_T5_mT6_T7_P12ihipStream_tbENKUlT_T0_E_clISt17integral_constantIbLb1EESX_EEDaSS_ST_EUlSS_E_NS1_11comp_targetILNS1_3genE3ELNS1_11target_archE908ELNS1_3gpuE7ELNS1_3repE0EEENS1_30default_config_static_selectorELNS0_4arch9wavefront6targetE0EEEvT1_.num_agpr, 0
	.set _ZN7rocprim17ROCPRIM_400000_NS6detail17trampoline_kernelINS0_14default_configENS1_27scan_by_key_config_selectorIllEEZZNS1_16scan_by_key_implILNS1_25lookback_scan_determinismE0ELb0ES3_PKlN6hipcub16HIPCUB_304000_NS21ConstantInputIteratorIllEEPllNSB_3SumENSB_8EqualityElEE10hipError_tPvRmT2_T3_T4_T5_mT6_T7_P12ihipStream_tbENKUlT_T0_E_clISt17integral_constantIbLb1EESX_EEDaSS_ST_EUlSS_E_NS1_11comp_targetILNS1_3genE3ELNS1_11target_archE908ELNS1_3gpuE7ELNS1_3repE0EEENS1_30default_config_static_selectorELNS0_4arch9wavefront6targetE0EEEvT1_.numbered_sgpr, 0
	.set _ZN7rocprim17ROCPRIM_400000_NS6detail17trampoline_kernelINS0_14default_configENS1_27scan_by_key_config_selectorIllEEZZNS1_16scan_by_key_implILNS1_25lookback_scan_determinismE0ELb0ES3_PKlN6hipcub16HIPCUB_304000_NS21ConstantInputIteratorIllEEPllNSB_3SumENSB_8EqualityElEE10hipError_tPvRmT2_T3_T4_T5_mT6_T7_P12ihipStream_tbENKUlT_T0_E_clISt17integral_constantIbLb1EESX_EEDaSS_ST_EUlSS_E_NS1_11comp_targetILNS1_3genE3ELNS1_11target_archE908ELNS1_3gpuE7ELNS1_3repE0EEENS1_30default_config_static_selectorELNS0_4arch9wavefront6targetE0EEEvT1_.num_named_barrier, 0
	.set _ZN7rocprim17ROCPRIM_400000_NS6detail17trampoline_kernelINS0_14default_configENS1_27scan_by_key_config_selectorIllEEZZNS1_16scan_by_key_implILNS1_25lookback_scan_determinismE0ELb0ES3_PKlN6hipcub16HIPCUB_304000_NS21ConstantInputIteratorIllEEPllNSB_3SumENSB_8EqualityElEE10hipError_tPvRmT2_T3_T4_T5_mT6_T7_P12ihipStream_tbENKUlT_T0_E_clISt17integral_constantIbLb1EESX_EEDaSS_ST_EUlSS_E_NS1_11comp_targetILNS1_3genE3ELNS1_11target_archE908ELNS1_3gpuE7ELNS1_3repE0EEENS1_30default_config_static_selectorELNS0_4arch9wavefront6targetE0EEEvT1_.private_seg_size, 0
	.set _ZN7rocprim17ROCPRIM_400000_NS6detail17trampoline_kernelINS0_14default_configENS1_27scan_by_key_config_selectorIllEEZZNS1_16scan_by_key_implILNS1_25lookback_scan_determinismE0ELb0ES3_PKlN6hipcub16HIPCUB_304000_NS21ConstantInputIteratorIllEEPllNSB_3SumENSB_8EqualityElEE10hipError_tPvRmT2_T3_T4_T5_mT6_T7_P12ihipStream_tbENKUlT_T0_E_clISt17integral_constantIbLb1EESX_EEDaSS_ST_EUlSS_E_NS1_11comp_targetILNS1_3genE3ELNS1_11target_archE908ELNS1_3gpuE7ELNS1_3repE0EEENS1_30default_config_static_selectorELNS0_4arch9wavefront6targetE0EEEvT1_.uses_vcc, 0
	.set _ZN7rocprim17ROCPRIM_400000_NS6detail17trampoline_kernelINS0_14default_configENS1_27scan_by_key_config_selectorIllEEZZNS1_16scan_by_key_implILNS1_25lookback_scan_determinismE0ELb0ES3_PKlN6hipcub16HIPCUB_304000_NS21ConstantInputIteratorIllEEPllNSB_3SumENSB_8EqualityElEE10hipError_tPvRmT2_T3_T4_T5_mT6_T7_P12ihipStream_tbENKUlT_T0_E_clISt17integral_constantIbLb1EESX_EEDaSS_ST_EUlSS_E_NS1_11comp_targetILNS1_3genE3ELNS1_11target_archE908ELNS1_3gpuE7ELNS1_3repE0EEENS1_30default_config_static_selectorELNS0_4arch9wavefront6targetE0EEEvT1_.uses_flat_scratch, 0
	.set _ZN7rocprim17ROCPRIM_400000_NS6detail17trampoline_kernelINS0_14default_configENS1_27scan_by_key_config_selectorIllEEZZNS1_16scan_by_key_implILNS1_25lookback_scan_determinismE0ELb0ES3_PKlN6hipcub16HIPCUB_304000_NS21ConstantInputIteratorIllEEPllNSB_3SumENSB_8EqualityElEE10hipError_tPvRmT2_T3_T4_T5_mT6_T7_P12ihipStream_tbENKUlT_T0_E_clISt17integral_constantIbLb1EESX_EEDaSS_ST_EUlSS_E_NS1_11comp_targetILNS1_3genE3ELNS1_11target_archE908ELNS1_3gpuE7ELNS1_3repE0EEENS1_30default_config_static_selectorELNS0_4arch9wavefront6targetE0EEEvT1_.has_dyn_sized_stack, 0
	.set _ZN7rocprim17ROCPRIM_400000_NS6detail17trampoline_kernelINS0_14default_configENS1_27scan_by_key_config_selectorIllEEZZNS1_16scan_by_key_implILNS1_25lookback_scan_determinismE0ELb0ES3_PKlN6hipcub16HIPCUB_304000_NS21ConstantInputIteratorIllEEPllNSB_3SumENSB_8EqualityElEE10hipError_tPvRmT2_T3_T4_T5_mT6_T7_P12ihipStream_tbENKUlT_T0_E_clISt17integral_constantIbLb1EESX_EEDaSS_ST_EUlSS_E_NS1_11comp_targetILNS1_3genE3ELNS1_11target_archE908ELNS1_3gpuE7ELNS1_3repE0EEENS1_30default_config_static_selectorELNS0_4arch9wavefront6targetE0EEEvT1_.has_recursion, 0
	.set _ZN7rocprim17ROCPRIM_400000_NS6detail17trampoline_kernelINS0_14default_configENS1_27scan_by_key_config_selectorIllEEZZNS1_16scan_by_key_implILNS1_25lookback_scan_determinismE0ELb0ES3_PKlN6hipcub16HIPCUB_304000_NS21ConstantInputIteratorIllEEPllNSB_3SumENSB_8EqualityElEE10hipError_tPvRmT2_T3_T4_T5_mT6_T7_P12ihipStream_tbENKUlT_T0_E_clISt17integral_constantIbLb1EESX_EEDaSS_ST_EUlSS_E_NS1_11comp_targetILNS1_3genE3ELNS1_11target_archE908ELNS1_3gpuE7ELNS1_3repE0EEENS1_30default_config_static_selectorELNS0_4arch9wavefront6targetE0EEEvT1_.has_indirect_call, 0
	.section	.AMDGPU.csdata,"",@progbits
; Kernel info:
; codeLenInByte = 0
; TotalNumSgprs: 0
; NumVgprs: 0
; ScratchSize: 0
; MemoryBound: 0
; FloatMode: 240
; IeeeMode: 1
; LDSByteSize: 0 bytes/workgroup (compile time only)
; SGPRBlocks: 0
; VGPRBlocks: 0
; NumSGPRsForWavesPerEU: 1
; NumVGPRsForWavesPerEU: 1
; Occupancy: 16
; WaveLimiterHint : 0
; COMPUTE_PGM_RSRC2:SCRATCH_EN: 0
; COMPUTE_PGM_RSRC2:USER_SGPR: 6
; COMPUTE_PGM_RSRC2:TRAP_HANDLER: 0
; COMPUTE_PGM_RSRC2:TGID_X_EN: 1
; COMPUTE_PGM_RSRC2:TGID_Y_EN: 0
; COMPUTE_PGM_RSRC2:TGID_Z_EN: 0
; COMPUTE_PGM_RSRC2:TIDIG_COMP_CNT: 0
	.section	.text._ZN7rocprim17ROCPRIM_400000_NS6detail17trampoline_kernelINS0_14default_configENS1_27scan_by_key_config_selectorIllEEZZNS1_16scan_by_key_implILNS1_25lookback_scan_determinismE0ELb0ES3_PKlN6hipcub16HIPCUB_304000_NS21ConstantInputIteratorIllEEPllNSB_3SumENSB_8EqualityElEE10hipError_tPvRmT2_T3_T4_T5_mT6_T7_P12ihipStream_tbENKUlT_T0_E_clISt17integral_constantIbLb1EESX_EEDaSS_ST_EUlSS_E_NS1_11comp_targetILNS1_3genE2ELNS1_11target_archE906ELNS1_3gpuE6ELNS1_3repE0EEENS1_30default_config_static_selectorELNS0_4arch9wavefront6targetE0EEEvT1_,"axG",@progbits,_ZN7rocprim17ROCPRIM_400000_NS6detail17trampoline_kernelINS0_14default_configENS1_27scan_by_key_config_selectorIllEEZZNS1_16scan_by_key_implILNS1_25lookback_scan_determinismE0ELb0ES3_PKlN6hipcub16HIPCUB_304000_NS21ConstantInputIteratorIllEEPllNSB_3SumENSB_8EqualityElEE10hipError_tPvRmT2_T3_T4_T5_mT6_T7_P12ihipStream_tbENKUlT_T0_E_clISt17integral_constantIbLb1EESX_EEDaSS_ST_EUlSS_E_NS1_11comp_targetILNS1_3genE2ELNS1_11target_archE906ELNS1_3gpuE6ELNS1_3repE0EEENS1_30default_config_static_selectorELNS0_4arch9wavefront6targetE0EEEvT1_,comdat
	.protected	_ZN7rocprim17ROCPRIM_400000_NS6detail17trampoline_kernelINS0_14default_configENS1_27scan_by_key_config_selectorIllEEZZNS1_16scan_by_key_implILNS1_25lookback_scan_determinismE0ELb0ES3_PKlN6hipcub16HIPCUB_304000_NS21ConstantInputIteratorIllEEPllNSB_3SumENSB_8EqualityElEE10hipError_tPvRmT2_T3_T4_T5_mT6_T7_P12ihipStream_tbENKUlT_T0_E_clISt17integral_constantIbLb1EESX_EEDaSS_ST_EUlSS_E_NS1_11comp_targetILNS1_3genE2ELNS1_11target_archE906ELNS1_3gpuE6ELNS1_3repE0EEENS1_30default_config_static_selectorELNS0_4arch9wavefront6targetE0EEEvT1_ ; -- Begin function _ZN7rocprim17ROCPRIM_400000_NS6detail17trampoline_kernelINS0_14default_configENS1_27scan_by_key_config_selectorIllEEZZNS1_16scan_by_key_implILNS1_25lookback_scan_determinismE0ELb0ES3_PKlN6hipcub16HIPCUB_304000_NS21ConstantInputIteratorIllEEPllNSB_3SumENSB_8EqualityElEE10hipError_tPvRmT2_T3_T4_T5_mT6_T7_P12ihipStream_tbENKUlT_T0_E_clISt17integral_constantIbLb1EESX_EEDaSS_ST_EUlSS_E_NS1_11comp_targetILNS1_3genE2ELNS1_11target_archE906ELNS1_3gpuE6ELNS1_3repE0EEENS1_30default_config_static_selectorELNS0_4arch9wavefront6targetE0EEEvT1_
	.globl	_ZN7rocprim17ROCPRIM_400000_NS6detail17trampoline_kernelINS0_14default_configENS1_27scan_by_key_config_selectorIllEEZZNS1_16scan_by_key_implILNS1_25lookback_scan_determinismE0ELb0ES3_PKlN6hipcub16HIPCUB_304000_NS21ConstantInputIteratorIllEEPllNSB_3SumENSB_8EqualityElEE10hipError_tPvRmT2_T3_T4_T5_mT6_T7_P12ihipStream_tbENKUlT_T0_E_clISt17integral_constantIbLb1EESX_EEDaSS_ST_EUlSS_E_NS1_11comp_targetILNS1_3genE2ELNS1_11target_archE906ELNS1_3gpuE6ELNS1_3repE0EEENS1_30default_config_static_selectorELNS0_4arch9wavefront6targetE0EEEvT1_
	.p2align	8
	.type	_ZN7rocprim17ROCPRIM_400000_NS6detail17trampoline_kernelINS0_14default_configENS1_27scan_by_key_config_selectorIllEEZZNS1_16scan_by_key_implILNS1_25lookback_scan_determinismE0ELb0ES3_PKlN6hipcub16HIPCUB_304000_NS21ConstantInputIteratorIllEEPllNSB_3SumENSB_8EqualityElEE10hipError_tPvRmT2_T3_T4_T5_mT6_T7_P12ihipStream_tbENKUlT_T0_E_clISt17integral_constantIbLb1EESX_EEDaSS_ST_EUlSS_E_NS1_11comp_targetILNS1_3genE2ELNS1_11target_archE906ELNS1_3gpuE6ELNS1_3repE0EEENS1_30default_config_static_selectorELNS0_4arch9wavefront6targetE0EEEvT1_,@function
_ZN7rocprim17ROCPRIM_400000_NS6detail17trampoline_kernelINS0_14default_configENS1_27scan_by_key_config_selectorIllEEZZNS1_16scan_by_key_implILNS1_25lookback_scan_determinismE0ELb0ES3_PKlN6hipcub16HIPCUB_304000_NS21ConstantInputIteratorIllEEPllNSB_3SumENSB_8EqualityElEE10hipError_tPvRmT2_T3_T4_T5_mT6_T7_P12ihipStream_tbENKUlT_T0_E_clISt17integral_constantIbLb1EESX_EEDaSS_ST_EUlSS_E_NS1_11comp_targetILNS1_3genE2ELNS1_11target_archE906ELNS1_3gpuE6ELNS1_3repE0EEENS1_30default_config_static_selectorELNS0_4arch9wavefront6targetE0EEEvT1_: ; @_ZN7rocprim17ROCPRIM_400000_NS6detail17trampoline_kernelINS0_14default_configENS1_27scan_by_key_config_selectorIllEEZZNS1_16scan_by_key_implILNS1_25lookback_scan_determinismE0ELb0ES3_PKlN6hipcub16HIPCUB_304000_NS21ConstantInputIteratorIllEEPllNSB_3SumENSB_8EqualityElEE10hipError_tPvRmT2_T3_T4_T5_mT6_T7_P12ihipStream_tbENKUlT_T0_E_clISt17integral_constantIbLb1EESX_EEDaSS_ST_EUlSS_E_NS1_11comp_targetILNS1_3genE2ELNS1_11target_archE906ELNS1_3gpuE6ELNS1_3repE0EEENS1_30default_config_static_selectorELNS0_4arch9wavefront6targetE0EEEvT1_
; %bb.0:
	.section	.rodata,"a",@progbits
	.p2align	6, 0x0
	.amdhsa_kernel _ZN7rocprim17ROCPRIM_400000_NS6detail17trampoline_kernelINS0_14default_configENS1_27scan_by_key_config_selectorIllEEZZNS1_16scan_by_key_implILNS1_25lookback_scan_determinismE0ELb0ES3_PKlN6hipcub16HIPCUB_304000_NS21ConstantInputIteratorIllEEPllNSB_3SumENSB_8EqualityElEE10hipError_tPvRmT2_T3_T4_T5_mT6_T7_P12ihipStream_tbENKUlT_T0_E_clISt17integral_constantIbLb1EESX_EEDaSS_ST_EUlSS_E_NS1_11comp_targetILNS1_3genE2ELNS1_11target_archE906ELNS1_3gpuE6ELNS1_3repE0EEENS1_30default_config_static_selectorELNS0_4arch9wavefront6targetE0EEEvT1_
		.amdhsa_group_segment_fixed_size 0
		.amdhsa_private_segment_fixed_size 0
		.amdhsa_kernarg_size 144
		.amdhsa_user_sgpr_count 6
		.amdhsa_user_sgpr_private_segment_buffer 1
		.amdhsa_user_sgpr_dispatch_ptr 0
		.amdhsa_user_sgpr_queue_ptr 0
		.amdhsa_user_sgpr_kernarg_segment_ptr 1
		.amdhsa_user_sgpr_dispatch_id 0
		.amdhsa_user_sgpr_flat_scratch_init 0
		.amdhsa_user_sgpr_private_segment_size 0
		.amdhsa_wavefront_size32 1
		.amdhsa_uses_dynamic_stack 0
		.amdhsa_system_sgpr_private_segment_wavefront_offset 0
		.amdhsa_system_sgpr_workgroup_id_x 1
		.amdhsa_system_sgpr_workgroup_id_y 0
		.amdhsa_system_sgpr_workgroup_id_z 0
		.amdhsa_system_sgpr_workgroup_info 0
		.amdhsa_system_vgpr_workitem_id 0
		.amdhsa_next_free_vgpr 1
		.amdhsa_next_free_sgpr 1
		.amdhsa_reserve_vcc 0
		.amdhsa_reserve_flat_scratch 0
		.amdhsa_float_round_mode_32 0
		.amdhsa_float_round_mode_16_64 0
		.amdhsa_float_denorm_mode_32 3
		.amdhsa_float_denorm_mode_16_64 3
		.amdhsa_dx10_clamp 1
		.amdhsa_ieee_mode 1
		.amdhsa_fp16_overflow 0
		.amdhsa_workgroup_processor_mode 1
		.amdhsa_memory_ordered 1
		.amdhsa_forward_progress 1
		.amdhsa_shared_vgpr_count 0
		.amdhsa_exception_fp_ieee_invalid_op 0
		.amdhsa_exception_fp_denorm_src 0
		.amdhsa_exception_fp_ieee_div_zero 0
		.amdhsa_exception_fp_ieee_overflow 0
		.amdhsa_exception_fp_ieee_underflow 0
		.amdhsa_exception_fp_ieee_inexact 0
		.amdhsa_exception_int_div_zero 0
	.end_amdhsa_kernel
	.section	.text._ZN7rocprim17ROCPRIM_400000_NS6detail17trampoline_kernelINS0_14default_configENS1_27scan_by_key_config_selectorIllEEZZNS1_16scan_by_key_implILNS1_25lookback_scan_determinismE0ELb0ES3_PKlN6hipcub16HIPCUB_304000_NS21ConstantInputIteratorIllEEPllNSB_3SumENSB_8EqualityElEE10hipError_tPvRmT2_T3_T4_T5_mT6_T7_P12ihipStream_tbENKUlT_T0_E_clISt17integral_constantIbLb1EESX_EEDaSS_ST_EUlSS_E_NS1_11comp_targetILNS1_3genE2ELNS1_11target_archE906ELNS1_3gpuE6ELNS1_3repE0EEENS1_30default_config_static_selectorELNS0_4arch9wavefront6targetE0EEEvT1_,"axG",@progbits,_ZN7rocprim17ROCPRIM_400000_NS6detail17trampoline_kernelINS0_14default_configENS1_27scan_by_key_config_selectorIllEEZZNS1_16scan_by_key_implILNS1_25lookback_scan_determinismE0ELb0ES3_PKlN6hipcub16HIPCUB_304000_NS21ConstantInputIteratorIllEEPllNSB_3SumENSB_8EqualityElEE10hipError_tPvRmT2_T3_T4_T5_mT6_T7_P12ihipStream_tbENKUlT_T0_E_clISt17integral_constantIbLb1EESX_EEDaSS_ST_EUlSS_E_NS1_11comp_targetILNS1_3genE2ELNS1_11target_archE906ELNS1_3gpuE6ELNS1_3repE0EEENS1_30default_config_static_selectorELNS0_4arch9wavefront6targetE0EEEvT1_,comdat
.Lfunc_end110:
	.size	_ZN7rocprim17ROCPRIM_400000_NS6detail17trampoline_kernelINS0_14default_configENS1_27scan_by_key_config_selectorIllEEZZNS1_16scan_by_key_implILNS1_25lookback_scan_determinismE0ELb0ES3_PKlN6hipcub16HIPCUB_304000_NS21ConstantInputIteratorIllEEPllNSB_3SumENSB_8EqualityElEE10hipError_tPvRmT2_T3_T4_T5_mT6_T7_P12ihipStream_tbENKUlT_T0_E_clISt17integral_constantIbLb1EESX_EEDaSS_ST_EUlSS_E_NS1_11comp_targetILNS1_3genE2ELNS1_11target_archE906ELNS1_3gpuE6ELNS1_3repE0EEENS1_30default_config_static_selectorELNS0_4arch9wavefront6targetE0EEEvT1_, .Lfunc_end110-_ZN7rocprim17ROCPRIM_400000_NS6detail17trampoline_kernelINS0_14default_configENS1_27scan_by_key_config_selectorIllEEZZNS1_16scan_by_key_implILNS1_25lookback_scan_determinismE0ELb0ES3_PKlN6hipcub16HIPCUB_304000_NS21ConstantInputIteratorIllEEPllNSB_3SumENSB_8EqualityElEE10hipError_tPvRmT2_T3_T4_T5_mT6_T7_P12ihipStream_tbENKUlT_T0_E_clISt17integral_constantIbLb1EESX_EEDaSS_ST_EUlSS_E_NS1_11comp_targetILNS1_3genE2ELNS1_11target_archE906ELNS1_3gpuE6ELNS1_3repE0EEENS1_30default_config_static_selectorELNS0_4arch9wavefront6targetE0EEEvT1_
                                        ; -- End function
	.set _ZN7rocprim17ROCPRIM_400000_NS6detail17trampoline_kernelINS0_14default_configENS1_27scan_by_key_config_selectorIllEEZZNS1_16scan_by_key_implILNS1_25lookback_scan_determinismE0ELb0ES3_PKlN6hipcub16HIPCUB_304000_NS21ConstantInputIteratorIllEEPllNSB_3SumENSB_8EqualityElEE10hipError_tPvRmT2_T3_T4_T5_mT6_T7_P12ihipStream_tbENKUlT_T0_E_clISt17integral_constantIbLb1EESX_EEDaSS_ST_EUlSS_E_NS1_11comp_targetILNS1_3genE2ELNS1_11target_archE906ELNS1_3gpuE6ELNS1_3repE0EEENS1_30default_config_static_selectorELNS0_4arch9wavefront6targetE0EEEvT1_.num_vgpr, 0
	.set _ZN7rocprim17ROCPRIM_400000_NS6detail17trampoline_kernelINS0_14default_configENS1_27scan_by_key_config_selectorIllEEZZNS1_16scan_by_key_implILNS1_25lookback_scan_determinismE0ELb0ES3_PKlN6hipcub16HIPCUB_304000_NS21ConstantInputIteratorIllEEPllNSB_3SumENSB_8EqualityElEE10hipError_tPvRmT2_T3_T4_T5_mT6_T7_P12ihipStream_tbENKUlT_T0_E_clISt17integral_constantIbLb1EESX_EEDaSS_ST_EUlSS_E_NS1_11comp_targetILNS1_3genE2ELNS1_11target_archE906ELNS1_3gpuE6ELNS1_3repE0EEENS1_30default_config_static_selectorELNS0_4arch9wavefront6targetE0EEEvT1_.num_agpr, 0
	.set _ZN7rocprim17ROCPRIM_400000_NS6detail17trampoline_kernelINS0_14default_configENS1_27scan_by_key_config_selectorIllEEZZNS1_16scan_by_key_implILNS1_25lookback_scan_determinismE0ELb0ES3_PKlN6hipcub16HIPCUB_304000_NS21ConstantInputIteratorIllEEPllNSB_3SumENSB_8EqualityElEE10hipError_tPvRmT2_T3_T4_T5_mT6_T7_P12ihipStream_tbENKUlT_T0_E_clISt17integral_constantIbLb1EESX_EEDaSS_ST_EUlSS_E_NS1_11comp_targetILNS1_3genE2ELNS1_11target_archE906ELNS1_3gpuE6ELNS1_3repE0EEENS1_30default_config_static_selectorELNS0_4arch9wavefront6targetE0EEEvT1_.numbered_sgpr, 0
	.set _ZN7rocprim17ROCPRIM_400000_NS6detail17trampoline_kernelINS0_14default_configENS1_27scan_by_key_config_selectorIllEEZZNS1_16scan_by_key_implILNS1_25lookback_scan_determinismE0ELb0ES3_PKlN6hipcub16HIPCUB_304000_NS21ConstantInputIteratorIllEEPllNSB_3SumENSB_8EqualityElEE10hipError_tPvRmT2_T3_T4_T5_mT6_T7_P12ihipStream_tbENKUlT_T0_E_clISt17integral_constantIbLb1EESX_EEDaSS_ST_EUlSS_E_NS1_11comp_targetILNS1_3genE2ELNS1_11target_archE906ELNS1_3gpuE6ELNS1_3repE0EEENS1_30default_config_static_selectorELNS0_4arch9wavefront6targetE0EEEvT1_.num_named_barrier, 0
	.set _ZN7rocprim17ROCPRIM_400000_NS6detail17trampoline_kernelINS0_14default_configENS1_27scan_by_key_config_selectorIllEEZZNS1_16scan_by_key_implILNS1_25lookback_scan_determinismE0ELb0ES3_PKlN6hipcub16HIPCUB_304000_NS21ConstantInputIteratorIllEEPllNSB_3SumENSB_8EqualityElEE10hipError_tPvRmT2_T3_T4_T5_mT6_T7_P12ihipStream_tbENKUlT_T0_E_clISt17integral_constantIbLb1EESX_EEDaSS_ST_EUlSS_E_NS1_11comp_targetILNS1_3genE2ELNS1_11target_archE906ELNS1_3gpuE6ELNS1_3repE0EEENS1_30default_config_static_selectorELNS0_4arch9wavefront6targetE0EEEvT1_.private_seg_size, 0
	.set _ZN7rocprim17ROCPRIM_400000_NS6detail17trampoline_kernelINS0_14default_configENS1_27scan_by_key_config_selectorIllEEZZNS1_16scan_by_key_implILNS1_25lookback_scan_determinismE0ELb0ES3_PKlN6hipcub16HIPCUB_304000_NS21ConstantInputIteratorIllEEPllNSB_3SumENSB_8EqualityElEE10hipError_tPvRmT2_T3_T4_T5_mT6_T7_P12ihipStream_tbENKUlT_T0_E_clISt17integral_constantIbLb1EESX_EEDaSS_ST_EUlSS_E_NS1_11comp_targetILNS1_3genE2ELNS1_11target_archE906ELNS1_3gpuE6ELNS1_3repE0EEENS1_30default_config_static_selectorELNS0_4arch9wavefront6targetE0EEEvT1_.uses_vcc, 0
	.set _ZN7rocprim17ROCPRIM_400000_NS6detail17trampoline_kernelINS0_14default_configENS1_27scan_by_key_config_selectorIllEEZZNS1_16scan_by_key_implILNS1_25lookback_scan_determinismE0ELb0ES3_PKlN6hipcub16HIPCUB_304000_NS21ConstantInputIteratorIllEEPllNSB_3SumENSB_8EqualityElEE10hipError_tPvRmT2_T3_T4_T5_mT6_T7_P12ihipStream_tbENKUlT_T0_E_clISt17integral_constantIbLb1EESX_EEDaSS_ST_EUlSS_E_NS1_11comp_targetILNS1_3genE2ELNS1_11target_archE906ELNS1_3gpuE6ELNS1_3repE0EEENS1_30default_config_static_selectorELNS0_4arch9wavefront6targetE0EEEvT1_.uses_flat_scratch, 0
	.set _ZN7rocprim17ROCPRIM_400000_NS6detail17trampoline_kernelINS0_14default_configENS1_27scan_by_key_config_selectorIllEEZZNS1_16scan_by_key_implILNS1_25lookback_scan_determinismE0ELb0ES3_PKlN6hipcub16HIPCUB_304000_NS21ConstantInputIteratorIllEEPllNSB_3SumENSB_8EqualityElEE10hipError_tPvRmT2_T3_T4_T5_mT6_T7_P12ihipStream_tbENKUlT_T0_E_clISt17integral_constantIbLb1EESX_EEDaSS_ST_EUlSS_E_NS1_11comp_targetILNS1_3genE2ELNS1_11target_archE906ELNS1_3gpuE6ELNS1_3repE0EEENS1_30default_config_static_selectorELNS0_4arch9wavefront6targetE0EEEvT1_.has_dyn_sized_stack, 0
	.set _ZN7rocprim17ROCPRIM_400000_NS6detail17trampoline_kernelINS0_14default_configENS1_27scan_by_key_config_selectorIllEEZZNS1_16scan_by_key_implILNS1_25lookback_scan_determinismE0ELb0ES3_PKlN6hipcub16HIPCUB_304000_NS21ConstantInputIteratorIllEEPllNSB_3SumENSB_8EqualityElEE10hipError_tPvRmT2_T3_T4_T5_mT6_T7_P12ihipStream_tbENKUlT_T0_E_clISt17integral_constantIbLb1EESX_EEDaSS_ST_EUlSS_E_NS1_11comp_targetILNS1_3genE2ELNS1_11target_archE906ELNS1_3gpuE6ELNS1_3repE0EEENS1_30default_config_static_selectorELNS0_4arch9wavefront6targetE0EEEvT1_.has_recursion, 0
	.set _ZN7rocprim17ROCPRIM_400000_NS6detail17trampoline_kernelINS0_14default_configENS1_27scan_by_key_config_selectorIllEEZZNS1_16scan_by_key_implILNS1_25lookback_scan_determinismE0ELb0ES3_PKlN6hipcub16HIPCUB_304000_NS21ConstantInputIteratorIllEEPllNSB_3SumENSB_8EqualityElEE10hipError_tPvRmT2_T3_T4_T5_mT6_T7_P12ihipStream_tbENKUlT_T0_E_clISt17integral_constantIbLb1EESX_EEDaSS_ST_EUlSS_E_NS1_11comp_targetILNS1_3genE2ELNS1_11target_archE906ELNS1_3gpuE6ELNS1_3repE0EEENS1_30default_config_static_selectorELNS0_4arch9wavefront6targetE0EEEvT1_.has_indirect_call, 0
	.section	.AMDGPU.csdata,"",@progbits
; Kernel info:
; codeLenInByte = 0
; TotalNumSgprs: 0
; NumVgprs: 0
; ScratchSize: 0
; MemoryBound: 0
; FloatMode: 240
; IeeeMode: 1
; LDSByteSize: 0 bytes/workgroup (compile time only)
; SGPRBlocks: 0
; VGPRBlocks: 0
; NumSGPRsForWavesPerEU: 1
; NumVGPRsForWavesPerEU: 1
; Occupancy: 16
; WaveLimiterHint : 0
; COMPUTE_PGM_RSRC2:SCRATCH_EN: 0
; COMPUTE_PGM_RSRC2:USER_SGPR: 6
; COMPUTE_PGM_RSRC2:TRAP_HANDLER: 0
; COMPUTE_PGM_RSRC2:TGID_X_EN: 1
; COMPUTE_PGM_RSRC2:TGID_Y_EN: 0
; COMPUTE_PGM_RSRC2:TGID_Z_EN: 0
; COMPUTE_PGM_RSRC2:TIDIG_COMP_CNT: 0
	.section	.text._ZN7rocprim17ROCPRIM_400000_NS6detail17trampoline_kernelINS0_14default_configENS1_27scan_by_key_config_selectorIllEEZZNS1_16scan_by_key_implILNS1_25lookback_scan_determinismE0ELb0ES3_PKlN6hipcub16HIPCUB_304000_NS21ConstantInputIteratorIllEEPllNSB_3SumENSB_8EqualityElEE10hipError_tPvRmT2_T3_T4_T5_mT6_T7_P12ihipStream_tbENKUlT_T0_E_clISt17integral_constantIbLb1EESX_EEDaSS_ST_EUlSS_E_NS1_11comp_targetILNS1_3genE10ELNS1_11target_archE1200ELNS1_3gpuE4ELNS1_3repE0EEENS1_30default_config_static_selectorELNS0_4arch9wavefront6targetE0EEEvT1_,"axG",@progbits,_ZN7rocprim17ROCPRIM_400000_NS6detail17trampoline_kernelINS0_14default_configENS1_27scan_by_key_config_selectorIllEEZZNS1_16scan_by_key_implILNS1_25lookback_scan_determinismE0ELb0ES3_PKlN6hipcub16HIPCUB_304000_NS21ConstantInputIteratorIllEEPllNSB_3SumENSB_8EqualityElEE10hipError_tPvRmT2_T3_T4_T5_mT6_T7_P12ihipStream_tbENKUlT_T0_E_clISt17integral_constantIbLb1EESX_EEDaSS_ST_EUlSS_E_NS1_11comp_targetILNS1_3genE10ELNS1_11target_archE1200ELNS1_3gpuE4ELNS1_3repE0EEENS1_30default_config_static_selectorELNS0_4arch9wavefront6targetE0EEEvT1_,comdat
	.protected	_ZN7rocprim17ROCPRIM_400000_NS6detail17trampoline_kernelINS0_14default_configENS1_27scan_by_key_config_selectorIllEEZZNS1_16scan_by_key_implILNS1_25lookback_scan_determinismE0ELb0ES3_PKlN6hipcub16HIPCUB_304000_NS21ConstantInputIteratorIllEEPllNSB_3SumENSB_8EqualityElEE10hipError_tPvRmT2_T3_T4_T5_mT6_T7_P12ihipStream_tbENKUlT_T0_E_clISt17integral_constantIbLb1EESX_EEDaSS_ST_EUlSS_E_NS1_11comp_targetILNS1_3genE10ELNS1_11target_archE1200ELNS1_3gpuE4ELNS1_3repE0EEENS1_30default_config_static_selectorELNS0_4arch9wavefront6targetE0EEEvT1_ ; -- Begin function _ZN7rocprim17ROCPRIM_400000_NS6detail17trampoline_kernelINS0_14default_configENS1_27scan_by_key_config_selectorIllEEZZNS1_16scan_by_key_implILNS1_25lookback_scan_determinismE0ELb0ES3_PKlN6hipcub16HIPCUB_304000_NS21ConstantInputIteratorIllEEPllNSB_3SumENSB_8EqualityElEE10hipError_tPvRmT2_T3_T4_T5_mT6_T7_P12ihipStream_tbENKUlT_T0_E_clISt17integral_constantIbLb1EESX_EEDaSS_ST_EUlSS_E_NS1_11comp_targetILNS1_3genE10ELNS1_11target_archE1200ELNS1_3gpuE4ELNS1_3repE0EEENS1_30default_config_static_selectorELNS0_4arch9wavefront6targetE0EEEvT1_
	.globl	_ZN7rocprim17ROCPRIM_400000_NS6detail17trampoline_kernelINS0_14default_configENS1_27scan_by_key_config_selectorIllEEZZNS1_16scan_by_key_implILNS1_25lookback_scan_determinismE0ELb0ES3_PKlN6hipcub16HIPCUB_304000_NS21ConstantInputIteratorIllEEPllNSB_3SumENSB_8EqualityElEE10hipError_tPvRmT2_T3_T4_T5_mT6_T7_P12ihipStream_tbENKUlT_T0_E_clISt17integral_constantIbLb1EESX_EEDaSS_ST_EUlSS_E_NS1_11comp_targetILNS1_3genE10ELNS1_11target_archE1200ELNS1_3gpuE4ELNS1_3repE0EEENS1_30default_config_static_selectorELNS0_4arch9wavefront6targetE0EEEvT1_
	.p2align	8
	.type	_ZN7rocprim17ROCPRIM_400000_NS6detail17trampoline_kernelINS0_14default_configENS1_27scan_by_key_config_selectorIllEEZZNS1_16scan_by_key_implILNS1_25lookback_scan_determinismE0ELb0ES3_PKlN6hipcub16HIPCUB_304000_NS21ConstantInputIteratorIllEEPllNSB_3SumENSB_8EqualityElEE10hipError_tPvRmT2_T3_T4_T5_mT6_T7_P12ihipStream_tbENKUlT_T0_E_clISt17integral_constantIbLb1EESX_EEDaSS_ST_EUlSS_E_NS1_11comp_targetILNS1_3genE10ELNS1_11target_archE1200ELNS1_3gpuE4ELNS1_3repE0EEENS1_30default_config_static_selectorELNS0_4arch9wavefront6targetE0EEEvT1_,@function
_ZN7rocprim17ROCPRIM_400000_NS6detail17trampoline_kernelINS0_14default_configENS1_27scan_by_key_config_selectorIllEEZZNS1_16scan_by_key_implILNS1_25lookback_scan_determinismE0ELb0ES3_PKlN6hipcub16HIPCUB_304000_NS21ConstantInputIteratorIllEEPllNSB_3SumENSB_8EqualityElEE10hipError_tPvRmT2_T3_T4_T5_mT6_T7_P12ihipStream_tbENKUlT_T0_E_clISt17integral_constantIbLb1EESX_EEDaSS_ST_EUlSS_E_NS1_11comp_targetILNS1_3genE10ELNS1_11target_archE1200ELNS1_3gpuE4ELNS1_3repE0EEENS1_30default_config_static_selectorELNS0_4arch9wavefront6targetE0EEEvT1_: ; @_ZN7rocprim17ROCPRIM_400000_NS6detail17trampoline_kernelINS0_14default_configENS1_27scan_by_key_config_selectorIllEEZZNS1_16scan_by_key_implILNS1_25lookback_scan_determinismE0ELb0ES3_PKlN6hipcub16HIPCUB_304000_NS21ConstantInputIteratorIllEEPllNSB_3SumENSB_8EqualityElEE10hipError_tPvRmT2_T3_T4_T5_mT6_T7_P12ihipStream_tbENKUlT_T0_E_clISt17integral_constantIbLb1EESX_EEDaSS_ST_EUlSS_E_NS1_11comp_targetILNS1_3genE10ELNS1_11target_archE1200ELNS1_3gpuE4ELNS1_3repE0EEENS1_30default_config_static_selectorELNS0_4arch9wavefront6targetE0EEEvT1_
; %bb.0:
	.section	.rodata,"a",@progbits
	.p2align	6, 0x0
	.amdhsa_kernel _ZN7rocprim17ROCPRIM_400000_NS6detail17trampoline_kernelINS0_14default_configENS1_27scan_by_key_config_selectorIllEEZZNS1_16scan_by_key_implILNS1_25lookback_scan_determinismE0ELb0ES3_PKlN6hipcub16HIPCUB_304000_NS21ConstantInputIteratorIllEEPllNSB_3SumENSB_8EqualityElEE10hipError_tPvRmT2_T3_T4_T5_mT6_T7_P12ihipStream_tbENKUlT_T0_E_clISt17integral_constantIbLb1EESX_EEDaSS_ST_EUlSS_E_NS1_11comp_targetILNS1_3genE10ELNS1_11target_archE1200ELNS1_3gpuE4ELNS1_3repE0EEENS1_30default_config_static_selectorELNS0_4arch9wavefront6targetE0EEEvT1_
		.amdhsa_group_segment_fixed_size 0
		.amdhsa_private_segment_fixed_size 0
		.amdhsa_kernarg_size 144
		.amdhsa_user_sgpr_count 6
		.amdhsa_user_sgpr_private_segment_buffer 1
		.amdhsa_user_sgpr_dispatch_ptr 0
		.amdhsa_user_sgpr_queue_ptr 0
		.amdhsa_user_sgpr_kernarg_segment_ptr 1
		.amdhsa_user_sgpr_dispatch_id 0
		.amdhsa_user_sgpr_flat_scratch_init 0
		.amdhsa_user_sgpr_private_segment_size 0
		.amdhsa_wavefront_size32 1
		.amdhsa_uses_dynamic_stack 0
		.amdhsa_system_sgpr_private_segment_wavefront_offset 0
		.amdhsa_system_sgpr_workgroup_id_x 1
		.amdhsa_system_sgpr_workgroup_id_y 0
		.amdhsa_system_sgpr_workgroup_id_z 0
		.amdhsa_system_sgpr_workgroup_info 0
		.amdhsa_system_vgpr_workitem_id 0
		.amdhsa_next_free_vgpr 1
		.amdhsa_next_free_sgpr 1
		.amdhsa_reserve_vcc 0
		.amdhsa_reserve_flat_scratch 0
		.amdhsa_float_round_mode_32 0
		.amdhsa_float_round_mode_16_64 0
		.amdhsa_float_denorm_mode_32 3
		.amdhsa_float_denorm_mode_16_64 3
		.amdhsa_dx10_clamp 1
		.amdhsa_ieee_mode 1
		.amdhsa_fp16_overflow 0
		.amdhsa_workgroup_processor_mode 1
		.amdhsa_memory_ordered 1
		.amdhsa_forward_progress 1
		.amdhsa_shared_vgpr_count 0
		.amdhsa_exception_fp_ieee_invalid_op 0
		.amdhsa_exception_fp_denorm_src 0
		.amdhsa_exception_fp_ieee_div_zero 0
		.amdhsa_exception_fp_ieee_overflow 0
		.amdhsa_exception_fp_ieee_underflow 0
		.amdhsa_exception_fp_ieee_inexact 0
		.amdhsa_exception_int_div_zero 0
	.end_amdhsa_kernel
	.section	.text._ZN7rocprim17ROCPRIM_400000_NS6detail17trampoline_kernelINS0_14default_configENS1_27scan_by_key_config_selectorIllEEZZNS1_16scan_by_key_implILNS1_25lookback_scan_determinismE0ELb0ES3_PKlN6hipcub16HIPCUB_304000_NS21ConstantInputIteratorIllEEPllNSB_3SumENSB_8EqualityElEE10hipError_tPvRmT2_T3_T4_T5_mT6_T7_P12ihipStream_tbENKUlT_T0_E_clISt17integral_constantIbLb1EESX_EEDaSS_ST_EUlSS_E_NS1_11comp_targetILNS1_3genE10ELNS1_11target_archE1200ELNS1_3gpuE4ELNS1_3repE0EEENS1_30default_config_static_selectorELNS0_4arch9wavefront6targetE0EEEvT1_,"axG",@progbits,_ZN7rocprim17ROCPRIM_400000_NS6detail17trampoline_kernelINS0_14default_configENS1_27scan_by_key_config_selectorIllEEZZNS1_16scan_by_key_implILNS1_25lookback_scan_determinismE0ELb0ES3_PKlN6hipcub16HIPCUB_304000_NS21ConstantInputIteratorIllEEPllNSB_3SumENSB_8EqualityElEE10hipError_tPvRmT2_T3_T4_T5_mT6_T7_P12ihipStream_tbENKUlT_T0_E_clISt17integral_constantIbLb1EESX_EEDaSS_ST_EUlSS_E_NS1_11comp_targetILNS1_3genE10ELNS1_11target_archE1200ELNS1_3gpuE4ELNS1_3repE0EEENS1_30default_config_static_selectorELNS0_4arch9wavefront6targetE0EEEvT1_,comdat
.Lfunc_end111:
	.size	_ZN7rocprim17ROCPRIM_400000_NS6detail17trampoline_kernelINS0_14default_configENS1_27scan_by_key_config_selectorIllEEZZNS1_16scan_by_key_implILNS1_25lookback_scan_determinismE0ELb0ES3_PKlN6hipcub16HIPCUB_304000_NS21ConstantInputIteratorIllEEPllNSB_3SumENSB_8EqualityElEE10hipError_tPvRmT2_T3_T4_T5_mT6_T7_P12ihipStream_tbENKUlT_T0_E_clISt17integral_constantIbLb1EESX_EEDaSS_ST_EUlSS_E_NS1_11comp_targetILNS1_3genE10ELNS1_11target_archE1200ELNS1_3gpuE4ELNS1_3repE0EEENS1_30default_config_static_selectorELNS0_4arch9wavefront6targetE0EEEvT1_, .Lfunc_end111-_ZN7rocprim17ROCPRIM_400000_NS6detail17trampoline_kernelINS0_14default_configENS1_27scan_by_key_config_selectorIllEEZZNS1_16scan_by_key_implILNS1_25lookback_scan_determinismE0ELb0ES3_PKlN6hipcub16HIPCUB_304000_NS21ConstantInputIteratorIllEEPllNSB_3SumENSB_8EqualityElEE10hipError_tPvRmT2_T3_T4_T5_mT6_T7_P12ihipStream_tbENKUlT_T0_E_clISt17integral_constantIbLb1EESX_EEDaSS_ST_EUlSS_E_NS1_11comp_targetILNS1_3genE10ELNS1_11target_archE1200ELNS1_3gpuE4ELNS1_3repE0EEENS1_30default_config_static_selectorELNS0_4arch9wavefront6targetE0EEEvT1_
                                        ; -- End function
	.set _ZN7rocprim17ROCPRIM_400000_NS6detail17trampoline_kernelINS0_14default_configENS1_27scan_by_key_config_selectorIllEEZZNS1_16scan_by_key_implILNS1_25lookback_scan_determinismE0ELb0ES3_PKlN6hipcub16HIPCUB_304000_NS21ConstantInputIteratorIllEEPllNSB_3SumENSB_8EqualityElEE10hipError_tPvRmT2_T3_T4_T5_mT6_T7_P12ihipStream_tbENKUlT_T0_E_clISt17integral_constantIbLb1EESX_EEDaSS_ST_EUlSS_E_NS1_11comp_targetILNS1_3genE10ELNS1_11target_archE1200ELNS1_3gpuE4ELNS1_3repE0EEENS1_30default_config_static_selectorELNS0_4arch9wavefront6targetE0EEEvT1_.num_vgpr, 0
	.set _ZN7rocprim17ROCPRIM_400000_NS6detail17trampoline_kernelINS0_14default_configENS1_27scan_by_key_config_selectorIllEEZZNS1_16scan_by_key_implILNS1_25lookback_scan_determinismE0ELb0ES3_PKlN6hipcub16HIPCUB_304000_NS21ConstantInputIteratorIllEEPllNSB_3SumENSB_8EqualityElEE10hipError_tPvRmT2_T3_T4_T5_mT6_T7_P12ihipStream_tbENKUlT_T0_E_clISt17integral_constantIbLb1EESX_EEDaSS_ST_EUlSS_E_NS1_11comp_targetILNS1_3genE10ELNS1_11target_archE1200ELNS1_3gpuE4ELNS1_3repE0EEENS1_30default_config_static_selectorELNS0_4arch9wavefront6targetE0EEEvT1_.num_agpr, 0
	.set _ZN7rocprim17ROCPRIM_400000_NS6detail17trampoline_kernelINS0_14default_configENS1_27scan_by_key_config_selectorIllEEZZNS1_16scan_by_key_implILNS1_25lookback_scan_determinismE0ELb0ES3_PKlN6hipcub16HIPCUB_304000_NS21ConstantInputIteratorIllEEPllNSB_3SumENSB_8EqualityElEE10hipError_tPvRmT2_T3_T4_T5_mT6_T7_P12ihipStream_tbENKUlT_T0_E_clISt17integral_constantIbLb1EESX_EEDaSS_ST_EUlSS_E_NS1_11comp_targetILNS1_3genE10ELNS1_11target_archE1200ELNS1_3gpuE4ELNS1_3repE0EEENS1_30default_config_static_selectorELNS0_4arch9wavefront6targetE0EEEvT1_.numbered_sgpr, 0
	.set _ZN7rocprim17ROCPRIM_400000_NS6detail17trampoline_kernelINS0_14default_configENS1_27scan_by_key_config_selectorIllEEZZNS1_16scan_by_key_implILNS1_25lookback_scan_determinismE0ELb0ES3_PKlN6hipcub16HIPCUB_304000_NS21ConstantInputIteratorIllEEPllNSB_3SumENSB_8EqualityElEE10hipError_tPvRmT2_T3_T4_T5_mT6_T7_P12ihipStream_tbENKUlT_T0_E_clISt17integral_constantIbLb1EESX_EEDaSS_ST_EUlSS_E_NS1_11comp_targetILNS1_3genE10ELNS1_11target_archE1200ELNS1_3gpuE4ELNS1_3repE0EEENS1_30default_config_static_selectorELNS0_4arch9wavefront6targetE0EEEvT1_.num_named_barrier, 0
	.set _ZN7rocprim17ROCPRIM_400000_NS6detail17trampoline_kernelINS0_14default_configENS1_27scan_by_key_config_selectorIllEEZZNS1_16scan_by_key_implILNS1_25lookback_scan_determinismE0ELb0ES3_PKlN6hipcub16HIPCUB_304000_NS21ConstantInputIteratorIllEEPllNSB_3SumENSB_8EqualityElEE10hipError_tPvRmT2_T3_T4_T5_mT6_T7_P12ihipStream_tbENKUlT_T0_E_clISt17integral_constantIbLb1EESX_EEDaSS_ST_EUlSS_E_NS1_11comp_targetILNS1_3genE10ELNS1_11target_archE1200ELNS1_3gpuE4ELNS1_3repE0EEENS1_30default_config_static_selectorELNS0_4arch9wavefront6targetE0EEEvT1_.private_seg_size, 0
	.set _ZN7rocprim17ROCPRIM_400000_NS6detail17trampoline_kernelINS0_14default_configENS1_27scan_by_key_config_selectorIllEEZZNS1_16scan_by_key_implILNS1_25lookback_scan_determinismE0ELb0ES3_PKlN6hipcub16HIPCUB_304000_NS21ConstantInputIteratorIllEEPllNSB_3SumENSB_8EqualityElEE10hipError_tPvRmT2_T3_T4_T5_mT6_T7_P12ihipStream_tbENKUlT_T0_E_clISt17integral_constantIbLb1EESX_EEDaSS_ST_EUlSS_E_NS1_11comp_targetILNS1_3genE10ELNS1_11target_archE1200ELNS1_3gpuE4ELNS1_3repE0EEENS1_30default_config_static_selectorELNS0_4arch9wavefront6targetE0EEEvT1_.uses_vcc, 0
	.set _ZN7rocprim17ROCPRIM_400000_NS6detail17trampoline_kernelINS0_14default_configENS1_27scan_by_key_config_selectorIllEEZZNS1_16scan_by_key_implILNS1_25lookback_scan_determinismE0ELb0ES3_PKlN6hipcub16HIPCUB_304000_NS21ConstantInputIteratorIllEEPllNSB_3SumENSB_8EqualityElEE10hipError_tPvRmT2_T3_T4_T5_mT6_T7_P12ihipStream_tbENKUlT_T0_E_clISt17integral_constantIbLb1EESX_EEDaSS_ST_EUlSS_E_NS1_11comp_targetILNS1_3genE10ELNS1_11target_archE1200ELNS1_3gpuE4ELNS1_3repE0EEENS1_30default_config_static_selectorELNS0_4arch9wavefront6targetE0EEEvT1_.uses_flat_scratch, 0
	.set _ZN7rocprim17ROCPRIM_400000_NS6detail17trampoline_kernelINS0_14default_configENS1_27scan_by_key_config_selectorIllEEZZNS1_16scan_by_key_implILNS1_25lookback_scan_determinismE0ELb0ES3_PKlN6hipcub16HIPCUB_304000_NS21ConstantInputIteratorIllEEPllNSB_3SumENSB_8EqualityElEE10hipError_tPvRmT2_T3_T4_T5_mT6_T7_P12ihipStream_tbENKUlT_T0_E_clISt17integral_constantIbLb1EESX_EEDaSS_ST_EUlSS_E_NS1_11comp_targetILNS1_3genE10ELNS1_11target_archE1200ELNS1_3gpuE4ELNS1_3repE0EEENS1_30default_config_static_selectorELNS0_4arch9wavefront6targetE0EEEvT1_.has_dyn_sized_stack, 0
	.set _ZN7rocprim17ROCPRIM_400000_NS6detail17trampoline_kernelINS0_14default_configENS1_27scan_by_key_config_selectorIllEEZZNS1_16scan_by_key_implILNS1_25lookback_scan_determinismE0ELb0ES3_PKlN6hipcub16HIPCUB_304000_NS21ConstantInputIteratorIllEEPllNSB_3SumENSB_8EqualityElEE10hipError_tPvRmT2_T3_T4_T5_mT6_T7_P12ihipStream_tbENKUlT_T0_E_clISt17integral_constantIbLb1EESX_EEDaSS_ST_EUlSS_E_NS1_11comp_targetILNS1_3genE10ELNS1_11target_archE1200ELNS1_3gpuE4ELNS1_3repE0EEENS1_30default_config_static_selectorELNS0_4arch9wavefront6targetE0EEEvT1_.has_recursion, 0
	.set _ZN7rocprim17ROCPRIM_400000_NS6detail17trampoline_kernelINS0_14default_configENS1_27scan_by_key_config_selectorIllEEZZNS1_16scan_by_key_implILNS1_25lookback_scan_determinismE0ELb0ES3_PKlN6hipcub16HIPCUB_304000_NS21ConstantInputIteratorIllEEPllNSB_3SumENSB_8EqualityElEE10hipError_tPvRmT2_T3_T4_T5_mT6_T7_P12ihipStream_tbENKUlT_T0_E_clISt17integral_constantIbLb1EESX_EEDaSS_ST_EUlSS_E_NS1_11comp_targetILNS1_3genE10ELNS1_11target_archE1200ELNS1_3gpuE4ELNS1_3repE0EEENS1_30default_config_static_selectorELNS0_4arch9wavefront6targetE0EEEvT1_.has_indirect_call, 0
	.section	.AMDGPU.csdata,"",@progbits
; Kernel info:
; codeLenInByte = 0
; TotalNumSgprs: 0
; NumVgprs: 0
; ScratchSize: 0
; MemoryBound: 0
; FloatMode: 240
; IeeeMode: 1
; LDSByteSize: 0 bytes/workgroup (compile time only)
; SGPRBlocks: 0
; VGPRBlocks: 0
; NumSGPRsForWavesPerEU: 1
; NumVGPRsForWavesPerEU: 1
; Occupancy: 16
; WaveLimiterHint : 0
; COMPUTE_PGM_RSRC2:SCRATCH_EN: 0
; COMPUTE_PGM_RSRC2:USER_SGPR: 6
; COMPUTE_PGM_RSRC2:TRAP_HANDLER: 0
; COMPUTE_PGM_RSRC2:TGID_X_EN: 1
; COMPUTE_PGM_RSRC2:TGID_Y_EN: 0
; COMPUTE_PGM_RSRC2:TGID_Z_EN: 0
; COMPUTE_PGM_RSRC2:TIDIG_COMP_CNT: 0
	.section	.text._ZN7rocprim17ROCPRIM_400000_NS6detail17trampoline_kernelINS0_14default_configENS1_27scan_by_key_config_selectorIllEEZZNS1_16scan_by_key_implILNS1_25lookback_scan_determinismE0ELb0ES3_PKlN6hipcub16HIPCUB_304000_NS21ConstantInputIteratorIllEEPllNSB_3SumENSB_8EqualityElEE10hipError_tPvRmT2_T3_T4_T5_mT6_T7_P12ihipStream_tbENKUlT_T0_E_clISt17integral_constantIbLb1EESX_EEDaSS_ST_EUlSS_E_NS1_11comp_targetILNS1_3genE9ELNS1_11target_archE1100ELNS1_3gpuE3ELNS1_3repE0EEENS1_30default_config_static_selectorELNS0_4arch9wavefront6targetE0EEEvT1_,"axG",@progbits,_ZN7rocprim17ROCPRIM_400000_NS6detail17trampoline_kernelINS0_14default_configENS1_27scan_by_key_config_selectorIllEEZZNS1_16scan_by_key_implILNS1_25lookback_scan_determinismE0ELb0ES3_PKlN6hipcub16HIPCUB_304000_NS21ConstantInputIteratorIllEEPllNSB_3SumENSB_8EqualityElEE10hipError_tPvRmT2_T3_T4_T5_mT6_T7_P12ihipStream_tbENKUlT_T0_E_clISt17integral_constantIbLb1EESX_EEDaSS_ST_EUlSS_E_NS1_11comp_targetILNS1_3genE9ELNS1_11target_archE1100ELNS1_3gpuE3ELNS1_3repE0EEENS1_30default_config_static_selectorELNS0_4arch9wavefront6targetE0EEEvT1_,comdat
	.protected	_ZN7rocprim17ROCPRIM_400000_NS6detail17trampoline_kernelINS0_14default_configENS1_27scan_by_key_config_selectorIllEEZZNS1_16scan_by_key_implILNS1_25lookback_scan_determinismE0ELb0ES3_PKlN6hipcub16HIPCUB_304000_NS21ConstantInputIteratorIllEEPllNSB_3SumENSB_8EqualityElEE10hipError_tPvRmT2_T3_T4_T5_mT6_T7_P12ihipStream_tbENKUlT_T0_E_clISt17integral_constantIbLb1EESX_EEDaSS_ST_EUlSS_E_NS1_11comp_targetILNS1_3genE9ELNS1_11target_archE1100ELNS1_3gpuE3ELNS1_3repE0EEENS1_30default_config_static_selectorELNS0_4arch9wavefront6targetE0EEEvT1_ ; -- Begin function _ZN7rocprim17ROCPRIM_400000_NS6detail17trampoline_kernelINS0_14default_configENS1_27scan_by_key_config_selectorIllEEZZNS1_16scan_by_key_implILNS1_25lookback_scan_determinismE0ELb0ES3_PKlN6hipcub16HIPCUB_304000_NS21ConstantInputIteratorIllEEPllNSB_3SumENSB_8EqualityElEE10hipError_tPvRmT2_T3_T4_T5_mT6_T7_P12ihipStream_tbENKUlT_T0_E_clISt17integral_constantIbLb1EESX_EEDaSS_ST_EUlSS_E_NS1_11comp_targetILNS1_3genE9ELNS1_11target_archE1100ELNS1_3gpuE3ELNS1_3repE0EEENS1_30default_config_static_selectorELNS0_4arch9wavefront6targetE0EEEvT1_
	.globl	_ZN7rocprim17ROCPRIM_400000_NS6detail17trampoline_kernelINS0_14default_configENS1_27scan_by_key_config_selectorIllEEZZNS1_16scan_by_key_implILNS1_25lookback_scan_determinismE0ELb0ES3_PKlN6hipcub16HIPCUB_304000_NS21ConstantInputIteratorIllEEPllNSB_3SumENSB_8EqualityElEE10hipError_tPvRmT2_T3_T4_T5_mT6_T7_P12ihipStream_tbENKUlT_T0_E_clISt17integral_constantIbLb1EESX_EEDaSS_ST_EUlSS_E_NS1_11comp_targetILNS1_3genE9ELNS1_11target_archE1100ELNS1_3gpuE3ELNS1_3repE0EEENS1_30default_config_static_selectorELNS0_4arch9wavefront6targetE0EEEvT1_
	.p2align	8
	.type	_ZN7rocprim17ROCPRIM_400000_NS6detail17trampoline_kernelINS0_14default_configENS1_27scan_by_key_config_selectorIllEEZZNS1_16scan_by_key_implILNS1_25lookback_scan_determinismE0ELb0ES3_PKlN6hipcub16HIPCUB_304000_NS21ConstantInputIteratorIllEEPllNSB_3SumENSB_8EqualityElEE10hipError_tPvRmT2_T3_T4_T5_mT6_T7_P12ihipStream_tbENKUlT_T0_E_clISt17integral_constantIbLb1EESX_EEDaSS_ST_EUlSS_E_NS1_11comp_targetILNS1_3genE9ELNS1_11target_archE1100ELNS1_3gpuE3ELNS1_3repE0EEENS1_30default_config_static_selectorELNS0_4arch9wavefront6targetE0EEEvT1_,@function
_ZN7rocprim17ROCPRIM_400000_NS6detail17trampoline_kernelINS0_14default_configENS1_27scan_by_key_config_selectorIllEEZZNS1_16scan_by_key_implILNS1_25lookback_scan_determinismE0ELb0ES3_PKlN6hipcub16HIPCUB_304000_NS21ConstantInputIteratorIllEEPllNSB_3SumENSB_8EqualityElEE10hipError_tPvRmT2_T3_T4_T5_mT6_T7_P12ihipStream_tbENKUlT_T0_E_clISt17integral_constantIbLb1EESX_EEDaSS_ST_EUlSS_E_NS1_11comp_targetILNS1_3genE9ELNS1_11target_archE1100ELNS1_3gpuE3ELNS1_3repE0EEENS1_30default_config_static_selectorELNS0_4arch9wavefront6targetE0EEEvT1_: ; @_ZN7rocprim17ROCPRIM_400000_NS6detail17trampoline_kernelINS0_14default_configENS1_27scan_by_key_config_selectorIllEEZZNS1_16scan_by_key_implILNS1_25lookback_scan_determinismE0ELb0ES3_PKlN6hipcub16HIPCUB_304000_NS21ConstantInputIteratorIllEEPllNSB_3SumENSB_8EqualityElEE10hipError_tPvRmT2_T3_T4_T5_mT6_T7_P12ihipStream_tbENKUlT_T0_E_clISt17integral_constantIbLb1EESX_EEDaSS_ST_EUlSS_E_NS1_11comp_targetILNS1_3genE9ELNS1_11target_archE1100ELNS1_3gpuE3ELNS1_3repE0EEENS1_30default_config_static_selectorELNS0_4arch9wavefront6targetE0EEEvT1_
; %bb.0:
	.section	.rodata,"a",@progbits
	.p2align	6, 0x0
	.amdhsa_kernel _ZN7rocprim17ROCPRIM_400000_NS6detail17trampoline_kernelINS0_14default_configENS1_27scan_by_key_config_selectorIllEEZZNS1_16scan_by_key_implILNS1_25lookback_scan_determinismE0ELb0ES3_PKlN6hipcub16HIPCUB_304000_NS21ConstantInputIteratorIllEEPllNSB_3SumENSB_8EqualityElEE10hipError_tPvRmT2_T3_T4_T5_mT6_T7_P12ihipStream_tbENKUlT_T0_E_clISt17integral_constantIbLb1EESX_EEDaSS_ST_EUlSS_E_NS1_11comp_targetILNS1_3genE9ELNS1_11target_archE1100ELNS1_3gpuE3ELNS1_3repE0EEENS1_30default_config_static_selectorELNS0_4arch9wavefront6targetE0EEEvT1_
		.amdhsa_group_segment_fixed_size 0
		.amdhsa_private_segment_fixed_size 0
		.amdhsa_kernarg_size 144
		.amdhsa_user_sgpr_count 6
		.amdhsa_user_sgpr_private_segment_buffer 1
		.amdhsa_user_sgpr_dispatch_ptr 0
		.amdhsa_user_sgpr_queue_ptr 0
		.amdhsa_user_sgpr_kernarg_segment_ptr 1
		.amdhsa_user_sgpr_dispatch_id 0
		.amdhsa_user_sgpr_flat_scratch_init 0
		.amdhsa_user_sgpr_private_segment_size 0
		.amdhsa_wavefront_size32 1
		.amdhsa_uses_dynamic_stack 0
		.amdhsa_system_sgpr_private_segment_wavefront_offset 0
		.amdhsa_system_sgpr_workgroup_id_x 1
		.amdhsa_system_sgpr_workgroup_id_y 0
		.amdhsa_system_sgpr_workgroup_id_z 0
		.amdhsa_system_sgpr_workgroup_info 0
		.amdhsa_system_vgpr_workitem_id 0
		.amdhsa_next_free_vgpr 1
		.amdhsa_next_free_sgpr 1
		.amdhsa_reserve_vcc 0
		.amdhsa_reserve_flat_scratch 0
		.amdhsa_float_round_mode_32 0
		.amdhsa_float_round_mode_16_64 0
		.amdhsa_float_denorm_mode_32 3
		.amdhsa_float_denorm_mode_16_64 3
		.amdhsa_dx10_clamp 1
		.amdhsa_ieee_mode 1
		.amdhsa_fp16_overflow 0
		.amdhsa_workgroup_processor_mode 1
		.amdhsa_memory_ordered 1
		.amdhsa_forward_progress 1
		.amdhsa_shared_vgpr_count 0
		.amdhsa_exception_fp_ieee_invalid_op 0
		.amdhsa_exception_fp_denorm_src 0
		.amdhsa_exception_fp_ieee_div_zero 0
		.amdhsa_exception_fp_ieee_overflow 0
		.amdhsa_exception_fp_ieee_underflow 0
		.amdhsa_exception_fp_ieee_inexact 0
		.amdhsa_exception_int_div_zero 0
	.end_amdhsa_kernel
	.section	.text._ZN7rocprim17ROCPRIM_400000_NS6detail17trampoline_kernelINS0_14default_configENS1_27scan_by_key_config_selectorIllEEZZNS1_16scan_by_key_implILNS1_25lookback_scan_determinismE0ELb0ES3_PKlN6hipcub16HIPCUB_304000_NS21ConstantInputIteratorIllEEPllNSB_3SumENSB_8EqualityElEE10hipError_tPvRmT2_T3_T4_T5_mT6_T7_P12ihipStream_tbENKUlT_T0_E_clISt17integral_constantIbLb1EESX_EEDaSS_ST_EUlSS_E_NS1_11comp_targetILNS1_3genE9ELNS1_11target_archE1100ELNS1_3gpuE3ELNS1_3repE0EEENS1_30default_config_static_selectorELNS0_4arch9wavefront6targetE0EEEvT1_,"axG",@progbits,_ZN7rocprim17ROCPRIM_400000_NS6detail17trampoline_kernelINS0_14default_configENS1_27scan_by_key_config_selectorIllEEZZNS1_16scan_by_key_implILNS1_25lookback_scan_determinismE0ELb0ES3_PKlN6hipcub16HIPCUB_304000_NS21ConstantInputIteratorIllEEPllNSB_3SumENSB_8EqualityElEE10hipError_tPvRmT2_T3_T4_T5_mT6_T7_P12ihipStream_tbENKUlT_T0_E_clISt17integral_constantIbLb1EESX_EEDaSS_ST_EUlSS_E_NS1_11comp_targetILNS1_3genE9ELNS1_11target_archE1100ELNS1_3gpuE3ELNS1_3repE0EEENS1_30default_config_static_selectorELNS0_4arch9wavefront6targetE0EEEvT1_,comdat
.Lfunc_end112:
	.size	_ZN7rocprim17ROCPRIM_400000_NS6detail17trampoline_kernelINS0_14default_configENS1_27scan_by_key_config_selectorIllEEZZNS1_16scan_by_key_implILNS1_25lookback_scan_determinismE0ELb0ES3_PKlN6hipcub16HIPCUB_304000_NS21ConstantInputIteratorIllEEPllNSB_3SumENSB_8EqualityElEE10hipError_tPvRmT2_T3_T4_T5_mT6_T7_P12ihipStream_tbENKUlT_T0_E_clISt17integral_constantIbLb1EESX_EEDaSS_ST_EUlSS_E_NS1_11comp_targetILNS1_3genE9ELNS1_11target_archE1100ELNS1_3gpuE3ELNS1_3repE0EEENS1_30default_config_static_selectorELNS0_4arch9wavefront6targetE0EEEvT1_, .Lfunc_end112-_ZN7rocprim17ROCPRIM_400000_NS6detail17trampoline_kernelINS0_14default_configENS1_27scan_by_key_config_selectorIllEEZZNS1_16scan_by_key_implILNS1_25lookback_scan_determinismE0ELb0ES3_PKlN6hipcub16HIPCUB_304000_NS21ConstantInputIteratorIllEEPllNSB_3SumENSB_8EqualityElEE10hipError_tPvRmT2_T3_T4_T5_mT6_T7_P12ihipStream_tbENKUlT_T0_E_clISt17integral_constantIbLb1EESX_EEDaSS_ST_EUlSS_E_NS1_11comp_targetILNS1_3genE9ELNS1_11target_archE1100ELNS1_3gpuE3ELNS1_3repE0EEENS1_30default_config_static_selectorELNS0_4arch9wavefront6targetE0EEEvT1_
                                        ; -- End function
	.set _ZN7rocprim17ROCPRIM_400000_NS6detail17trampoline_kernelINS0_14default_configENS1_27scan_by_key_config_selectorIllEEZZNS1_16scan_by_key_implILNS1_25lookback_scan_determinismE0ELb0ES3_PKlN6hipcub16HIPCUB_304000_NS21ConstantInputIteratorIllEEPllNSB_3SumENSB_8EqualityElEE10hipError_tPvRmT2_T3_T4_T5_mT6_T7_P12ihipStream_tbENKUlT_T0_E_clISt17integral_constantIbLb1EESX_EEDaSS_ST_EUlSS_E_NS1_11comp_targetILNS1_3genE9ELNS1_11target_archE1100ELNS1_3gpuE3ELNS1_3repE0EEENS1_30default_config_static_selectorELNS0_4arch9wavefront6targetE0EEEvT1_.num_vgpr, 0
	.set _ZN7rocprim17ROCPRIM_400000_NS6detail17trampoline_kernelINS0_14default_configENS1_27scan_by_key_config_selectorIllEEZZNS1_16scan_by_key_implILNS1_25lookback_scan_determinismE0ELb0ES3_PKlN6hipcub16HIPCUB_304000_NS21ConstantInputIteratorIllEEPllNSB_3SumENSB_8EqualityElEE10hipError_tPvRmT2_T3_T4_T5_mT6_T7_P12ihipStream_tbENKUlT_T0_E_clISt17integral_constantIbLb1EESX_EEDaSS_ST_EUlSS_E_NS1_11comp_targetILNS1_3genE9ELNS1_11target_archE1100ELNS1_3gpuE3ELNS1_3repE0EEENS1_30default_config_static_selectorELNS0_4arch9wavefront6targetE0EEEvT1_.num_agpr, 0
	.set _ZN7rocprim17ROCPRIM_400000_NS6detail17trampoline_kernelINS0_14default_configENS1_27scan_by_key_config_selectorIllEEZZNS1_16scan_by_key_implILNS1_25lookback_scan_determinismE0ELb0ES3_PKlN6hipcub16HIPCUB_304000_NS21ConstantInputIteratorIllEEPllNSB_3SumENSB_8EqualityElEE10hipError_tPvRmT2_T3_T4_T5_mT6_T7_P12ihipStream_tbENKUlT_T0_E_clISt17integral_constantIbLb1EESX_EEDaSS_ST_EUlSS_E_NS1_11comp_targetILNS1_3genE9ELNS1_11target_archE1100ELNS1_3gpuE3ELNS1_3repE0EEENS1_30default_config_static_selectorELNS0_4arch9wavefront6targetE0EEEvT1_.numbered_sgpr, 0
	.set _ZN7rocprim17ROCPRIM_400000_NS6detail17trampoline_kernelINS0_14default_configENS1_27scan_by_key_config_selectorIllEEZZNS1_16scan_by_key_implILNS1_25lookback_scan_determinismE0ELb0ES3_PKlN6hipcub16HIPCUB_304000_NS21ConstantInputIteratorIllEEPllNSB_3SumENSB_8EqualityElEE10hipError_tPvRmT2_T3_T4_T5_mT6_T7_P12ihipStream_tbENKUlT_T0_E_clISt17integral_constantIbLb1EESX_EEDaSS_ST_EUlSS_E_NS1_11comp_targetILNS1_3genE9ELNS1_11target_archE1100ELNS1_3gpuE3ELNS1_3repE0EEENS1_30default_config_static_selectorELNS0_4arch9wavefront6targetE0EEEvT1_.num_named_barrier, 0
	.set _ZN7rocprim17ROCPRIM_400000_NS6detail17trampoline_kernelINS0_14default_configENS1_27scan_by_key_config_selectorIllEEZZNS1_16scan_by_key_implILNS1_25lookback_scan_determinismE0ELb0ES3_PKlN6hipcub16HIPCUB_304000_NS21ConstantInputIteratorIllEEPllNSB_3SumENSB_8EqualityElEE10hipError_tPvRmT2_T3_T4_T5_mT6_T7_P12ihipStream_tbENKUlT_T0_E_clISt17integral_constantIbLb1EESX_EEDaSS_ST_EUlSS_E_NS1_11comp_targetILNS1_3genE9ELNS1_11target_archE1100ELNS1_3gpuE3ELNS1_3repE0EEENS1_30default_config_static_selectorELNS0_4arch9wavefront6targetE0EEEvT1_.private_seg_size, 0
	.set _ZN7rocprim17ROCPRIM_400000_NS6detail17trampoline_kernelINS0_14default_configENS1_27scan_by_key_config_selectorIllEEZZNS1_16scan_by_key_implILNS1_25lookback_scan_determinismE0ELb0ES3_PKlN6hipcub16HIPCUB_304000_NS21ConstantInputIteratorIllEEPllNSB_3SumENSB_8EqualityElEE10hipError_tPvRmT2_T3_T4_T5_mT6_T7_P12ihipStream_tbENKUlT_T0_E_clISt17integral_constantIbLb1EESX_EEDaSS_ST_EUlSS_E_NS1_11comp_targetILNS1_3genE9ELNS1_11target_archE1100ELNS1_3gpuE3ELNS1_3repE0EEENS1_30default_config_static_selectorELNS0_4arch9wavefront6targetE0EEEvT1_.uses_vcc, 0
	.set _ZN7rocprim17ROCPRIM_400000_NS6detail17trampoline_kernelINS0_14default_configENS1_27scan_by_key_config_selectorIllEEZZNS1_16scan_by_key_implILNS1_25lookback_scan_determinismE0ELb0ES3_PKlN6hipcub16HIPCUB_304000_NS21ConstantInputIteratorIllEEPllNSB_3SumENSB_8EqualityElEE10hipError_tPvRmT2_T3_T4_T5_mT6_T7_P12ihipStream_tbENKUlT_T0_E_clISt17integral_constantIbLb1EESX_EEDaSS_ST_EUlSS_E_NS1_11comp_targetILNS1_3genE9ELNS1_11target_archE1100ELNS1_3gpuE3ELNS1_3repE0EEENS1_30default_config_static_selectorELNS0_4arch9wavefront6targetE0EEEvT1_.uses_flat_scratch, 0
	.set _ZN7rocprim17ROCPRIM_400000_NS6detail17trampoline_kernelINS0_14default_configENS1_27scan_by_key_config_selectorIllEEZZNS1_16scan_by_key_implILNS1_25lookback_scan_determinismE0ELb0ES3_PKlN6hipcub16HIPCUB_304000_NS21ConstantInputIteratorIllEEPllNSB_3SumENSB_8EqualityElEE10hipError_tPvRmT2_T3_T4_T5_mT6_T7_P12ihipStream_tbENKUlT_T0_E_clISt17integral_constantIbLb1EESX_EEDaSS_ST_EUlSS_E_NS1_11comp_targetILNS1_3genE9ELNS1_11target_archE1100ELNS1_3gpuE3ELNS1_3repE0EEENS1_30default_config_static_selectorELNS0_4arch9wavefront6targetE0EEEvT1_.has_dyn_sized_stack, 0
	.set _ZN7rocprim17ROCPRIM_400000_NS6detail17trampoline_kernelINS0_14default_configENS1_27scan_by_key_config_selectorIllEEZZNS1_16scan_by_key_implILNS1_25lookback_scan_determinismE0ELb0ES3_PKlN6hipcub16HIPCUB_304000_NS21ConstantInputIteratorIllEEPllNSB_3SumENSB_8EqualityElEE10hipError_tPvRmT2_T3_T4_T5_mT6_T7_P12ihipStream_tbENKUlT_T0_E_clISt17integral_constantIbLb1EESX_EEDaSS_ST_EUlSS_E_NS1_11comp_targetILNS1_3genE9ELNS1_11target_archE1100ELNS1_3gpuE3ELNS1_3repE0EEENS1_30default_config_static_selectorELNS0_4arch9wavefront6targetE0EEEvT1_.has_recursion, 0
	.set _ZN7rocprim17ROCPRIM_400000_NS6detail17trampoline_kernelINS0_14default_configENS1_27scan_by_key_config_selectorIllEEZZNS1_16scan_by_key_implILNS1_25lookback_scan_determinismE0ELb0ES3_PKlN6hipcub16HIPCUB_304000_NS21ConstantInputIteratorIllEEPllNSB_3SumENSB_8EqualityElEE10hipError_tPvRmT2_T3_T4_T5_mT6_T7_P12ihipStream_tbENKUlT_T0_E_clISt17integral_constantIbLb1EESX_EEDaSS_ST_EUlSS_E_NS1_11comp_targetILNS1_3genE9ELNS1_11target_archE1100ELNS1_3gpuE3ELNS1_3repE0EEENS1_30default_config_static_selectorELNS0_4arch9wavefront6targetE0EEEvT1_.has_indirect_call, 0
	.section	.AMDGPU.csdata,"",@progbits
; Kernel info:
; codeLenInByte = 0
; TotalNumSgprs: 0
; NumVgprs: 0
; ScratchSize: 0
; MemoryBound: 0
; FloatMode: 240
; IeeeMode: 1
; LDSByteSize: 0 bytes/workgroup (compile time only)
; SGPRBlocks: 0
; VGPRBlocks: 0
; NumSGPRsForWavesPerEU: 1
; NumVGPRsForWavesPerEU: 1
; Occupancy: 16
; WaveLimiterHint : 0
; COMPUTE_PGM_RSRC2:SCRATCH_EN: 0
; COMPUTE_PGM_RSRC2:USER_SGPR: 6
; COMPUTE_PGM_RSRC2:TRAP_HANDLER: 0
; COMPUTE_PGM_RSRC2:TGID_X_EN: 1
; COMPUTE_PGM_RSRC2:TGID_Y_EN: 0
; COMPUTE_PGM_RSRC2:TGID_Z_EN: 0
; COMPUTE_PGM_RSRC2:TIDIG_COMP_CNT: 0
	.section	.text._ZN7rocprim17ROCPRIM_400000_NS6detail17trampoline_kernelINS0_14default_configENS1_27scan_by_key_config_selectorIllEEZZNS1_16scan_by_key_implILNS1_25lookback_scan_determinismE0ELb0ES3_PKlN6hipcub16HIPCUB_304000_NS21ConstantInputIteratorIllEEPllNSB_3SumENSB_8EqualityElEE10hipError_tPvRmT2_T3_T4_T5_mT6_T7_P12ihipStream_tbENKUlT_T0_E_clISt17integral_constantIbLb1EESX_EEDaSS_ST_EUlSS_E_NS1_11comp_targetILNS1_3genE8ELNS1_11target_archE1030ELNS1_3gpuE2ELNS1_3repE0EEENS1_30default_config_static_selectorELNS0_4arch9wavefront6targetE0EEEvT1_,"axG",@progbits,_ZN7rocprim17ROCPRIM_400000_NS6detail17trampoline_kernelINS0_14default_configENS1_27scan_by_key_config_selectorIllEEZZNS1_16scan_by_key_implILNS1_25lookback_scan_determinismE0ELb0ES3_PKlN6hipcub16HIPCUB_304000_NS21ConstantInputIteratorIllEEPllNSB_3SumENSB_8EqualityElEE10hipError_tPvRmT2_T3_T4_T5_mT6_T7_P12ihipStream_tbENKUlT_T0_E_clISt17integral_constantIbLb1EESX_EEDaSS_ST_EUlSS_E_NS1_11comp_targetILNS1_3genE8ELNS1_11target_archE1030ELNS1_3gpuE2ELNS1_3repE0EEENS1_30default_config_static_selectorELNS0_4arch9wavefront6targetE0EEEvT1_,comdat
	.protected	_ZN7rocprim17ROCPRIM_400000_NS6detail17trampoline_kernelINS0_14default_configENS1_27scan_by_key_config_selectorIllEEZZNS1_16scan_by_key_implILNS1_25lookback_scan_determinismE0ELb0ES3_PKlN6hipcub16HIPCUB_304000_NS21ConstantInputIteratorIllEEPllNSB_3SumENSB_8EqualityElEE10hipError_tPvRmT2_T3_T4_T5_mT6_T7_P12ihipStream_tbENKUlT_T0_E_clISt17integral_constantIbLb1EESX_EEDaSS_ST_EUlSS_E_NS1_11comp_targetILNS1_3genE8ELNS1_11target_archE1030ELNS1_3gpuE2ELNS1_3repE0EEENS1_30default_config_static_selectorELNS0_4arch9wavefront6targetE0EEEvT1_ ; -- Begin function _ZN7rocprim17ROCPRIM_400000_NS6detail17trampoline_kernelINS0_14default_configENS1_27scan_by_key_config_selectorIllEEZZNS1_16scan_by_key_implILNS1_25lookback_scan_determinismE0ELb0ES3_PKlN6hipcub16HIPCUB_304000_NS21ConstantInputIteratorIllEEPllNSB_3SumENSB_8EqualityElEE10hipError_tPvRmT2_T3_T4_T5_mT6_T7_P12ihipStream_tbENKUlT_T0_E_clISt17integral_constantIbLb1EESX_EEDaSS_ST_EUlSS_E_NS1_11comp_targetILNS1_3genE8ELNS1_11target_archE1030ELNS1_3gpuE2ELNS1_3repE0EEENS1_30default_config_static_selectorELNS0_4arch9wavefront6targetE0EEEvT1_
	.globl	_ZN7rocprim17ROCPRIM_400000_NS6detail17trampoline_kernelINS0_14default_configENS1_27scan_by_key_config_selectorIllEEZZNS1_16scan_by_key_implILNS1_25lookback_scan_determinismE0ELb0ES3_PKlN6hipcub16HIPCUB_304000_NS21ConstantInputIteratorIllEEPllNSB_3SumENSB_8EqualityElEE10hipError_tPvRmT2_T3_T4_T5_mT6_T7_P12ihipStream_tbENKUlT_T0_E_clISt17integral_constantIbLb1EESX_EEDaSS_ST_EUlSS_E_NS1_11comp_targetILNS1_3genE8ELNS1_11target_archE1030ELNS1_3gpuE2ELNS1_3repE0EEENS1_30default_config_static_selectorELNS0_4arch9wavefront6targetE0EEEvT1_
	.p2align	8
	.type	_ZN7rocprim17ROCPRIM_400000_NS6detail17trampoline_kernelINS0_14default_configENS1_27scan_by_key_config_selectorIllEEZZNS1_16scan_by_key_implILNS1_25lookback_scan_determinismE0ELb0ES3_PKlN6hipcub16HIPCUB_304000_NS21ConstantInputIteratorIllEEPllNSB_3SumENSB_8EqualityElEE10hipError_tPvRmT2_T3_T4_T5_mT6_T7_P12ihipStream_tbENKUlT_T0_E_clISt17integral_constantIbLb1EESX_EEDaSS_ST_EUlSS_E_NS1_11comp_targetILNS1_3genE8ELNS1_11target_archE1030ELNS1_3gpuE2ELNS1_3repE0EEENS1_30default_config_static_selectorELNS0_4arch9wavefront6targetE0EEEvT1_,@function
_ZN7rocprim17ROCPRIM_400000_NS6detail17trampoline_kernelINS0_14default_configENS1_27scan_by_key_config_selectorIllEEZZNS1_16scan_by_key_implILNS1_25lookback_scan_determinismE0ELb0ES3_PKlN6hipcub16HIPCUB_304000_NS21ConstantInputIteratorIllEEPllNSB_3SumENSB_8EqualityElEE10hipError_tPvRmT2_T3_T4_T5_mT6_T7_P12ihipStream_tbENKUlT_T0_E_clISt17integral_constantIbLb1EESX_EEDaSS_ST_EUlSS_E_NS1_11comp_targetILNS1_3genE8ELNS1_11target_archE1030ELNS1_3gpuE2ELNS1_3repE0EEENS1_30default_config_static_selectorELNS0_4arch9wavefront6targetE0EEEvT1_: ; @_ZN7rocprim17ROCPRIM_400000_NS6detail17trampoline_kernelINS0_14default_configENS1_27scan_by_key_config_selectorIllEEZZNS1_16scan_by_key_implILNS1_25lookback_scan_determinismE0ELb0ES3_PKlN6hipcub16HIPCUB_304000_NS21ConstantInputIteratorIllEEPllNSB_3SumENSB_8EqualityElEE10hipError_tPvRmT2_T3_T4_T5_mT6_T7_P12ihipStream_tbENKUlT_T0_E_clISt17integral_constantIbLb1EESX_EEDaSS_ST_EUlSS_E_NS1_11comp_targetILNS1_3genE8ELNS1_11target_archE1030ELNS1_3gpuE2ELNS1_3repE0EEENS1_30default_config_static_selectorELNS0_4arch9wavefront6targetE0EEEvT1_
; %bb.0:
	s_endpgm
	.section	.rodata,"a",@progbits
	.p2align	6, 0x0
	.amdhsa_kernel _ZN7rocprim17ROCPRIM_400000_NS6detail17trampoline_kernelINS0_14default_configENS1_27scan_by_key_config_selectorIllEEZZNS1_16scan_by_key_implILNS1_25lookback_scan_determinismE0ELb0ES3_PKlN6hipcub16HIPCUB_304000_NS21ConstantInputIteratorIllEEPllNSB_3SumENSB_8EqualityElEE10hipError_tPvRmT2_T3_T4_T5_mT6_T7_P12ihipStream_tbENKUlT_T0_E_clISt17integral_constantIbLb1EESX_EEDaSS_ST_EUlSS_E_NS1_11comp_targetILNS1_3genE8ELNS1_11target_archE1030ELNS1_3gpuE2ELNS1_3repE0EEENS1_30default_config_static_selectorELNS0_4arch9wavefront6targetE0EEEvT1_
		.amdhsa_group_segment_fixed_size 0
		.amdhsa_private_segment_fixed_size 0
		.amdhsa_kernarg_size 144
		.amdhsa_user_sgpr_count 6
		.amdhsa_user_sgpr_private_segment_buffer 1
		.amdhsa_user_sgpr_dispatch_ptr 0
		.amdhsa_user_sgpr_queue_ptr 0
		.amdhsa_user_sgpr_kernarg_segment_ptr 1
		.amdhsa_user_sgpr_dispatch_id 0
		.amdhsa_user_sgpr_flat_scratch_init 0
		.amdhsa_user_sgpr_private_segment_size 0
		.amdhsa_wavefront_size32 1
		.amdhsa_uses_dynamic_stack 0
		.amdhsa_system_sgpr_private_segment_wavefront_offset 0
		.amdhsa_system_sgpr_workgroup_id_x 1
		.amdhsa_system_sgpr_workgroup_id_y 0
		.amdhsa_system_sgpr_workgroup_id_z 0
		.amdhsa_system_sgpr_workgroup_info 0
		.amdhsa_system_vgpr_workitem_id 0
		.amdhsa_next_free_vgpr 1
		.amdhsa_next_free_sgpr 1
		.amdhsa_reserve_vcc 0
		.amdhsa_reserve_flat_scratch 0
		.amdhsa_float_round_mode_32 0
		.amdhsa_float_round_mode_16_64 0
		.amdhsa_float_denorm_mode_32 3
		.amdhsa_float_denorm_mode_16_64 3
		.amdhsa_dx10_clamp 1
		.amdhsa_ieee_mode 1
		.amdhsa_fp16_overflow 0
		.amdhsa_workgroup_processor_mode 1
		.amdhsa_memory_ordered 1
		.amdhsa_forward_progress 1
		.amdhsa_shared_vgpr_count 0
		.amdhsa_exception_fp_ieee_invalid_op 0
		.amdhsa_exception_fp_denorm_src 0
		.amdhsa_exception_fp_ieee_div_zero 0
		.amdhsa_exception_fp_ieee_overflow 0
		.amdhsa_exception_fp_ieee_underflow 0
		.amdhsa_exception_fp_ieee_inexact 0
		.amdhsa_exception_int_div_zero 0
	.end_amdhsa_kernel
	.section	.text._ZN7rocprim17ROCPRIM_400000_NS6detail17trampoline_kernelINS0_14default_configENS1_27scan_by_key_config_selectorIllEEZZNS1_16scan_by_key_implILNS1_25lookback_scan_determinismE0ELb0ES3_PKlN6hipcub16HIPCUB_304000_NS21ConstantInputIteratorIllEEPllNSB_3SumENSB_8EqualityElEE10hipError_tPvRmT2_T3_T4_T5_mT6_T7_P12ihipStream_tbENKUlT_T0_E_clISt17integral_constantIbLb1EESX_EEDaSS_ST_EUlSS_E_NS1_11comp_targetILNS1_3genE8ELNS1_11target_archE1030ELNS1_3gpuE2ELNS1_3repE0EEENS1_30default_config_static_selectorELNS0_4arch9wavefront6targetE0EEEvT1_,"axG",@progbits,_ZN7rocprim17ROCPRIM_400000_NS6detail17trampoline_kernelINS0_14default_configENS1_27scan_by_key_config_selectorIllEEZZNS1_16scan_by_key_implILNS1_25lookback_scan_determinismE0ELb0ES3_PKlN6hipcub16HIPCUB_304000_NS21ConstantInputIteratorIllEEPllNSB_3SumENSB_8EqualityElEE10hipError_tPvRmT2_T3_T4_T5_mT6_T7_P12ihipStream_tbENKUlT_T0_E_clISt17integral_constantIbLb1EESX_EEDaSS_ST_EUlSS_E_NS1_11comp_targetILNS1_3genE8ELNS1_11target_archE1030ELNS1_3gpuE2ELNS1_3repE0EEENS1_30default_config_static_selectorELNS0_4arch9wavefront6targetE0EEEvT1_,comdat
.Lfunc_end113:
	.size	_ZN7rocprim17ROCPRIM_400000_NS6detail17trampoline_kernelINS0_14default_configENS1_27scan_by_key_config_selectorIllEEZZNS1_16scan_by_key_implILNS1_25lookback_scan_determinismE0ELb0ES3_PKlN6hipcub16HIPCUB_304000_NS21ConstantInputIteratorIllEEPllNSB_3SumENSB_8EqualityElEE10hipError_tPvRmT2_T3_T4_T5_mT6_T7_P12ihipStream_tbENKUlT_T0_E_clISt17integral_constantIbLb1EESX_EEDaSS_ST_EUlSS_E_NS1_11comp_targetILNS1_3genE8ELNS1_11target_archE1030ELNS1_3gpuE2ELNS1_3repE0EEENS1_30default_config_static_selectorELNS0_4arch9wavefront6targetE0EEEvT1_, .Lfunc_end113-_ZN7rocprim17ROCPRIM_400000_NS6detail17trampoline_kernelINS0_14default_configENS1_27scan_by_key_config_selectorIllEEZZNS1_16scan_by_key_implILNS1_25lookback_scan_determinismE0ELb0ES3_PKlN6hipcub16HIPCUB_304000_NS21ConstantInputIteratorIllEEPllNSB_3SumENSB_8EqualityElEE10hipError_tPvRmT2_T3_T4_T5_mT6_T7_P12ihipStream_tbENKUlT_T0_E_clISt17integral_constantIbLb1EESX_EEDaSS_ST_EUlSS_E_NS1_11comp_targetILNS1_3genE8ELNS1_11target_archE1030ELNS1_3gpuE2ELNS1_3repE0EEENS1_30default_config_static_selectorELNS0_4arch9wavefront6targetE0EEEvT1_
                                        ; -- End function
	.set _ZN7rocprim17ROCPRIM_400000_NS6detail17trampoline_kernelINS0_14default_configENS1_27scan_by_key_config_selectorIllEEZZNS1_16scan_by_key_implILNS1_25lookback_scan_determinismE0ELb0ES3_PKlN6hipcub16HIPCUB_304000_NS21ConstantInputIteratorIllEEPllNSB_3SumENSB_8EqualityElEE10hipError_tPvRmT2_T3_T4_T5_mT6_T7_P12ihipStream_tbENKUlT_T0_E_clISt17integral_constantIbLb1EESX_EEDaSS_ST_EUlSS_E_NS1_11comp_targetILNS1_3genE8ELNS1_11target_archE1030ELNS1_3gpuE2ELNS1_3repE0EEENS1_30default_config_static_selectorELNS0_4arch9wavefront6targetE0EEEvT1_.num_vgpr, 0
	.set _ZN7rocprim17ROCPRIM_400000_NS6detail17trampoline_kernelINS0_14default_configENS1_27scan_by_key_config_selectorIllEEZZNS1_16scan_by_key_implILNS1_25lookback_scan_determinismE0ELb0ES3_PKlN6hipcub16HIPCUB_304000_NS21ConstantInputIteratorIllEEPllNSB_3SumENSB_8EqualityElEE10hipError_tPvRmT2_T3_T4_T5_mT6_T7_P12ihipStream_tbENKUlT_T0_E_clISt17integral_constantIbLb1EESX_EEDaSS_ST_EUlSS_E_NS1_11comp_targetILNS1_3genE8ELNS1_11target_archE1030ELNS1_3gpuE2ELNS1_3repE0EEENS1_30default_config_static_selectorELNS0_4arch9wavefront6targetE0EEEvT1_.num_agpr, 0
	.set _ZN7rocprim17ROCPRIM_400000_NS6detail17trampoline_kernelINS0_14default_configENS1_27scan_by_key_config_selectorIllEEZZNS1_16scan_by_key_implILNS1_25lookback_scan_determinismE0ELb0ES3_PKlN6hipcub16HIPCUB_304000_NS21ConstantInputIteratorIllEEPllNSB_3SumENSB_8EqualityElEE10hipError_tPvRmT2_T3_T4_T5_mT6_T7_P12ihipStream_tbENKUlT_T0_E_clISt17integral_constantIbLb1EESX_EEDaSS_ST_EUlSS_E_NS1_11comp_targetILNS1_3genE8ELNS1_11target_archE1030ELNS1_3gpuE2ELNS1_3repE0EEENS1_30default_config_static_selectorELNS0_4arch9wavefront6targetE0EEEvT1_.numbered_sgpr, 0
	.set _ZN7rocprim17ROCPRIM_400000_NS6detail17trampoline_kernelINS0_14default_configENS1_27scan_by_key_config_selectorIllEEZZNS1_16scan_by_key_implILNS1_25lookback_scan_determinismE0ELb0ES3_PKlN6hipcub16HIPCUB_304000_NS21ConstantInputIteratorIllEEPllNSB_3SumENSB_8EqualityElEE10hipError_tPvRmT2_T3_T4_T5_mT6_T7_P12ihipStream_tbENKUlT_T0_E_clISt17integral_constantIbLb1EESX_EEDaSS_ST_EUlSS_E_NS1_11comp_targetILNS1_3genE8ELNS1_11target_archE1030ELNS1_3gpuE2ELNS1_3repE0EEENS1_30default_config_static_selectorELNS0_4arch9wavefront6targetE0EEEvT1_.num_named_barrier, 0
	.set _ZN7rocprim17ROCPRIM_400000_NS6detail17trampoline_kernelINS0_14default_configENS1_27scan_by_key_config_selectorIllEEZZNS1_16scan_by_key_implILNS1_25lookback_scan_determinismE0ELb0ES3_PKlN6hipcub16HIPCUB_304000_NS21ConstantInputIteratorIllEEPllNSB_3SumENSB_8EqualityElEE10hipError_tPvRmT2_T3_T4_T5_mT6_T7_P12ihipStream_tbENKUlT_T0_E_clISt17integral_constantIbLb1EESX_EEDaSS_ST_EUlSS_E_NS1_11comp_targetILNS1_3genE8ELNS1_11target_archE1030ELNS1_3gpuE2ELNS1_3repE0EEENS1_30default_config_static_selectorELNS0_4arch9wavefront6targetE0EEEvT1_.private_seg_size, 0
	.set _ZN7rocprim17ROCPRIM_400000_NS6detail17trampoline_kernelINS0_14default_configENS1_27scan_by_key_config_selectorIllEEZZNS1_16scan_by_key_implILNS1_25lookback_scan_determinismE0ELb0ES3_PKlN6hipcub16HIPCUB_304000_NS21ConstantInputIteratorIllEEPllNSB_3SumENSB_8EqualityElEE10hipError_tPvRmT2_T3_T4_T5_mT6_T7_P12ihipStream_tbENKUlT_T0_E_clISt17integral_constantIbLb1EESX_EEDaSS_ST_EUlSS_E_NS1_11comp_targetILNS1_3genE8ELNS1_11target_archE1030ELNS1_3gpuE2ELNS1_3repE0EEENS1_30default_config_static_selectorELNS0_4arch9wavefront6targetE0EEEvT1_.uses_vcc, 0
	.set _ZN7rocprim17ROCPRIM_400000_NS6detail17trampoline_kernelINS0_14default_configENS1_27scan_by_key_config_selectorIllEEZZNS1_16scan_by_key_implILNS1_25lookback_scan_determinismE0ELb0ES3_PKlN6hipcub16HIPCUB_304000_NS21ConstantInputIteratorIllEEPllNSB_3SumENSB_8EqualityElEE10hipError_tPvRmT2_T3_T4_T5_mT6_T7_P12ihipStream_tbENKUlT_T0_E_clISt17integral_constantIbLb1EESX_EEDaSS_ST_EUlSS_E_NS1_11comp_targetILNS1_3genE8ELNS1_11target_archE1030ELNS1_3gpuE2ELNS1_3repE0EEENS1_30default_config_static_selectorELNS0_4arch9wavefront6targetE0EEEvT1_.uses_flat_scratch, 0
	.set _ZN7rocprim17ROCPRIM_400000_NS6detail17trampoline_kernelINS0_14default_configENS1_27scan_by_key_config_selectorIllEEZZNS1_16scan_by_key_implILNS1_25lookback_scan_determinismE0ELb0ES3_PKlN6hipcub16HIPCUB_304000_NS21ConstantInputIteratorIllEEPllNSB_3SumENSB_8EqualityElEE10hipError_tPvRmT2_T3_T4_T5_mT6_T7_P12ihipStream_tbENKUlT_T0_E_clISt17integral_constantIbLb1EESX_EEDaSS_ST_EUlSS_E_NS1_11comp_targetILNS1_3genE8ELNS1_11target_archE1030ELNS1_3gpuE2ELNS1_3repE0EEENS1_30default_config_static_selectorELNS0_4arch9wavefront6targetE0EEEvT1_.has_dyn_sized_stack, 0
	.set _ZN7rocprim17ROCPRIM_400000_NS6detail17trampoline_kernelINS0_14default_configENS1_27scan_by_key_config_selectorIllEEZZNS1_16scan_by_key_implILNS1_25lookback_scan_determinismE0ELb0ES3_PKlN6hipcub16HIPCUB_304000_NS21ConstantInputIteratorIllEEPllNSB_3SumENSB_8EqualityElEE10hipError_tPvRmT2_T3_T4_T5_mT6_T7_P12ihipStream_tbENKUlT_T0_E_clISt17integral_constantIbLb1EESX_EEDaSS_ST_EUlSS_E_NS1_11comp_targetILNS1_3genE8ELNS1_11target_archE1030ELNS1_3gpuE2ELNS1_3repE0EEENS1_30default_config_static_selectorELNS0_4arch9wavefront6targetE0EEEvT1_.has_recursion, 0
	.set _ZN7rocprim17ROCPRIM_400000_NS6detail17trampoline_kernelINS0_14default_configENS1_27scan_by_key_config_selectorIllEEZZNS1_16scan_by_key_implILNS1_25lookback_scan_determinismE0ELb0ES3_PKlN6hipcub16HIPCUB_304000_NS21ConstantInputIteratorIllEEPllNSB_3SumENSB_8EqualityElEE10hipError_tPvRmT2_T3_T4_T5_mT6_T7_P12ihipStream_tbENKUlT_T0_E_clISt17integral_constantIbLb1EESX_EEDaSS_ST_EUlSS_E_NS1_11comp_targetILNS1_3genE8ELNS1_11target_archE1030ELNS1_3gpuE2ELNS1_3repE0EEENS1_30default_config_static_selectorELNS0_4arch9wavefront6targetE0EEEvT1_.has_indirect_call, 0
	.section	.AMDGPU.csdata,"",@progbits
; Kernel info:
; codeLenInByte = 4
; TotalNumSgprs: 0
; NumVgprs: 0
; ScratchSize: 0
; MemoryBound: 0
; FloatMode: 240
; IeeeMode: 1
; LDSByteSize: 0 bytes/workgroup (compile time only)
; SGPRBlocks: 0
; VGPRBlocks: 0
; NumSGPRsForWavesPerEU: 1
; NumVGPRsForWavesPerEU: 1
; Occupancy: 16
; WaveLimiterHint : 0
; COMPUTE_PGM_RSRC2:SCRATCH_EN: 0
; COMPUTE_PGM_RSRC2:USER_SGPR: 6
; COMPUTE_PGM_RSRC2:TRAP_HANDLER: 0
; COMPUTE_PGM_RSRC2:TGID_X_EN: 1
; COMPUTE_PGM_RSRC2:TGID_Y_EN: 0
; COMPUTE_PGM_RSRC2:TGID_Z_EN: 0
; COMPUTE_PGM_RSRC2:TIDIG_COMP_CNT: 0
	.section	.text._ZN7rocprim17ROCPRIM_400000_NS6detail30init_device_scan_by_key_kernelINS1_19lookback_scan_stateINS0_5tupleIJlbEEELb1ELb0EEEPKljNS1_16block_id_wrapperIjLb0EEEEEvT_jjPNSB_10value_typeET0_PNSt15iterator_traitsISE_E10value_typeEmT1_T2_,"axG",@progbits,_ZN7rocprim17ROCPRIM_400000_NS6detail30init_device_scan_by_key_kernelINS1_19lookback_scan_stateINS0_5tupleIJlbEEELb1ELb0EEEPKljNS1_16block_id_wrapperIjLb0EEEEEvT_jjPNSB_10value_typeET0_PNSt15iterator_traitsISE_E10value_typeEmT1_T2_,comdat
	.protected	_ZN7rocprim17ROCPRIM_400000_NS6detail30init_device_scan_by_key_kernelINS1_19lookback_scan_stateINS0_5tupleIJlbEEELb1ELb0EEEPKljNS1_16block_id_wrapperIjLb0EEEEEvT_jjPNSB_10value_typeET0_PNSt15iterator_traitsISE_E10value_typeEmT1_T2_ ; -- Begin function _ZN7rocprim17ROCPRIM_400000_NS6detail30init_device_scan_by_key_kernelINS1_19lookback_scan_stateINS0_5tupleIJlbEEELb1ELb0EEEPKljNS1_16block_id_wrapperIjLb0EEEEEvT_jjPNSB_10value_typeET0_PNSt15iterator_traitsISE_E10value_typeEmT1_T2_
	.globl	_ZN7rocprim17ROCPRIM_400000_NS6detail30init_device_scan_by_key_kernelINS1_19lookback_scan_stateINS0_5tupleIJlbEEELb1ELb0EEEPKljNS1_16block_id_wrapperIjLb0EEEEEvT_jjPNSB_10value_typeET0_PNSt15iterator_traitsISE_E10value_typeEmT1_T2_
	.p2align	8
	.type	_ZN7rocprim17ROCPRIM_400000_NS6detail30init_device_scan_by_key_kernelINS1_19lookback_scan_stateINS0_5tupleIJlbEEELb1ELb0EEEPKljNS1_16block_id_wrapperIjLb0EEEEEvT_jjPNSB_10value_typeET0_PNSt15iterator_traitsISE_E10value_typeEmT1_T2_,@function
_ZN7rocprim17ROCPRIM_400000_NS6detail30init_device_scan_by_key_kernelINS1_19lookback_scan_stateINS0_5tupleIJlbEEELb1ELb0EEEPKljNS1_16block_id_wrapperIjLb0EEEEEvT_jjPNSB_10value_typeET0_PNSt15iterator_traitsISE_E10value_typeEmT1_T2_: ; @_ZN7rocprim17ROCPRIM_400000_NS6detail30init_device_scan_by_key_kernelINS1_19lookback_scan_stateINS0_5tupleIJlbEEELb1ELb0EEEPKljNS1_16block_id_wrapperIjLb0EEEEEvT_jjPNSB_10value_typeET0_PNSt15iterator_traitsISE_E10value_typeEmT1_T2_
; %bb.0:
	s_clause 0x2
	s_load_dword s0, s[4:5], 0x54
	s_load_dwordx8 s[8:15], s[4:5], 0x10
	s_load_dword s18, s[4:5], 0x48
	s_waitcnt lgkmcnt(0)
	s_and_b32 s19, s0, 0xffff
	s_cmp_eq_u64 s[12:13], 0
	v_mad_u64_u32 v[0:1], null, s6, s19, v[0:1]
	s_cbranch_scc1 .LBB114_9
; %bb.1:
	s_cmp_lt_u32 s11, s10
	s_mov_b32 s7, 0
	s_cselect_b32 s0, s11, 0
	s_mov_b32 s20, exec_lo
	v_cmpx_eq_u32_e64 s0, v0
	s_cbranch_execz .LBB114_8
; %bb.2:
	s_add_i32 s6, s11, 32
	s_load_dwordx4 s[0:3], s[4:5], 0x0
	v_mov_b32_e32 v1, s6
	s_add_u32 s16, s8, s6
	s_addc_u32 s17, s9, 0
	global_load_ubyte v2, v1, s[8:9] glc dlc
	v_mov_b32_e32 v1, 0
	s_waitcnt vmcnt(0)
	v_cmp_ne_u32_sdwa s11, v2, v1 src0_sel:WORD_0 src1_sel:DWORD
	v_readfirstlane_b32 s21, v2
	s_and_b32 vcc_lo, exec_lo, s11
	s_cbranch_vccnz .LBB114_7
; %bb.3:
	s_mov_b32 s11, 1
.LBB114_4:                              ; =>This Loop Header: Depth=1
                                        ;     Child Loop BB114_5 Depth 2
	s_mov_b32 s21, s11
.LBB114_5:                              ;   Parent Loop BB114_4 Depth=1
                                        ; =>  This Inner Loop Header: Depth=2
	s_add_i32 s21, s21, -1
	s_sleep 1
	s_cmp_eq_u32 s21, 0
	s_cbranch_scc0 .LBB114_5
; %bb.6:                                ;   in Loop: Header=BB114_4 Depth=1
	global_load_ubyte v2, v1, s[16:17] glc dlc
	s_cmp_lt_u32 s11, 32
	s_cselect_b32 s21, -1, 0
	s_cmp_lg_u32 s21, 0
	s_addc_u32 s11, s11, 0
	s_waitcnt vmcnt(0)
	v_cmp_ne_u32_sdwa s22, v2, v1 src0_sel:WORD_0 src1_sel:DWORD
	v_readfirstlane_b32 s21, v2
	s_and_b32 vcc_lo, exec_lo, s22
	s_cbranch_vccz .LBB114_4
.LBB114_7:
	s_and_b32 s11, 0xffff, s21
	v_mov_b32_e32 v3, 0
	s_cmp_eq_u32 s11, 1
	s_waitcnt lgkmcnt(0)
	buffer_gl1_inv
	buffer_gl0_inv
	s_cselect_b32 s3, s1, s3
	s_cselect_b32 s2, s0, s2
	s_lshl_b64 s[0:1], s[6:7], 4
	s_add_u32 s0, s2, s0
	s_addc_u32 s1, s3, s1
	s_clause 0x1
	global_load_dwordx2 v[1:2], v3, s[0:1]
	global_load_ubyte v4, v3, s[0:1] offset:8
	s_waitcnt vmcnt(1)
	global_store_dwordx2 v3, v[1:2], s[12:13]
	s_waitcnt vmcnt(0)
	global_store_byte v3, v4, s[12:13] offset:8
.LBB114_8:
	s_or_b32 exec_lo, exec_lo, s20
.LBB114_9:
	s_mov_b32 s0, exec_lo
	v_cmpx_gt_u32_e64 s10, v0
	s_cbranch_execz .LBB114_11
; %bb.10:
	v_add_nc_u32_e32 v1, 32, v0
	v_mov_b32_e32 v2, 0
	global_store_byte v1, v2, s[8:9]
.LBB114_11:
	s_or_b32 exec_lo, exec_lo, s0
	v_mov_b32_e32 v1, 0
	s_mov_b32 s0, exec_lo
	v_cmpx_gt_u32_e32 32, v0
	s_cbranch_execz .LBB114_13
; %bb.12:
	v_add_co_u32 v2, s1, s8, v0
	v_add_co_ci_u32_e64 v3, null, s9, 0, s1
	v_mov_b32_e32 v4, 0xff
	global_store_byte v[2:3], v4, off
.LBB114_13:
	s_or_b32 exec_lo, exec_lo, s0
	s_load_dwordx2 s[2:3], s[4:5], 0x38
	s_mov_b32 s0, exec_lo
	s_waitcnt lgkmcnt(0)
	v_cmpx_gt_u64_e64 s[2:3], v[0:1]
	s_cbranch_execz .LBB114_16
; %bb.14:
	s_clause 0x1
	s_load_dword s8, s[4:5], 0x40
	s_load_dwordx2 s[6:7], s[4:5], 0x30
	s_mov_b32 s1, 0
	v_lshlrev_b64 v[4:5], 3, v[0:1]
	s_mul_i32 s4, s18, s19
	s_waitcnt lgkmcnt(0)
	v_mad_u64_u32 v[2:3], null, s8, v0, 0
	s_add_i32 s0, s8, -1
	s_mul_hi_u32 s9, s8, s4
	s_lshl_b64 s[10:11], s[0:1], 3
	s_mul_i32 s8, s8, s4
	s_add_u32 s0, s14, s10
	s_addc_u32 s5, s15, s11
	v_lshlrev_b64 v[2:3], 3, v[2:3]
	v_add_co_u32 v2, vcc_lo, s0, v2
	v_add_co_ci_u32_e64 v3, null, s5, v3, vcc_lo
	v_add_co_u32 v4, vcc_lo, s6, v4
	v_add_co_ci_u32_e64 v5, null, s7, v5, vcc_lo
	s_mov_b32 s5, s1
	s_lshl_b64 s[6:7], s[8:9], 3
	s_lshl_b64 s[8:9], s[4:5], 3
	.p2align	6
.LBB114_15:                             ; =>This Inner Loop Header: Depth=1
	global_load_dwordx2 v[6:7], v[2:3], off
	v_add_co_u32 v0, vcc_lo, v0, s4
	v_add_co_ci_u32_e64 v1, null, 0, v1, vcc_lo
	v_add_co_u32 v2, vcc_lo, v2, s6
	v_add_co_ci_u32_e64 v3, null, s7, v3, vcc_lo
	v_cmp_le_u64_e32 vcc_lo, s[2:3], v[0:1]
	s_or_b32 s1, vcc_lo, s1
	s_waitcnt vmcnt(0)
	global_store_dwordx2 v[4:5], v[6:7], off
	v_add_co_u32 v4, s0, v4, s8
	v_add_co_ci_u32_e64 v5, null, s9, v5, s0
	s_andn2_b32 exec_lo, exec_lo, s1
	s_cbranch_execnz .LBB114_15
.LBB114_16:
	s_endpgm
	.section	.rodata,"a",@progbits
	.p2align	6, 0x0
	.amdhsa_kernel _ZN7rocprim17ROCPRIM_400000_NS6detail30init_device_scan_by_key_kernelINS1_19lookback_scan_stateINS0_5tupleIJlbEEELb1ELb0EEEPKljNS1_16block_id_wrapperIjLb0EEEEEvT_jjPNSB_10value_typeET0_PNSt15iterator_traitsISE_E10value_typeEmT1_T2_
		.amdhsa_group_segment_fixed_size 0
		.amdhsa_private_segment_fixed_size 0
		.amdhsa_kernarg_size 328
		.amdhsa_user_sgpr_count 6
		.amdhsa_user_sgpr_private_segment_buffer 1
		.amdhsa_user_sgpr_dispatch_ptr 0
		.amdhsa_user_sgpr_queue_ptr 0
		.amdhsa_user_sgpr_kernarg_segment_ptr 1
		.amdhsa_user_sgpr_dispatch_id 0
		.amdhsa_user_sgpr_flat_scratch_init 0
		.amdhsa_user_sgpr_private_segment_size 0
		.amdhsa_wavefront_size32 1
		.amdhsa_uses_dynamic_stack 0
		.amdhsa_system_sgpr_private_segment_wavefront_offset 0
		.amdhsa_system_sgpr_workgroup_id_x 1
		.amdhsa_system_sgpr_workgroup_id_y 0
		.amdhsa_system_sgpr_workgroup_id_z 0
		.amdhsa_system_sgpr_workgroup_info 0
		.amdhsa_system_vgpr_workitem_id 0
		.amdhsa_next_free_vgpr 8
		.amdhsa_next_free_sgpr 23
		.amdhsa_reserve_vcc 1
		.amdhsa_reserve_flat_scratch 0
		.amdhsa_float_round_mode_32 0
		.amdhsa_float_round_mode_16_64 0
		.amdhsa_float_denorm_mode_32 3
		.amdhsa_float_denorm_mode_16_64 3
		.amdhsa_dx10_clamp 1
		.amdhsa_ieee_mode 1
		.amdhsa_fp16_overflow 0
		.amdhsa_workgroup_processor_mode 1
		.amdhsa_memory_ordered 1
		.amdhsa_forward_progress 1
		.amdhsa_shared_vgpr_count 0
		.amdhsa_exception_fp_ieee_invalid_op 0
		.amdhsa_exception_fp_denorm_src 0
		.amdhsa_exception_fp_ieee_div_zero 0
		.amdhsa_exception_fp_ieee_overflow 0
		.amdhsa_exception_fp_ieee_underflow 0
		.amdhsa_exception_fp_ieee_inexact 0
		.amdhsa_exception_int_div_zero 0
	.end_amdhsa_kernel
	.section	.text._ZN7rocprim17ROCPRIM_400000_NS6detail30init_device_scan_by_key_kernelINS1_19lookback_scan_stateINS0_5tupleIJlbEEELb1ELb0EEEPKljNS1_16block_id_wrapperIjLb0EEEEEvT_jjPNSB_10value_typeET0_PNSt15iterator_traitsISE_E10value_typeEmT1_T2_,"axG",@progbits,_ZN7rocprim17ROCPRIM_400000_NS6detail30init_device_scan_by_key_kernelINS1_19lookback_scan_stateINS0_5tupleIJlbEEELb1ELb0EEEPKljNS1_16block_id_wrapperIjLb0EEEEEvT_jjPNSB_10value_typeET0_PNSt15iterator_traitsISE_E10value_typeEmT1_T2_,comdat
.Lfunc_end114:
	.size	_ZN7rocprim17ROCPRIM_400000_NS6detail30init_device_scan_by_key_kernelINS1_19lookback_scan_stateINS0_5tupleIJlbEEELb1ELb0EEEPKljNS1_16block_id_wrapperIjLb0EEEEEvT_jjPNSB_10value_typeET0_PNSt15iterator_traitsISE_E10value_typeEmT1_T2_, .Lfunc_end114-_ZN7rocprim17ROCPRIM_400000_NS6detail30init_device_scan_by_key_kernelINS1_19lookback_scan_stateINS0_5tupleIJlbEEELb1ELb0EEEPKljNS1_16block_id_wrapperIjLb0EEEEEvT_jjPNSB_10value_typeET0_PNSt15iterator_traitsISE_E10value_typeEmT1_T2_
                                        ; -- End function
	.set _ZN7rocprim17ROCPRIM_400000_NS6detail30init_device_scan_by_key_kernelINS1_19lookback_scan_stateINS0_5tupleIJlbEEELb1ELb0EEEPKljNS1_16block_id_wrapperIjLb0EEEEEvT_jjPNSB_10value_typeET0_PNSt15iterator_traitsISE_E10value_typeEmT1_T2_.num_vgpr, 8
	.set _ZN7rocprim17ROCPRIM_400000_NS6detail30init_device_scan_by_key_kernelINS1_19lookback_scan_stateINS0_5tupleIJlbEEELb1ELb0EEEPKljNS1_16block_id_wrapperIjLb0EEEEEvT_jjPNSB_10value_typeET0_PNSt15iterator_traitsISE_E10value_typeEmT1_T2_.num_agpr, 0
	.set _ZN7rocprim17ROCPRIM_400000_NS6detail30init_device_scan_by_key_kernelINS1_19lookback_scan_stateINS0_5tupleIJlbEEELb1ELb0EEEPKljNS1_16block_id_wrapperIjLb0EEEEEvT_jjPNSB_10value_typeET0_PNSt15iterator_traitsISE_E10value_typeEmT1_T2_.numbered_sgpr, 23
	.set _ZN7rocprim17ROCPRIM_400000_NS6detail30init_device_scan_by_key_kernelINS1_19lookback_scan_stateINS0_5tupleIJlbEEELb1ELb0EEEPKljNS1_16block_id_wrapperIjLb0EEEEEvT_jjPNSB_10value_typeET0_PNSt15iterator_traitsISE_E10value_typeEmT1_T2_.num_named_barrier, 0
	.set _ZN7rocprim17ROCPRIM_400000_NS6detail30init_device_scan_by_key_kernelINS1_19lookback_scan_stateINS0_5tupleIJlbEEELb1ELb0EEEPKljNS1_16block_id_wrapperIjLb0EEEEEvT_jjPNSB_10value_typeET0_PNSt15iterator_traitsISE_E10value_typeEmT1_T2_.private_seg_size, 0
	.set _ZN7rocprim17ROCPRIM_400000_NS6detail30init_device_scan_by_key_kernelINS1_19lookback_scan_stateINS0_5tupleIJlbEEELb1ELb0EEEPKljNS1_16block_id_wrapperIjLb0EEEEEvT_jjPNSB_10value_typeET0_PNSt15iterator_traitsISE_E10value_typeEmT1_T2_.uses_vcc, 1
	.set _ZN7rocprim17ROCPRIM_400000_NS6detail30init_device_scan_by_key_kernelINS1_19lookback_scan_stateINS0_5tupleIJlbEEELb1ELb0EEEPKljNS1_16block_id_wrapperIjLb0EEEEEvT_jjPNSB_10value_typeET0_PNSt15iterator_traitsISE_E10value_typeEmT1_T2_.uses_flat_scratch, 0
	.set _ZN7rocprim17ROCPRIM_400000_NS6detail30init_device_scan_by_key_kernelINS1_19lookback_scan_stateINS0_5tupleIJlbEEELb1ELb0EEEPKljNS1_16block_id_wrapperIjLb0EEEEEvT_jjPNSB_10value_typeET0_PNSt15iterator_traitsISE_E10value_typeEmT1_T2_.has_dyn_sized_stack, 0
	.set _ZN7rocprim17ROCPRIM_400000_NS6detail30init_device_scan_by_key_kernelINS1_19lookback_scan_stateINS0_5tupleIJlbEEELb1ELb0EEEPKljNS1_16block_id_wrapperIjLb0EEEEEvT_jjPNSB_10value_typeET0_PNSt15iterator_traitsISE_E10value_typeEmT1_T2_.has_recursion, 0
	.set _ZN7rocprim17ROCPRIM_400000_NS6detail30init_device_scan_by_key_kernelINS1_19lookback_scan_stateINS0_5tupleIJlbEEELb1ELb0EEEPKljNS1_16block_id_wrapperIjLb0EEEEEvT_jjPNSB_10value_typeET0_PNSt15iterator_traitsISE_E10value_typeEmT1_T2_.has_indirect_call, 0
	.section	.AMDGPU.csdata,"",@progbits
; Kernel info:
; codeLenInByte = 664
; TotalNumSgprs: 25
; NumVgprs: 8
; ScratchSize: 0
; MemoryBound: 0
; FloatMode: 240
; IeeeMode: 1
; LDSByteSize: 0 bytes/workgroup (compile time only)
; SGPRBlocks: 0
; VGPRBlocks: 0
; NumSGPRsForWavesPerEU: 25
; NumVGPRsForWavesPerEU: 8
; Occupancy: 16
; WaveLimiterHint : 0
; COMPUTE_PGM_RSRC2:SCRATCH_EN: 0
; COMPUTE_PGM_RSRC2:USER_SGPR: 6
; COMPUTE_PGM_RSRC2:TRAP_HANDLER: 0
; COMPUTE_PGM_RSRC2:TGID_X_EN: 1
; COMPUTE_PGM_RSRC2:TGID_Y_EN: 0
; COMPUTE_PGM_RSRC2:TGID_Z_EN: 0
; COMPUTE_PGM_RSRC2:TIDIG_COMP_CNT: 0
	.section	.text._ZN7rocprim17ROCPRIM_400000_NS6detail30init_device_scan_by_key_kernelINS1_19lookback_scan_stateINS0_5tupleIJlbEEELb1ELb0EEENS1_16block_id_wrapperIjLb0EEEEEvT_jjPNS9_10value_typeET0_,"axG",@progbits,_ZN7rocprim17ROCPRIM_400000_NS6detail30init_device_scan_by_key_kernelINS1_19lookback_scan_stateINS0_5tupleIJlbEEELb1ELb0EEENS1_16block_id_wrapperIjLb0EEEEEvT_jjPNS9_10value_typeET0_,comdat
	.protected	_ZN7rocprim17ROCPRIM_400000_NS6detail30init_device_scan_by_key_kernelINS1_19lookback_scan_stateINS0_5tupleIJlbEEELb1ELb0EEENS1_16block_id_wrapperIjLb0EEEEEvT_jjPNS9_10value_typeET0_ ; -- Begin function _ZN7rocprim17ROCPRIM_400000_NS6detail30init_device_scan_by_key_kernelINS1_19lookback_scan_stateINS0_5tupleIJlbEEELb1ELb0EEENS1_16block_id_wrapperIjLb0EEEEEvT_jjPNS9_10value_typeET0_
	.globl	_ZN7rocprim17ROCPRIM_400000_NS6detail30init_device_scan_by_key_kernelINS1_19lookback_scan_stateINS0_5tupleIJlbEEELb1ELb0EEENS1_16block_id_wrapperIjLb0EEEEEvT_jjPNS9_10value_typeET0_
	.p2align	8
	.type	_ZN7rocprim17ROCPRIM_400000_NS6detail30init_device_scan_by_key_kernelINS1_19lookback_scan_stateINS0_5tupleIJlbEEELb1ELb0EEENS1_16block_id_wrapperIjLb0EEEEEvT_jjPNS9_10value_typeET0_,@function
_ZN7rocprim17ROCPRIM_400000_NS6detail30init_device_scan_by_key_kernelINS1_19lookback_scan_stateINS0_5tupleIJlbEEELb1ELb0EEENS1_16block_id_wrapperIjLb0EEEEEvT_jjPNS9_10value_typeET0_: ; @_ZN7rocprim17ROCPRIM_400000_NS6detail30init_device_scan_by_key_kernelINS1_19lookback_scan_stateINS0_5tupleIJlbEEELb1ELb0EEENS1_16block_id_wrapperIjLb0EEEEEvT_jjPNS9_10value_typeET0_
; %bb.0:
	s_clause 0x2
	s_load_dword s7, s[4:5], 0x3c
	s_load_dwordx2 s[8:9], s[4:5], 0x20
	s_load_dwordx4 s[0:3], s[4:5], 0x10
	s_waitcnt lgkmcnt(0)
	s_and_b32 s7, s7, 0xffff
	s_cmp_eq_u64 s[8:9], 0
	v_mad_u64_u32 v[0:1], null, s6, s7, v[0:1]
	s_cbranch_scc1 .LBB115_9
; %bb.1:
	s_cmp_lt_u32 s3, s2
	s_mov_b32 s11, 0
	s_cselect_b32 s6, s3, 0
	s_mov_b32 s14, exec_lo
	v_cmpx_eq_u32_e64 s6, v0
	s_cbranch_execz .LBB115_8
; %bb.2:
	s_add_i32 s10, s3, 32
	s_load_dwordx4 s[4:7], s[4:5], 0x0
	v_mov_b32_e32 v1, s10
	s_add_u32 s12, s0, s10
	s_addc_u32 s13, s1, 0
	global_load_ubyte v2, v1, s[0:1] glc dlc
	v_mov_b32_e32 v1, 0
	s_waitcnt vmcnt(0)
	v_cmp_ne_u32_sdwa s3, v2, v1 src0_sel:WORD_0 src1_sel:DWORD
	v_readfirstlane_b32 s15, v2
	s_and_b32 vcc_lo, exec_lo, s3
	s_cbranch_vccnz .LBB115_7
; %bb.3:
	s_mov_b32 s3, 1
.LBB115_4:                              ; =>This Loop Header: Depth=1
                                        ;     Child Loop BB115_5 Depth 2
	s_mov_b32 s15, s3
.LBB115_5:                              ;   Parent Loop BB115_4 Depth=1
                                        ; =>  This Inner Loop Header: Depth=2
	s_add_i32 s15, s15, -1
	s_sleep 1
	s_cmp_eq_u32 s15, 0
	s_cbranch_scc0 .LBB115_5
; %bb.6:                                ;   in Loop: Header=BB115_4 Depth=1
	global_load_ubyte v2, v1, s[12:13] glc dlc
	s_cmp_lt_u32 s3, 32
	s_cselect_b32 s15, -1, 0
	s_cmp_lg_u32 s15, 0
	s_addc_u32 s3, s3, 0
	s_waitcnt vmcnt(0)
	v_cmp_ne_u32_sdwa s16, v2, v1 src0_sel:WORD_0 src1_sel:DWORD
	v_readfirstlane_b32 s15, v2
	s_and_b32 vcc_lo, exec_lo, s16
	s_cbranch_vccz .LBB115_4
.LBB115_7:
	s_and_b32 s3, 0xffff, s15
	v_mov_b32_e32 v3, 0
	s_cmp_eq_u32 s3, 1
	s_waitcnt lgkmcnt(0)
	buffer_gl1_inv
	buffer_gl0_inv
	s_cselect_b32 s3, s5, s7
	s_cselect_b32 s6, s4, s6
	s_lshl_b64 s[4:5], s[10:11], 4
	s_add_u32 s4, s6, s4
	s_addc_u32 s5, s3, s5
	s_clause 0x1
	global_load_dwordx2 v[1:2], v3, s[4:5]
	global_load_ubyte v4, v3, s[4:5] offset:8
	s_waitcnt vmcnt(1)
	global_store_dwordx2 v3, v[1:2], s[8:9]
	s_waitcnt vmcnt(0)
	global_store_byte v3, v4, s[8:9] offset:8
.LBB115_8:
	s_or_b32 exec_lo, exec_lo, s14
.LBB115_9:
	v_cmp_gt_u32_e32 vcc_lo, s2, v0
	s_and_saveexec_b32 s2, vcc_lo
	s_cbranch_execz .LBB115_11
; %bb.10:
	v_add_nc_u32_e32 v1, 32, v0
	v_mov_b32_e32 v2, 0
	global_store_byte v1, v2, s[0:1]
.LBB115_11:
	s_or_b32 exec_lo, exec_lo, s2
	s_mov_b32 s2, exec_lo
	v_cmpx_gt_u32_e32 32, v0
	s_cbranch_execz .LBB115_13
; %bb.12:
	v_mov_b32_e32 v1, 0xff
	global_store_byte v0, v1, s[0:1]
.LBB115_13:
	s_endpgm
	.section	.rodata,"a",@progbits
	.p2align	6, 0x0
	.amdhsa_kernel _ZN7rocprim17ROCPRIM_400000_NS6detail30init_device_scan_by_key_kernelINS1_19lookback_scan_stateINS0_5tupleIJlbEEELb1ELb0EEENS1_16block_id_wrapperIjLb0EEEEEvT_jjPNS9_10value_typeET0_
		.amdhsa_group_segment_fixed_size 0
		.amdhsa_private_segment_fixed_size 0
		.amdhsa_kernarg_size 304
		.amdhsa_user_sgpr_count 6
		.amdhsa_user_sgpr_private_segment_buffer 1
		.amdhsa_user_sgpr_dispatch_ptr 0
		.amdhsa_user_sgpr_queue_ptr 0
		.amdhsa_user_sgpr_kernarg_segment_ptr 1
		.amdhsa_user_sgpr_dispatch_id 0
		.amdhsa_user_sgpr_flat_scratch_init 0
		.amdhsa_user_sgpr_private_segment_size 0
		.amdhsa_wavefront_size32 1
		.amdhsa_uses_dynamic_stack 0
		.amdhsa_system_sgpr_private_segment_wavefront_offset 0
		.amdhsa_system_sgpr_workgroup_id_x 1
		.amdhsa_system_sgpr_workgroup_id_y 0
		.amdhsa_system_sgpr_workgroup_id_z 0
		.amdhsa_system_sgpr_workgroup_info 0
		.amdhsa_system_vgpr_workitem_id 0
		.amdhsa_next_free_vgpr 5
		.amdhsa_next_free_sgpr 17
		.amdhsa_reserve_vcc 1
		.amdhsa_reserve_flat_scratch 0
		.amdhsa_float_round_mode_32 0
		.amdhsa_float_round_mode_16_64 0
		.amdhsa_float_denorm_mode_32 3
		.amdhsa_float_denorm_mode_16_64 3
		.amdhsa_dx10_clamp 1
		.amdhsa_ieee_mode 1
		.amdhsa_fp16_overflow 0
		.amdhsa_workgroup_processor_mode 1
		.amdhsa_memory_ordered 1
		.amdhsa_forward_progress 1
		.amdhsa_shared_vgpr_count 0
		.amdhsa_exception_fp_ieee_invalid_op 0
		.amdhsa_exception_fp_denorm_src 0
		.amdhsa_exception_fp_ieee_div_zero 0
		.amdhsa_exception_fp_ieee_overflow 0
		.amdhsa_exception_fp_ieee_underflow 0
		.amdhsa_exception_fp_ieee_inexact 0
		.amdhsa_exception_int_div_zero 0
	.end_amdhsa_kernel
	.section	.text._ZN7rocprim17ROCPRIM_400000_NS6detail30init_device_scan_by_key_kernelINS1_19lookback_scan_stateINS0_5tupleIJlbEEELb1ELb0EEENS1_16block_id_wrapperIjLb0EEEEEvT_jjPNS9_10value_typeET0_,"axG",@progbits,_ZN7rocprim17ROCPRIM_400000_NS6detail30init_device_scan_by_key_kernelINS1_19lookback_scan_stateINS0_5tupleIJlbEEELb1ELb0EEENS1_16block_id_wrapperIjLb0EEEEEvT_jjPNS9_10value_typeET0_,comdat
.Lfunc_end115:
	.size	_ZN7rocprim17ROCPRIM_400000_NS6detail30init_device_scan_by_key_kernelINS1_19lookback_scan_stateINS0_5tupleIJlbEEELb1ELb0EEENS1_16block_id_wrapperIjLb0EEEEEvT_jjPNS9_10value_typeET0_, .Lfunc_end115-_ZN7rocprim17ROCPRIM_400000_NS6detail30init_device_scan_by_key_kernelINS1_19lookback_scan_stateINS0_5tupleIJlbEEELb1ELb0EEENS1_16block_id_wrapperIjLb0EEEEEvT_jjPNS9_10value_typeET0_
                                        ; -- End function
	.set _ZN7rocprim17ROCPRIM_400000_NS6detail30init_device_scan_by_key_kernelINS1_19lookback_scan_stateINS0_5tupleIJlbEEELb1ELb0EEENS1_16block_id_wrapperIjLb0EEEEEvT_jjPNS9_10value_typeET0_.num_vgpr, 5
	.set _ZN7rocprim17ROCPRIM_400000_NS6detail30init_device_scan_by_key_kernelINS1_19lookback_scan_stateINS0_5tupleIJlbEEELb1ELb0EEENS1_16block_id_wrapperIjLb0EEEEEvT_jjPNS9_10value_typeET0_.num_agpr, 0
	.set _ZN7rocprim17ROCPRIM_400000_NS6detail30init_device_scan_by_key_kernelINS1_19lookback_scan_stateINS0_5tupleIJlbEEELb1ELb0EEENS1_16block_id_wrapperIjLb0EEEEEvT_jjPNS9_10value_typeET0_.numbered_sgpr, 17
	.set _ZN7rocprim17ROCPRIM_400000_NS6detail30init_device_scan_by_key_kernelINS1_19lookback_scan_stateINS0_5tupleIJlbEEELb1ELb0EEENS1_16block_id_wrapperIjLb0EEEEEvT_jjPNS9_10value_typeET0_.num_named_barrier, 0
	.set _ZN7rocprim17ROCPRIM_400000_NS6detail30init_device_scan_by_key_kernelINS1_19lookback_scan_stateINS0_5tupleIJlbEEELb1ELb0EEENS1_16block_id_wrapperIjLb0EEEEEvT_jjPNS9_10value_typeET0_.private_seg_size, 0
	.set _ZN7rocprim17ROCPRIM_400000_NS6detail30init_device_scan_by_key_kernelINS1_19lookback_scan_stateINS0_5tupleIJlbEEELb1ELb0EEENS1_16block_id_wrapperIjLb0EEEEEvT_jjPNS9_10value_typeET0_.uses_vcc, 1
	.set _ZN7rocprim17ROCPRIM_400000_NS6detail30init_device_scan_by_key_kernelINS1_19lookback_scan_stateINS0_5tupleIJlbEEELb1ELb0EEENS1_16block_id_wrapperIjLb0EEEEEvT_jjPNS9_10value_typeET0_.uses_flat_scratch, 0
	.set _ZN7rocprim17ROCPRIM_400000_NS6detail30init_device_scan_by_key_kernelINS1_19lookback_scan_stateINS0_5tupleIJlbEEELb1ELb0EEENS1_16block_id_wrapperIjLb0EEEEEvT_jjPNS9_10value_typeET0_.has_dyn_sized_stack, 0
	.set _ZN7rocprim17ROCPRIM_400000_NS6detail30init_device_scan_by_key_kernelINS1_19lookback_scan_stateINS0_5tupleIJlbEEELb1ELb0EEENS1_16block_id_wrapperIjLb0EEEEEvT_jjPNS9_10value_typeET0_.has_recursion, 0
	.set _ZN7rocprim17ROCPRIM_400000_NS6detail30init_device_scan_by_key_kernelINS1_19lookback_scan_stateINS0_5tupleIJlbEEELb1ELb0EEENS1_16block_id_wrapperIjLb0EEEEEvT_jjPNS9_10value_typeET0_.has_indirect_call, 0
	.section	.AMDGPU.csdata,"",@progbits
; Kernel info:
; codeLenInByte = 384
; TotalNumSgprs: 19
; NumVgprs: 5
; ScratchSize: 0
; MemoryBound: 0
; FloatMode: 240
; IeeeMode: 1
; LDSByteSize: 0 bytes/workgroup (compile time only)
; SGPRBlocks: 0
; VGPRBlocks: 0
; NumSGPRsForWavesPerEU: 19
; NumVGPRsForWavesPerEU: 5
; Occupancy: 16
; WaveLimiterHint : 0
; COMPUTE_PGM_RSRC2:SCRATCH_EN: 0
; COMPUTE_PGM_RSRC2:USER_SGPR: 6
; COMPUTE_PGM_RSRC2:TRAP_HANDLER: 0
; COMPUTE_PGM_RSRC2:TGID_X_EN: 1
; COMPUTE_PGM_RSRC2:TGID_Y_EN: 0
; COMPUTE_PGM_RSRC2:TGID_Z_EN: 0
; COMPUTE_PGM_RSRC2:TIDIG_COMP_CNT: 0
	.section	.text._ZN7rocprim17ROCPRIM_400000_NS6detail17trampoline_kernelINS0_14default_configENS1_27scan_by_key_config_selectorIllEEZZNS1_16scan_by_key_implILNS1_25lookback_scan_determinismE0ELb0ES3_PKlN6hipcub16HIPCUB_304000_NS21ConstantInputIteratorIllEEPllNSB_3SumENSB_8EqualityElEE10hipError_tPvRmT2_T3_T4_T5_mT6_T7_P12ihipStream_tbENKUlT_T0_E_clISt17integral_constantIbLb1EESW_IbLb0EEEEDaSS_ST_EUlSS_E_NS1_11comp_targetILNS1_3genE0ELNS1_11target_archE4294967295ELNS1_3gpuE0ELNS1_3repE0EEENS1_30default_config_static_selectorELNS0_4arch9wavefront6targetE0EEEvT1_,"axG",@progbits,_ZN7rocprim17ROCPRIM_400000_NS6detail17trampoline_kernelINS0_14default_configENS1_27scan_by_key_config_selectorIllEEZZNS1_16scan_by_key_implILNS1_25lookback_scan_determinismE0ELb0ES3_PKlN6hipcub16HIPCUB_304000_NS21ConstantInputIteratorIllEEPllNSB_3SumENSB_8EqualityElEE10hipError_tPvRmT2_T3_T4_T5_mT6_T7_P12ihipStream_tbENKUlT_T0_E_clISt17integral_constantIbLb1EESW_IbLb0EEEEDaSS_ST_EUlSS_E_NS1_11comp_targetILNS1_3genE0ELNS1_11target_archE4294967295ELNS1_3gpuE0ELNS1_3repE0EEENS1_30default_config_static_selectorELNS0_4arch9wavefront6targetE0EEEvT1_,comdat
	.protected	_ZN7rocprim17ROCPRIM_400000_NS6detail17trampoline_kernelINS0_14default_configENS1_27scan_by_key_config_selectorIllEEZZNS1_16scan_by_key_implILNS1_25lookback_scan_determinismE0ELb0ES3_PKlN6hipcub16HIPCUB_304000_NS21ConstantInputIteratorIllEEPllNSB_3SumENSB_8EqualityElEE10hipError_tPvRmT2_T3_T4_T5_mT6_T7_P12ihipStream_tbENKUlT_T0_E_clISt17integral_constantIbLb1EESW_IbLb0EEEEDaSS_ST_EUlSS_E_NS1_11comp_targetILNS1_3genE0ELNS1_11target_archE4294967295ELNS1_3gpuE0ELNS1_3repE0EEENS1_30default_config_static_selectorELNS0_4arch9wavefront6targetE0EEEvT1_ ; -- Begin function _ZN7rocprim17ROCPRIM_400000_NS6detail17trampoline_kernelINS0_14default_configENS1_27scan_by_key_config_selectorIllEEZZNS1_16scan_by_key_implILNS1_25lookback_scan_determinismE0ELb0ES3_PKlN6hipcub16HIPCUB_304000_NS21ConstantInputIteratorIllEEPllNSB_3SumENSB_8EqualityElEE10hipError_tPvRmT2_T3_T4_T5_mT6_T7_P12ihipStream_tbENKUlT_T0_E_clISt17integral_constantIbLb1EESW_IbLb0EEEEDaSS_ST_EUlSS_E_NS1_11comp_targetILNS1_3genE0ELNS1_11target_archE4294967295ELNS1_3gpuE0ELNS1_3repE0EEENS1_30default_config_static_selectorELNS0_4arch9wavefront6targetE0EEEvT1_
	.globl	_ZN7rocprim17ROCPRIM_400000_NS6detail17trampoline_kernelINS0_14default_configENS1_27scan_by_key_config_selectorIllEEZZNS1_16scan_by_key_implILNS1_25lookback_scan_determinismE0ELb0ES3_PKlN6hipcub16HIPCUB_304000_NS21ConstantInputIteratorIllEEPllNSB_3SumENSB_8EqualityElEE10hipError_tPvRmT2_T3_T4_T5_mT6_T7_P12ihipStream_tbENKUlT_T0_E_clISt17integral_constantIbLb1EESW_IbLb0EEEEDaSS_ST_EUlSS_E_NS1_11comp_targetILNS1_3genE0ELNS1_11target_archE4294967295ELNS1_3gpuE0ELNS1_3repE0EEENS1_30default_config_static_selectorELNS0_4arch9wavefront6targetE0EEEvT1_
	.p2align	8
	.type	_ZN7rocprim17ROCPRIM_400000_NS6detail17trampoline_kernelINS0_14default_configENS1_27scan_by_key_config_selectorIllEEZZNS1_16scan_by_key_implILNS1_25lookback_scan_determinismE0ELb0ES3_PKlN6hipcub16HIPCUB_304000_NS21ConstantInputIteratorIllEEPllNSB_3SumENSB_8EqualityElEE10hipError_tPvRmT2_T3_T4_T5_mT6_T7_P12ihipStream_tbENKUlT_T0_E_clISt17integral_constantIbLb1EESW_IbLb0EEEEDaSS_ST_EUlSS_E_NS1_11comp_targetILNS1_3genE0ELNS1_11target_archE4294967295ELNS1_3gpuE0ELNS1_3repE0EEENS1_30default_config_static_selectorELNS0_4arch9wavefront6targetE0EEEvT1_,@function
_ZN7rocprim17ROCPRIM_400000_NS6detail17trampoline_kernelINS0_14default_configENS1_27scan_by_key_config_selectorIllEEZZNS1_16scan_by_key_implILNS1_25lookback_scan_determinismE0ELb0ES3_PKlN6hipcub16HIPCUB_304000_NS21ConstantInputIteratorIllEEPllNSB_3SumENSB_8EqualityElEE10hipError_tPvRmT2_T3_T4_T5_mT6_T7_P12ihipStream_tbENKUlT_T0_E_clISt17integral_constantIbLb1EESW_IbLb0EEEEDaSS_ST_EUlSS_E_NS1_11comp_targetILNS1_3genE0ELNS1_11target_archE4294967295ELNS1_3gpuE0ELNS1_3repE0EEENS1_30default_config_static_selectorELNS0_4arch9wavefront6targetE0EEEvT1_: ; @_ZN7rocprim17ROCPRIM_400000_NS6detail17trampoline_kernelINS0_14default_configENS1_27scan_by_key_config_selectorIllEEZZNS1_16scan_by_key_implILNS1_25lookback_scan_determinismE0ELb0ES3_PKlN6hipcub16HIPCUB_304000_NS21ConstantInputIteratorIllEEPllNSB_3SumENSB_8EqualityElEE10hipError_tPvRmT2_T3_T4_T5_mT6_T7_P12ihipStream_tbENKUlT_T0_E_clISt17integral_constantIbLb1EESW_IbLb0EEEEDaSS_ST_EUlSS_E_NS1_11comp_targetILNS1_3genE0ELNS1_11target_archE4294967295ELNS1_3gpuE0ELNS1_3repE0EEENS1_30default_config_static_selectorELNS0_4arch9wavefront6targetE0EEEvT1_
; %bb.0:
	.section	.rodata,"a",@progbits
	.p2align	6, 0x0
	.amdhsa_kernel _ZN7rocprim17ROCPRIM_400000_NS6detail17trampoline_kernelINS0_14default_configENS1_27scan_by_key_config_selectorIllEEZZNS1_16scan_by_key_implILNS1_25lookback_scan_determinismE0ELb0ES3_PKlN6hipcub16HIPCUB_304000_NS21ConstantInputIteratorIllEEPllNSB_3SumENSB_8EqualityElEE10hipError_tPvRmT2_T3_T4_T5_mT6_T7_P12ihipStream_tbENKUlT_T0_E_clISt17integral_constantIbLb1EESW_IbLb0EEEEDaSS_ST_EUlSS_E_NS1_11comp_targetILNS1_3genE0ELNS1_11target_archE4294967295ELNS1_3gpuE0ELNS1_3repE0EEENS1_30default_config_static_selectorELNS0_4arch9wavefront6targetE0EEEvT1_
		.amdhsa_group_segment_fixed_size 0
		.amdhsa_private_segment_fixed_size 0
		.amdhsa_kernarg_size 144
		.amdhsa_user_sgpr_count 6
		.amdhsa_user_sgpr_private_segment_buffer 1
		.amdhsa_user_sgpr_dispatch_ptr 0
		.amdhsa_user_sgpr_queue_ptr 0
		.amdhsa_user_sgpr_kernarg_segment_ptr 1
		.amdhsa_user_sgpr_dispatch_id 0
		.amdhsa_user_sgpr_flat_scratch_init 0
		.amdhsa_user_sgpr_private_segment_size 0
		.amdhsa_wavefront_size32 1
		.amdhsa_uses_dynamic_stack 0
		.amdhsa_system_sgpr_private_segment_wavefront_offset 0
		.amdhsa_system_sgpr_workgroup_id_x 1
		.amdhsa_system_sgpr_workgroup_id_y 0
		.amdhsa_system_sgpr_workgroup_id_z 0
		.amdhsa_system_sgpr_workgroup_info 0
		.amdhsa_system_vgpr_workitem_id 0
		.amdhsa_next_free_vgpr 1
		.amdhsa_next_free_sgpr 1
		.amdhsa_reserve_vcc 0
		.amdhsa_reserve_flat_scratch 0
		.amdhsa_float_round_mode_32 0
		.amdhsa_float_round_mode_16_64 0
		.amdhsa_float_denorm_mode_32 3
		.amdhsa_float_denorm_mode_16_64 3
		.amdhsa_dx10_clamp 1
		.amdhsa_ieee_mode 1
		.amdhsa_fp16_overflow 0
		.amdhsa_workgroup_processor_mode 1
		.amdhsa_memory_ordered 1
		.amdhsa_forward_progress 1
		.amdhsa_shared_vgpr_count 0
		.amdhsa_exception_fp_ieee_invalid_op 0
		.amdhsa_exception_fp_denorm_src 0
		.amdhsa_exception_fp_ieee_div_zero 0
		.amdhsa_exception_fp_ieee_overflow 0
		.amdhsa_exception_fp_ieee_underflow 0
		.amdhsa_exception_fp_ieee_inexact 0
		.amdhsa_exception_int_div_zero 0
	.end_amdhsa_kernel
	.section	.text._ZN7rocprim17ROCPRIM_400000_NS6detail17trampoline_kernelINS0_14default_configENS1_27scan_by_key_config_selectorIllEEZZNS1_16scan_by_key_implILNS1_25lookback_scan_determinismE0ELb0ES3_PKlN6hipcub16HIPCUB_304000_NS21ConstantInputIteratorIllEEPllNSB_3SumENSB_8EqualityElEE10hipError_tPvRmT2_T3_T4_T5_mT6_T7_P12ihipStream_tbENKUlT_T0_E_clISt17integral_constantIbLb1EESW_IbLb0EEEEDaSS_ST_EUlSS_E_NS1_11comp_targetILNS1_3genE0ELNS1_11target_archE4294967295ELNS1_3gpuE0ELNS1_3repE0EEENS1_30default_config_static_selectorELNS0_4arch9wavefront6targetE0EEEvT1_,"axG",@progbits,_ZN7rocprim17ROCPRIM_400000_NS6detail17trampoline_kernelINS0_14default_configENS1_27scan_by_key_config_selectorIllEEZZNS1_16scan_by_key_implILNS1_25lookback_scan_determinismE0ELb0ES3_PKlN6hipcub16HIPCUB_304000_NS21ConstantInputIteratorIllEEPllNSB_3SumENSB_8EqualityElEE10hipError_tPvRmT2_T3_T4_T5_mT6_T7_P12ihipStream_tbENKUlT_T0_E_clISt17integral_constantIbLb1EESW_IbLb0EEEEDaSS_ST_EUlSS_E_NS1_11comp_targetILNS1_3genE0ELNS1_11target_archE4294967295ELNS1_3gpuE0ELNS1_3repE0EEENS1_30default_config_static_selectorELNS0_4arch9wavefront6targetE0EEEvT1_,comdat
.Lfunc_end116:
	.size	_ZN7rocprim17ROCPRIM_400000_NS6detail17trampoline_kernelINS0_14default_configENS1_27scan_by_key_config_selectorIllEEZZNS1_16scan_by_key_implILNS1_25lookback_scan_determinismE0ELb0ES3_PKlN6hipcub16HIPCUB_304000_NS21ConstantInputIteratorIllEEPllNSB_3SumENSB_8EqualityElEE10hipError_tPvRmT2_T3_T4_T5_mT6_T7_P12ihipStream_tbENKUlT_T0_E_clISt17integral_constantIbLb1EESW_IbLb0EEEEDaSS_ST_EUlSS_E_NS1_11comp_targetILNS1_3genE0ELNS1_11target_archE4294967295ELNS1_3gpuE0ELNS1_3repE0EEENS1_30default_config_static_selectorELNS0_4arch9wavefront6targetE0EEEvT1_, .Lfunc_end116-_ZN7rocprim17ROCPRIM_400000_NS6detail17trampoline_kernelINS0_14default_configENS1_27scan_by_key_config_selectorIllEEZZNS1_16scan_by_key_implILNS1_25lookback_scan_determinismE0ELb0ES3_PKlN6hipcub16HIPCUB_304000_NS21ConstantInputIteratorIllEEPllNSB_3SumENSB_8EqualityElEE10hipError_tPvRmT2_T3_T4_T5_mT6_T7_P12ihipStream_tbENKUlT_T0_E_clISt17integral_constantIbLb1EESW_IbLb0EEEEDaSS_ST_EUlSS_E_NS1_11comp_targetILNS1_3genE0ELNS1_11target_archE4294967295ELNS1_3gpuE0ELNS1_3repE0EEENS1_30default_config_static_selectorELNS0_4arch9wavefront6targetE0EEEvT1_
                                        ; -- End function
	.set _ZN7rocprim17ROCPRIM_400000_NS6detail17trampoline_kernelINS0_14default_configENS1_27scan_by_key_config_selectorIllEEZZNS1_16scan_by_key_implILNS1_25lookback_scan_determinismE0ELb0ES3_PKlN6hipcub16HIPCUB_304000_NS21ConstantInputIteratorIllEEPllNSB_3SumENSB_8EqualityElEE10hipError_tPvRmT2_T3_T4_T5_mT6_T7_P12ihipStream_tbENKUlT_T0_E_clISt17integral_constantIbLb1EESW_IbLb0EEEEDaSS_ST_EUlSS_E_NS1_11comp_targetILNS1_3genE0ELNS1_11target_archE4294967295ELNS1_3gpuE0ELNS1_3repE0EEENS1_30default_config_static_selectorELNS0_4arch9wavefront6targetE0EEEvT1_.num_vgpr, 0
	.set _ZN7rocprim17ROCPRIM_400000_NS6detail17trampoline_kernelINS0_14default_configENS1_27scan_by_key_config_selectorIllEEZZNS1_16scan_by_key_implILNS1_25lookback_scan_determinismE0ELb0ES3_PKlN6hipcub16HIPCUB_304000_NS21ConstantInputIteratorIllEEPllNSB_3SumENSB_8EqualityElEE10hipError_tPvRmT2_T3_T4_T5_mT6_T7_P12ihipStream_tbENKUlT_T0_E_clISt17integral_constantIbLb1EESW_IbLb0EEEEDaSS_ST_EUlSS_E_NS1_11comp_targetILNS1_3genE0ELNS1_11target_archE4294967295ELNS1_3gpuE0ELNS1_3repE0EEENS1_30default_config_static_selectorELNS0_4arch9wavefront6targetE0EEEvT1_.num_agpr, 0
	.set _ZN7rocprim17ROCPRIM_400000_NS6detail17trampoline_kernelINS0_14default_configENS1_27scan_by_key_config_selectorIllEEZZNS1_16scan_by_key_implILNS1_25lookback_scan_determinismE0ELb0ES3_PKlN6hipcub16HIPCUB_304000_NS21ConstantInputIteratorIllEEPllNSB_3SumENSB_8EqualityElEE10hipError_tPvRmT2_T3_T4_T5_mT6_T7_P12ihipStream_tbENKUlT_T0_E_clISt17integral_constantIbLb1EESW_IbLb0EEEEDaSS_ST_EUlSS_E_NS1_11comp_targetILNS1_3genE0ELNS1_11target_archE4294967295ELNS1_3gpuE0ELNS1_3repE0EEENS1_30default_config_static_selectorELNS0_4arch9wavefront6targetE0EEEvT1_.numbered_sgpr, 0
	.set _ZN7rocprim17ROCPRIM_400000_NS6detail17trampoline_kernelINS0_14default_configENS1_27scan_by_key_config_selectorIllEEZZNS1_16scan_by_key_implILNS1_25lookback_scan_determinismE0ELb0ES3_PKlN6hipcub16HIPCUB_304000_NS21ConstantInputIteratorIllEEPllNSB_3SumENSB_8EqualityElEE10hipError_tPvRmT2_T3_T4_T5_mT6_T7_P12ihipStream_tbENKUlT_T0_E_clISt17integral_constantIbLb1EESW_IbLb0EEEEDaSS_ST_EUlSS_E_NS1_11comp_targetILNS1_3genE0ELNS1_11target_archE4294967295ELNS1_3gpuE0ELNS1_3repE0EEENS1_30default_config_static_selectorELNS0_4arch9wavefront6targetE0EEEvT1_.num_named_barrier, 0
	.set _ZN7rocprim17ROCPRIM_400000_NS6detail17trampoline_kernelINS0_14default_configENS1_27scan_by_key_config_selectorIllEEZZNS1_16scan_by_key_implILNS1_25lookback_scan_determinismE0ELb0ES3_PKlN6hipcub16HIPCUB_304000_NS21ConstantInputIteratorIllEEPllNSB_3SumENSB_8EqualityElEE10hipError_tPvRmT2_T3_T4_T5_mT6_T7_P12ihipStream_tbENKUlT_T0_E_clISt17integral_constantIbLb1EESW_IbLb0EEEEDaSS_ST_EUlSS_E_NS1_11comp_targetILNS1_3genE0ELNS1_11target_archE4294967295ELNS1_3gpuE0ELNS1_3repE0EEENS1_30default_config_static_selectorELNS0_4arch9wavefront6targetE0EEEvT1_.private_seg_size, 0
	.set _ZN7rocprim17ROCPRIM_400000_NS6detail17trampoline_kernelINS0_14default_configENS1_27scan_by_key_config_selectorIllEEZZNS1_16scan_by_key_implILNS1_25lookback_scan_determinismE0ELb0ES3_PKlN6hipcub16HIPCUB_304000_NS21ConstantInputIteratorIllEEPllNSB_3SumENSB_8EqualityElEE10hipError_tPvRmT2_T3_T4_T5_mT6_T7_P12ihipStream_tbENKUlT_T0_E_clISt17integral_constantIbLb1EESW_IbLb0EEEEDaSS_ST_EUlSS_E_NS1_11comp_targetILNS1_3genE0ELNS1_11target_archE4294967295ELNS1_3gpuE0ELNS1_3repE0EEENS1_30default_config_static_selectorELNS0_4arch9wavefront6targetE0EEEvT1_.uses_vcc, 0
	.set _ZN7rocprim17ROCPRIM_400000_NS6detail17trampoline_kernelINS0_14default_configENS1_27scan_by_key_config_selectorIllEEZZNS1_16scan_by_key_implILNS1_25lookback_scan_determinismE0ELb0ES3_PKlN6hipcub16HIPCUB_304000_NS21ConstantInputIteratorIllEEPllNSB_3SumENSB_8EqualityElEE10hipError_tPvRmT2_T3_T4_T5_mT6_T7_P12ihipStream_tbENKUlT_T0_E_clISt17integral_constantIbLb1EESW_IbLb0EEEEDaSS_ST_EUlSS_E_NS1_11comp_targetILNS1_3genE0ELNS1_11target_archE4294967295ELNS1_3gpuE0ELNS1_3repE0EEENS1_30default_config_static_selectorELNS0_4arch9wavefront6targetE0EEEvT1_.uses_flat_scratch, 0
	.set _ZN7rocprim17ROCPRIM_400000_NS6detail17trampoline_kernelINS0_14default_configENS1_27scan_by_key_config_selectorIllEEZZNS1_16scan_by_key_implILNS1_25lookback_scan_determinismE0ELb0ES3_PKlN6hipcub16HIPCUB_304000_NS21ConstantInputIteratorIllEEPllNSB_3SumENSB_8EqualityElEE10hipError_tPvRmT2_T3_T4_T5_mT6_T7_P12ihipStream_tbENKUlT_T0_E_clISt17integral_constantIbLb1EESW_IbLb0EEEEDaSS_ST_EUlSS_E_NS1_11comp_targetILNS1_3genE0ELNS1_11target_archE4294967295ELNS1_3gpuE0ELNS1_3repE0EEENS1_30default_config_static_selectorELNS0_4arch9wavefront6targetE0EEEvT1_.has_dyn_sized_stack, 0
	.set _ZN7rocprim17ROCPRIM_400000_NS6detail17trampoline_kernelINS0_14default_configENS1_27scan_by_key_config_selectorIllEEZZNS1_16scan_by_key_implILNS1_25lookback_scan_determinismE0ELb0ES3_PKlN6hipcub16HIPCUB_304000_NS21ConstantInputIteratorIllEEPllNSB_3SumENSB_8EqualityElEE10hipError_tPvRmT2_T3_T4_T5_mT6_T7_P12ihipStream_tbENKUlT_T0_E_clISt17integral_constantIbLb1EESW_IbLb0EEEEDaSS_ST_EUlSS_E_NS1_11comp_targetILNS1_3genE0ELNS1_11target_archE4294967295ELNS1_3gpuE0ELNS1_3repE0EEENS1_30default_config_static_selectorELNS0_4arch9wavefront6targetE0EEEvT1_.has_recursion, 0
	.set _ZN7rocprim17ROCPRIM_400000_NS6detail17trampoline_kernelINS0_14default_configENS1_27scan_by_key_config_selectorIllEEZZNS1_16scan_by_key_implILNS1_25lookback_scan_determinismE0ELb0ES3_PKlN6hipcub16HIPCUB_304000_NS21ConstantInputIteratorIllEEPllNSB_3SumENSB_8EqualityElEE10hipError_tPvRmT2_T3_T4_T5_mT6_T7_P12ihipStream_tbENKUlT_T0_E_clISt17integral_constantIbLb1EESW_IbLb0EEEEDaSS_ST_EUlSS_E_NS1_11comp_targetILNS1_3genE0ELNS1_11target_archE4294967295ELNS1_3gpuE0ELNS1_3repE0EEENS1_30default_config_static_selectorELNS0_4arch9wavefront6targetE0EEEvT1_.has_indirect_call, 0
	.section	.AMDGPU.csdata,"",@progbits
; Kernel info:
; codeLenInByte = 0
; TotalNumSgprs: 0
; NumVgprs: 0
; ScratchSize: 0
; MemoryBound: 0
; FloatMode: 240
; IeeeMode: 1
; LDSByteSize: 0 bytes/workgroup (compile time only)
; SGPRBlocks: 0
; VGPRBlocks: 0
; NumSGPRsForWavesPerEU: 1
; NumVGPRsForWavesPerEU: 1
; Occupancy: 16
; WaveLimiterHint : 0
; COMPUTE_PGM_RSRC2:SCRATCH_EN: 0
; COMPUTE_PGM_RSRC2:USER_SGPR: 6
; COMPUTE_PGM_RSRC2:TRAP_HANDLER: 0
; COMPUTE_PGM_RSRC2:TGID_X_EN: 1
; COMPUTE_PGM_RSRC2:TGID_Y_EN: 0
; COMPUTE_PGM_RSRC2:TGID_Z_EN: 0
; COMPUTE_PGM_RSRC2:TIDIG_COMP_CNT: 0
	.section	.text._ZN7rocprim17ROCPRIM_400000_NS6detail17trampoline_kernelINS0_14default_configENS1_27scan_by_key_config_selectorIllEEZZNS1_16scan_by_key_implILNS1_25lookback_scan_determinismE0ELb0ES3_PKlN6hipcub16HIPCUB_304000_NS21ConstantInputIteratorIllEEPllNSB_3SumENSB_8EqualityElEE10hipError_tPvRmT2_T3_T4_T5_mT6_T7_P12ihipStream_tbENKUlT_T0_E_clISt17integral_constantIbLb1EESW_IbLb0EEEEDaSS_ST_EUlSS_E_NS1_11comp_targetILNS1_3genE10ELNS1_11target_archE1201ELNS1_3gpuE5ELNS1_3repE0EEENS1_30default_config_static_selectorELNS0_4arch9wavefront6targetE0EEEvT1_,"axG",@progbits,_ZN7rocprim17ROCPRIM_400000_NS6detail17trampoline_kernelINS0_14default_configENS1_27scan_by_key_config_selectorIllEEZZNS1_16scan_by_key_implILNS1_25lookback_scan_determinismE0ELb0ES3_PKlN6hipcub16HIPCUB_304000_NS21ConstantInputIteratorIllEEPllNSB_3SumENSB_8EqualityElEE10hipError_tPvRmT2_T3_T4_T5_mT6_T7_P12ihipStream_tbENKUlT_T0_E_clISt17integral_constantIbLb1EESW_IbLb0EEEEDaSS_ST_EUlSS_E_NS1_11comp_targetILNS1_3genE10ELNS1_11target_archE1201ELNS1_3gpuE5ELNS1_3repE0EEENS1_30default_config_static_selectorELNS0_4arch9wavefront6targetE0EEEvT1_,comdat
	.protected	_ZN7rocprim17ROCPRIM_400000_NS6detail17trampoline_kernelINS0_14default_configENS1_27scan_by_key_config_selectorIllEEZZNS1_16scan_by_key_implILNS1_25lookback_scan_determinismE0ELb0ES3_PKlN6hipcub16HIPCUB_304000_NS21ConstantInputIteratorIllEEPllNSB_3SumENSB_8EqualityElEE10hipError_tPvRmT2_T3_T4_T5_mT6_T7_P12ihipStream_tbENKUlT_T0_E_clISt17integral_constantIbLb1EESW_IbLb0EEEEDaSS_ST_EUlSS_E_NS1_11comp_targetILNS1_3genE10ELNS1_11target_archE1201ELNS1_3gpuE5ELNS1_3repE0EEENS1_30default_config_static_selectorELNS0_4arch9wavefront6targetE0EEEvT1_ ; -- Begin function _ZN7rocprim17ROCPRIM_400000_NS6detail17trampoline_kernelINS0_14default_configENS1_27scan_by_key_config_selectorIllEEZZNS1_16scan_by_key_implILNS1_25lookback_scan_determinismE0ELb0ES3_PKlN6hipcub16HIPCUB_304000_NS21ConstantInputIteratorIllEEPllNSB_3SumENSB_8EqualityElEE10hipError_tPvRmT2_T3_T4_T5_mT6_T7_P12ihipStream_tbENKUlT_T0_E_clISt17integral_constantIbLb1EESW_IbLb0EEEEDaSS_ST_EUlSS_E_NS1_11comp_targetILNS1_3genE10ELNS1_11target_archE1201ELNS1_3gpuE5ELNS1_3repE0EEENS1_30default_config_static_selectorELNS0_4arch9wavefront6targetE0EEEvT1_
	.globl	_ZN7rocprim17ROCPRIM_400000_NS6detail17trampoline_kernelINS0_14default_configENS1_27scan_by_key_config_selectorIllEEZZNS1_16scan_by_key_implILNS1_25lookback_scan_determinismE0ELb0ES3_PKlN6hipcub16HIPCUB_304000_NS21ConstantInputIteratorIllEEPllNSB_3SumENSB_8EqualityElEE10hipError_tPvRmT2_T3_T4_T5_mT6_T7_P12ihipStream_tbENKUlT_T0_E_clISt17integral_constantIbLb1EESW_IbLb0EEEEDaSS_ST_EUlSS_E_NS1_11comp_targetILNS1_3genE10ELNS1_11target_archE1201ELNS1_3gpuE5ELNS1_3repE0EEENS1_30default_config_static_selectorELNS0_4arch9wavefront6targetE0EEEvT1_
	.p2align	8
	.type	_ZN7rocprim17ROCPRIM_400000_NS6detail17trampoline_kernelINS0_14default_configENS1_27scan_by_key_config_selectorIllEEZZNS1_16scan_by_key_implILNS1_25lookback_scan_determinismE0ELb0ES3_PKlN6hipcub16HIPCUB_304000_NS21ConstantInputIteratorIllEEPllNSB_3SumENSB_8EqualityElEE10hipError_tPvRmT2_T3_T4_T5_mT6_T7_P12ihipStream_tbENKUlT_T0_E_clISt17integral_constantIbLb1EESW_IbLb0EEEEDaSS_ST_EUlSS_E_NS1_11comp_targetILNS1_3genE10ELNS1_11target_archE1201ELNS1_3gpuE5ELNS1_3repE0EEENS1_30default_config_static_selectorELNS0_4arch9wavefront6targetE0EEEvT1_,@function
_ZN7rocprim17ROCPRIM_400000_NS6detail17trampoline_kernelINS0_14default_configENS1_27scan_by_key_config_selectorIllEEZZNS1_16scan_by_key_implILNS1_25lookback_scan_determinismE0ELb0ES3_PKlN6hipcub16HIPCUB_304000_NS21ConstantInputIteratorIllEEPllNSB_3SumENSB_8EqualityElEE10hipError_tPvRmT2_T3_T4_T5_mT6_T7_P12ihipStream_tbENKUlT_T0_E_clISt17integral_constantIbLb1EESW_IbLb0EEEEDaSS_ST_EUlSS_E_NS1_11comp_targetILNS1_3genE10ELNS1_11target_archE1201ELNS1_3gpuE5ELNS1_3repE0EEENS1_30default_config_static_selectorELNS0_4arch9wavefront6targetE0EEEvT1_: ; @_ZN7rocprim17ROCPRIM_400000_NS6detail17trampoline_kernelINS0_14default_configENS1_27scan_by_key_config_selectorIllEEZZNS1_16scan_by_key_implILNS1_25lookback_scan_determinismE0ELb0ES3_PKlN6hipcub16HIPCUB_304000_NS21ConstantInputIteratorIllEEPllNSB_3SumENSB_8EqualityElEE10hipError_tPvRmT2_T3_T4_T5_mT6_T7_P12ihipStream_tbENKUlT_T0_E_clISt17integral_constantIbLb1EESW_IbLb0EEEEDaSS_ST_EUlSS_E_NS1_11comp_targetILNS1_3genE10ELNS1_11target_archE1201ELNS1_3gpuE5ELNS1_3repE0EEENS1_30default_config_static_selectorELNS0_4arch9wavefront6targetE0EEEvT1_
; %bb.0:
	.section	.rodata,"a",@progbits
	.p2align	6, 0x0
	.amdhsa_kernel _ZN7rocprim17ROCPRIM_400000_NS6detail17trampoline_kernelINS0_14default_configENS1_27scan_by_key_config_selectorIllEEZZNS1_16scan_by_key_implILNS1_25lookback_scan_determinismE0ELb0ES3_PKlN6hipcub16HIPCUB_304000_NS21ConstantInputIteratorIllEEPllNSB_3SumENSB_8EqualityElEE10hipError_tPvRmT2_T3_T4_T5_mT6_T7_P12ihipStream_tbENKUlT_T0_E_clISt17integral_constantIbLb1EESW_IbLb0EEEEDaSS_ST_EUlSS_E_NS1_11comp_targetILNS1_3genE10ELNS1_11target_archE1201ELNS1_3gpuE5ELNS1_3repE0EEENS1_30default_config_static_selectorELNS0_4arch9wavefront6targetE0EEEvT1_
		.amdhsa_group_segment_fixed_size 0
		.amdhsa_private_segment_fixed_size 0
		.amdhsa_kernarg_size 144
		.amdhsa_user_sgpr_count 6
		.amdhsa_user_sgpr_private_segment_buffer 1
		.amdhsa_user_sgpr_dispatch_ptr 0
		.amdhsa_user_sgpr_queue_ptr 0
		.amdhsa_user_sgpr_kernarg_segment_ptr 1
		.amdhsa_user_sgpr_dispatch_id 0
		.amdhsa_user_sgpr_flat_scratch_init 0
		.amdhsa_user_sgpr_private_segment_size 0
		.amdhsa_wavefront_size32 1
		.amdhsa_uses_dynamic_stack 0
		.amdhsa_system_sgpr_private_segment_wavefront_offset 0
		.amdhsa_system_sgpr_workgroup_id_x 1
		.amdhsa_system_sgpr_workgroup_id_y 0
		.amdhsa_system_sgpr_workgroup_id_z 0
		.amdhsa_system_sgpr_workgroup_info 0
		.amdhsa_system_vgpr_workitem_id 0
		.amdhsa_next_free_vgpr 1
		.amdhsa_next_free_sgpr 1
		.amdhsa_reserve_vcc 0
		.amdhsa_reserve_flat_scratch 0
		.amdhsa_float_round_mode_32 0
		.amdhsa_float_round_mode_16_64 0
		.amdhsa_float_denorm_mode_32 3
		.amdhsa_float_denorm_mode_16_64 3
		.amdhsa_dx10_clamp 1
		.amdhsa_ieee_mode 1
		.amdhsa_fp16_overflow 0
		.amdhsa_workgroup_processor_mode 1
		.amdhsa_memory_ordered 1
		.amdhsa_forward_progress 1
		.amdhsa_shared_vgpr_count 0
		.amdhsa_exception_fp_ieee_invalid_op 0
		.amdhsa_exception_fp_denorm_src 0
		.amdhsa_exception_fp_ieee_div_zero 0
		.amdhsa_exception_fp_ieee_overflow 0
		.amdhsa_exception_fp_ieee_underflow 0
		.amdhsa_exception_fp_ieee_inexact 0
		.amdhsa_exception_int_div_zero 0
	.end_amdhsa_kernel
	.section	.text._ZN7rocprim17ROCPRIM_400000_NS6detail17trampoline_kernelINS0_14default_configENS1_27scan_by_key_config_selectorIllEEZZNS1_16scan_by_key_implILNS1_25lookback_scan_determinismE0ELb0ES3_PKlN6hipcub16HIPCUB_304000_NS21ConstantInputIteratorIllEEPllNSB_3SumENSB_8EqualityElEE10hipError_tPvRmT2_T3_T4_T5_mT6_T7_P12ihipStream_tbENKUlT_T0_E_clISt17integral_constantIbLb1EESW_IbLb0EEEEDaSS_ST_EUlSS_E_NS1_11comp_targetILNS1_3genE10ELNS1_11target_archE1201ELNS1_3gpuE5ELNS1_3repE0EEENS1_30default_config_static_selectorELNS0_4arch9wavefront6targetE0EEEvT1_,"axG",@progbits,_ZN7rocprim17ROCPRIM_400000_NS6detail17trampoline_kernelINS0_14default_configENS1_27scan_by_key_config_selectorIllEEZZNS1_16scan_by_key_implILNS1_25lookback_scan_determinismE0ELb0ES3_PKlN6hipcub16HIPCUB_304000_NS21ConstantInputIteratorIllEEPllNSB_3SumENSB_8EqualityElEE10hipError_tPvRmT2_T3_T4_T5_mT6_T7_P12ihipStream_tbENKUlT_T0_E_clISt17integral_constantIbLb1EESW_IbLb0EEEEDaSS_ST_EUlSS_E_NS1_11comp_targetILNS1_3genE10ELNS1_11target_archE1201ELNS1_3gpuE5ELNS1_3repE0EEENS1_30default_config_static_selectorELNS0_4arch9wavefront6targetE0EEEvT1_,comdat
.Lfunc_end117:
	.size	_ZN7rocprim17ROCPRIM_400000_NS6detail17trampoline_kernelINS0_14default_configENS1_27scan_by_key_config_selectorIllEEZZNS1_16scan_by_key_implILNS1_25lookback_scan_determinismE0ELb0ES3_PKlN6hipcub16HIPCUB_304000_NS21ConstantInputIteratorIllEEPllNSB_3SumENSB_8EqualityElEE10hipError_tPvRmT2_T3_T4_T5_mT6_T7_P12ihipStream_tbENKUlT_T0_E_clISt17integral_constantIbLb1EESW_IbLb0EEEEDaSS_ST_EUlSS_E_NS1_11comp_targetILNS1_3genE10ELNS1_11target_archE1201ELNS1_3gpuE5ELNS1_3repE0EEENS1_30default_config_static_selectorELNS0_4arch9wavefront6targetE0EEEvT1_, .Lfunc_end117-_ZN7rocprim17ROCPRIM_400000_NS6detail17trampoline_kernelINS0_14default_configENS1_27scan_by_key_config_selectorIllEEZZNS1_16scan_by_key_implILNS1_25lookback_scan_determinismE0ELb0ES3_PKlN6hipcub16HIPCUB_304000_NS21ConstantInputIteratorIllEEPllNSB_3SumENSB_8EqualityElEE10hipError_tPvRmT2_T3_T4_T5_mT6_T7_P12ihipStream_tbENKUlT_T0_E_clISt17integral_constantIbLb1EESW_IbLb0EEEEDaSS_ST_EUlSS_E_NS1_11comp_targetILNS1_3genE10ELNS1_11target_archE1201ELNS1_3gpuE5ELNS1_3repE0EEENS1_30default_config_static_selectorELNS0_4arch9wavefront6targetE0EEEvT1_
                                        ; -- End function
	.set _ZN7rocprim17ROCPRIM_400000_NS6detail17trampoline_kernelINS0_14default_configENS1_27scan_by_key_config_selectorIllEEZZNS1_16scan_by_key_implILNS1_25lookback_scan_determinismE0ELb0ES3_PKlN6hipcub16HIPCUB_304000_NS21ConstantInputIteratorIllEEPllNSB_3SumENSB_8EqualityElEE10hipError_tPvRmT2_T3_T4_T5_mT6_T7_P12ihipStream_tbENKUlT_T0_E_clISt17integral_constantIbLb1EESW_IbLb0EEEEDaSS_ST_EUlSS_E_NS1_11comp_targetILNS1_3genE10ELNS1_11target_archE1201ELNS1_3gpuE5ELNS1_3repE0EEENS1_30default_config_static_selectorELNS0_4arch9wavefront6targetE0EEEvT1_.num_vgpr, 0
	.set _ZN7rocprim17ROCPRIM_400000_NS6detail17trampoline_kernelINS0_14default_configENS1_27scan_by_key_config_selectorIllEEZZNS1_16scan_by_key_implILNS1_25lookback_scan_determinismE0ELb0ES3_PKlN6hipcub16HIPCUB_304000_NS21ConstantInputIteratorIllEEPllNSB_3SumENSB_8EqualityElEE10hipError_tPvRmT2_T3_T4_T5_mT6_T7_P12ihipStream_tbENKUlT_T0_E_clISt17integral_constantIbLb1EESW_IbLb0EEEEDaSS_ST_EUlSS_E_NS1_11comp_targetILNS1_3genE10ELNS1_11target_archE1201ELNS1_3gpuE5ELNS1_3repE0EEENS1_30default_config_static_selectorELNS0_4arch9wavefront6targetE0EEEvT1_.num_agpr, 0
	.set _ZN7rocprim17ROCPRIM_400000_NS6detail17trampoline_kernelINS0_14default_configENS1_27scan_by_key_config_selectorIllEEZZNS1_16scan_by_key_implILNS1_25lookback_scan_determinismE0ELb0ES3_PKlN6hipcub16HIPCUB_304000_NS21ConstantInputIteratorIllEEPllNSB_3SumENSB_8EqualityElEE10hipError_tPvRmT2_T3_T4_T5_mT6_T7_P12ihipStream_tbENKUlT_T0_E_clISt17integral_constantIbLb1EESW_IbLb0EEEEDaSS_ST_EUlSS_E_NS1_11comp_targetILNS1_3genE10ELNS1_11target_archE1201ELNS1_3gpuE5ELNS1_3repE0EEENS1_30default_config_static_selectorELNS0_4arch9wavefront6targetE0EEEvT1_.numbered_sgpr, 0
	.set _ZN7rocprim17ROCPRIM_400000_NS6detail17trampoline_kernelINS0_14default_configENS1_27scan_by_key_config_selectorIllEEZZNS1_16scan_by_key_implILNS1_25lookback_scan_determinismE0ELb0ES3_PKlN6hipcub16HIPCUB_304000_NS21ConstantInputIteratorIllEEPllNSB_3SumENSB_8EqualityElEE10hipError_tPvRmT2_T3_T4_T5_mT6_T7_P12ihipStream_tbENKUlT_T0_E_clISt17integral_constantIbLb1EESW_IbLb0EEEEDaSS_ST_EUlSS_E_NS1_11comp_targetILNS1_3genE10ELNS1_11target_archE1201ELNS1_3gpuE5ELNS1_3repE0EEENS1_30default_config_static_selectorELNS0_4arch9wavefront6targetE0EEEvT1_.num_named_barrier, 0
	.set _ZN7rocprim17ROCPRIM_400000_NS6detail17trampoline_kernelINS0_14default_configENS1_27scan_by_key_config_selectorIllEEZZNS1_16scan_by_key_implILNS1_25lookback_scan_determinismE0ELb0ES3_PKlN6hipcub16HIPCUB_304000_NS21ConstantInputIteratorIllEEPllNSB_3SumENSB_8EqualityElEE10hipError_tPvRmT2_T3_T4_T5_mT6_T7_P12ihipStream_tbENKUlT_T0_E_clISt17integral_constantIbLb1EESW_IbLb0EEEEDaSS_ST_EUlSS_E_NS1_11comp_targetILNS1_3genE10ELNS1_11target_archE1201ELNS1_3gpuE5ELNS1_3repE0EEENS1_30default_config_static_selectorELNS0_4arch9wavefront6targetE0EEEvT1_.private_seg_size, 0
	.set _ZN7rocprim17ROCPRIM_400000_NS6detail17trampoline_kernelINS0_14default_configENS1_27scan_by_key_config_selectorIllEEZZNS1_16scan_by_key_implILNS1_25lookback_scan_determinismE0ELb0ES3_PKlN6hipcub16HIPCUB_304000_NS21ConstantInputIteratorIllEEPllNSB_3SumENSB_8EqualityElEE10hipError_tPvRmT2_T3_T4_T5_mT6_T7_P12ihipStream_tbENKUlT_T0_E_clISt17integral_constantIbLb1EESW_IbLb0EEEEDaSS_ST_EUlSS_E_NS1_11comp_targetILNS1_3genE10ELNS1_11target_archE1201ELNS1_3gpuE5ELNS1_3repE0EEENS1_30default_config_static_selectorELNS0_4arch9wavefront6targetE0EEEvT1_.uses_vcc, 0
	.set _ZN7rocprim17ROCPRIM_400000_NS6detail17trampoline_kernelINS0_14default_configENS1_27scan_by_key_config_selectorIllEEZZNS1_16scan_by_key_implILNS1_25lookback_scan_determinismE0ELb0ES3_PKlN6hipcub16HIPCUB_304000_NS21ConstantInputIteratorIllEEPllNSB_3SumENSB_8EqualityElEE10hipError_tPvRmT2_T3_T4_T5_mT6_T7_P12ihipStream_tbENKUlT_T0_E_clISt17integral_constantIbLb1EESW_IbLb0EEEEDaSS_ST_EUlSS_E_NS1_11comp_targetILNS1_3genE10ELNS1_11target_archE1201ELNS1_3gpuE5ELNS1_3repE0EEENS1_30default_config_static_selectorELNS0_4arch9wavefront6targetE0EEEvT1_.uses_flat_scratch, 0
	.set _ZN7rocprim17ROCPRIM_400000_NS6detail17trampoline_kernelINS0_14default_configENS1_27scan_by_key_config_selectorIllEEZZNS1_16scan_by_key_implILNS1_25lookback_scan_determinismE0ELb0ES3_PKlN6hipcub16HIPCUB_304000_NS21ConstantInputIteratorIllEEPllNSB_3SumENSB_8EqualityElEE10hipError_tPvRmT2_T3_T4_T5_mT6_T7_P12ihipStream_tbENKUlT_T0_E_clISt17integral_constantIbLb1EESW_IbLb0EEEEDaSS_ST_EUlSS_E_NS1_11comp_targetILNS1_3genE10ELNS1_11target_archE1201ELNS1_3gpuE5ELNS1_3repE0EEENS1_30default_config_static_selectorELNS0_4arch9wavefront6targetE0EEEvT1_.has_dyn_sized_stack, 0
	.set _ZN7rocprim17ROCPRIM_400000_NS6detail17trampoline_kernelINS0_14default_configENS1_27scan_by_key_config_selectorIllEEZZNS1_16scan_by_key_implILNS1_25lookback_scan_determinismE0ELb0ES3_PKlN6hipcub16HIPCUB_304000_NS21ConstantInputIteratorIllEEPllNSB_3SumENSB_8EqualityElEE10hipError_tPvRmT2_T3_T4_T5_mT6_T7_P12ihipStream_tbENKUlT_T0_E_clISt17integral_constantIbLb1EESW_IbLb0EEEEDaSS_ST_EUlSS_E_NS1_11comp_targetILNS1_3genE10ELNS1_11target_archE1201ELNS1_3gpuE5ELNS1_3repE0EEENS1_30default_config_static_selectorELNS0_4arch9wavefront6targetE0EEEvT1_.has_recursion, 0
	.set _ZN7rocprim17ROCPRIM_400000_NS6detail17trampoline_kernelINS0_14default_configENS1_27scan_by_key_config_selectorIllEEZZNS1_16scan_by_key_implILNS1_25lookback_scan_determinismE0ELb0ES3_PKlN6hipcub16HIPCUB_304000_NS21ConstantInputIteratorIllEEPllNSB_3SumENSB_8EqualityElEE10hipError_tPvRmT2_T3_T4_T5_mT6_T7_P12ihipStream_tbENKUlT_T0_E_clISt17integral_constantIbLb1EESW_IbLb0EEEEDaSS_ST_EUlSS_E_NS1_11comp_targetILNS1_3genE10ELNS1_11target_archE1201ELNS1_3gpuE5ELNS1_3repE0EEENS1_30default_config_static_selectorELNS0_4arch9wavefront6targetE0EEEvT1_.has_indirect_call, 0
	.section	.AMDGPU.csdata,"",@progbits
; Kernel info:
; codeLenInByte = 0
; TotalNumSgprs: 0
; NumVgprs: 0
; ScratchSize: 0
; MemoryBound: 0
; FloatMode: 240
; IeeeMode: 1
; LDSByteSize: 0 bytes/workgroup (compile time only)
; SGPRBlocks: 0
; VGPRBlocks: 0
; NumSGPRsForWavesPerEU: 1
; NumVGPRsForWavesPerEU: 1
; Occupancy: 16
; WaveLimiterHint : 0
; COMPUTE_PGM_RSRC2:SCRATCH_EN: 0
; COMPUTE_PGM_RSRC2:USER_SGPR: 6
; COMPUTE_PGM_RSRC2:TRAP_HANDLER: 0
; COMPUTE_PGM_RSRC2:TGID_X_EN: 1
; COMPUTE_PGM_RSRC2:TGID_Y_EN: 0
; COMPUTE_PGM_RSRC2:TGID_Z_EN: 0
; COMPUTE_PGM_RSRC2:TIDIG_COMP_CNT: 0
	.section	.text._ZN7rocprim17ROCPRIM_400000_NS6detail17trampoline_kernelINS0_14default_configENS1_27scan_by_key_config_selectorIllEEZZNS1_16scan_by_key_implILNS1_25lookback_scan_determinismE0ELb0ES3_PKlN6hipcub16HIPCUB_304000_NS21ConstantInputIteratorIllEEPllNSB_3SumENSB_8EqualityElEE10hipError_tPvRmT2_T3_T4_T5_mT6_T7_P12ihipStream_tbENKUlT_T0_E_clISt17integral_constantIbLb1EESW_IbLb0EEEEDaSS_ST_EUlSS_E_NS1_11comp_targetILNS1_3genE5ELNS1_11target_archE942ELNS1_3gpuE9ELNS1_3repE0EEENS1_30default_config_static_selectorELNS0_4arch9wavefront6targetE0EEEvT1_,"axG",@progbits,_ZN7rocprim17ROCPRIM_400000_NS6detail17trampoline_kernelINS0_14default_configENS1_27scan_by_key_config_selectorIllEEZZNS1_16scan_by_key_implILNS1_25lookback_scan_determinismE0ELb0ES3_PKlN6hipcub16HIPCUB_304000_NS21ConstantInputIteratorIllEEPllNSB_3SumENSB_8EqualityElEE10hipError_tPvRmT2_T3_T4_T5_mT6_T7_P12ihipStream_tbENKUlT_T0_E_clISt17integral_constantIbLb1EESW_IbLb0EEEEDaSS_ST_EUlSS_E_NS1_11comp_targetILNS1_3genE5ELNS1_11target_archE942ELNS1_3gpuE9ELNS1_3repE0EEENS1_30default_config_static_selectorELNS0_4arch9wavefront6targetE0EEEvT1_,comdat
	.protected	_ZN7rocprim17ROCPRIM_400000_NS6detail17trampoline_kernelINS0_14default_configENS1_27scan_by_key_config_selectorIllEEZZNS1_16scan_by_key_implILNS1_25lookback_scan_determinismE0ELb0ES3_PKlN6hipcub16HIPCUB_304000_NS21ConstantInputIteratorIllEEPllNSB_3SumENSB_8EqualityElEE10hipError_tPvRmT2_T3_T4_T5_mT6_T7_P12ihipStream_tbENKUlT_T0_E_clISt17integral_constantIbLb1EESW_IbLb0EEEEDaSS_ST_EUlSS_E_NS1_11comp_targetILNS1_3genE5ELNS1_11target_archE942ELNS1_3gpuE9ELNS1_3repE0EEENS1_30default_config_static_selectorELNS0_4arch9wavefront6targetE0EEEvT1_ ; -- Begin function _ZN7rocprim17ROCPRIM_400000_NS6detail17trampoline_kernelINS0_14default_configENS1_27scan_by_key_config_selectorIllEEZZNS1_16scan_by_key_implILNS1_25lookback_scan_determinismE0ELb0ES3_PKlN6hipcub16HIPCUB_304000_NS21ConstantInputIteratorIllEEPllNSB_3SumENSB_8EqualityElEE10hipError_tPvRmT2_T3_T4_T5_mT6_T7_P12ihipStream_tbENKUlT_T0_E_clISt17integral_constantIbLb1EESW_IbLb0EEEEDaSS_ST_EUlSS_E_NS1_11comp_targetILNS1_3genE5ELNS1_11target_archE942ELNS1_3gpuE9ELNS1_3repE0EEENS1_30default_config_static_selectorELNS0_4arch9wavefront6targetE0EEEvT1_
	.globl	_ZN7rocprim17ROCPRIM_400000_NS6detail17trampoline_kernelINS0_14default_configENS1_27scan_by_key_config_selectorIllEEZZNS1_16scan_by_key_implILNS1_25lookback_scan_determinismE0ELb0ES3_PKlN6hipcub16HIPCUB_304000_NS21ConstantInputIteratorIllEEPllNSB_3SumENSB_8EqualityElEE10hipError_tPvRmT2_T3_T4_T5_mT6_T7_P12ihipStream_tbENKUlT_T0_E_clISt17integral_constantIbLb1EESW_IbLb0EEEEDaSS_ST_EUlSS_E_NS1_11comp_targetILNS1_3genE5ELNS1_11target_archE942ELNS1_3gpuE9ELNS1_3repE0EEENS1_30default_config_static_selectorELNS0_4arch9wavefront6targetE0EEEvT1_
	.p2align	8
	.type	_ZN7rocprim17ROCPRIM_400000_NS6detail17trampoline_kernelINS0_14default_configENS1_27scan_by_key_config_selectorIllEEZZNS1_16scan_by_key_implILNS1_25lookback_scan_determinismE0ELb0ES3_PKlN6hipcub16HIPCUB_304000_NS21ConstantInputIteratorIllEEPllNSB_3SumENSB_8EqualityElEE10hipError_tPvRmT2_T3_T4_T5_mT6_T7_P12ihipStream_tbENKUlT_T0_E_clISt17integral_constantIbLb1EESW_IbLb0EEEEDaSS_ST_EUlSS_E_NS1_11comp_targetILNS1_3genE5ELNS1_11target_archE942ELNS1_3gpuE9ELNS1_3repE0EEENS1_30default_config_static_selectorELNS0_4arch9wavefront6targetE0EEEvT1_,@function
_ZN7rocprim17ROCPRIM_400000_NS6detail17trampoline_kernelINS0_14default_configENS1_27scan_by_key_config_selectorIllEEZZNS1_16scan_by_key_implILNS1_25lookback_scan_determinismE0ELb0ES3_PKlN6hipcub16HIPCUB_304000_NS21ConstantInputIteratorIllEEPllNSB_3SumENSB_8EqualityElEE10hipError_tPvRmT2_T3_T4_T5_mT6_T7_P12ihipStream_tbENKUlT_T0_E_clISt17integral_constantIbLb1EESW_IbLb0EEEEDaSS_ST_EUlSS_E_NS1_11comp_targetILNS1_3genE5ELNS1_11target_archE942ELNS1_3gpuE9ELNS1_3repE0EEENS1_30default_config_static_selectorELNS0_4arch9wavefront6targetE0EEEvT1_: ; @_ZN7rocprim17ROCPRIM_400000_NS6detail17trampoline_kernelINS0_14default_configENS1_27scan_by_key_config_selectorIllEEZZNS1_16scan_by_key_implILNS1_25lookback_scan_determinismE0ELb0ES3_PKlN6hipcub16HIPCUB_304000_NS21ConstantInputIteratorIllEEPllNSB_3SumENSB_8EqualityElEE10hipError_tPvRmT2_T3_T4_T5_mT6_T7_P12ihipStream_tbENKUlT_T0_E_clISt17integral_constantIbLb1EESW_IbLb0EEEEDaSS_ST_EUlSS_E_NS1_11comp_targetILNS1_3genE5ELNS1_11target_archE942ELNS1_3gpuE9ELNS1_3repE0EEENS1_30default_config_static_selectorELNS0_4arch9wavefront6targetE0EEEvT1_
; %bb.0:
	.section	.rodata,"a",@progbits
	.p2align	6, 0x0
	.amdhsa_kernel _ZN7rocprim17ROCPRIM_400000_NS6detail17trampoline_kernelINS0_14default_configENS1_27scan_by_key_config_selectorIllEEZZNS1_16scan_by_key_implILNS1_25lookback_scan_determinismE0ELb0ES3_PKlN6hipcub16HIPCUB_304000_NS21ConstantInputIteratorIllEEPllNSB_3SumENSB_8EqualityElEE10hipError_tPvRmT2_T3_T4_T5_mT6_T7_P12ihipStream_tbENKUlT_T0_E_clISt17integral_constantIbLb1EESW_IbLb0EEEEDaSS_ST_EUlSS_E_NS1_11comp_targetILNS1_3genE5ELNS1_11target_archE942ELNS1_3gpuE9ELNS1_3repE0EEENS1_30default_config_static_selectorELNS0_4arch9wavefront6targetE0EEEvT1_
		.amdhsa_group_segment_fixed_size 0
		.amdhsa_private_segment_fixed_size 0
		.amdhsa_kernarg_size 144
		.amdhsa_user_sgpr_count 6
		.amdhsa_user_sgpr_private_segment_buffer 1
		.amdhsa_user_sgpr_dispatch_ptr 0
		.amdhsa_user_sgpr_queue_ptr 0
		.amdhsa_user_sgpr_kernarg_segment_ptr 1
		.amdhsa_user_sgpr_dispatch_id 0
		.amdhsa_user_sgpr_flat_scratch_init 0
		.amdhsa_user_sgpr_private_segment_size 0
		.amdhsa_wavefront_size32 1
		.amdhsa_uses_dynamic_stack 0
		.amdhsa_system_sgpr_private_segment_wavefront_offset 0
		.amdhsa_system_sgpr_workgroup_id_x 1
		.amdhsa_system_sgpr_workgroup_id_y 0
		.amdhsa_system_sgpr_workgroup_id_z 0
		.amdhsa_system_sgpr_workgroup_info 0
		.amdhsa_system_vgpr_workitem_id 0
		.amdhsa_next_free_vgpr 1
		.amdhsa_next_free_sgpr 1
		.amdhsa_reserve_vcc 0
		.amdhsa_reserve_flat_scratch 0
		.amdhsa_float_round_mode_32 0
		.amdhsa_float_round_mode_16_64 0
		.amdhsa_float_denorm_mode_32 3
		.amdhsa_float_denorm_mode_16_64 3
		.amdhsa_dx10_clamp 1
		.amdhsa_ieee_mode 1
		.amdhsa_fp16_overflow 0
		.amdhsa_workgroup_processor_mode 1
		.amdhsa_memory_ordered 1
		.amdhsa_forward_progress 1
		.amdhsa_shared_vgpr_count 0
		.amdhsa_exception_fp_ieee_invalid_op 0
		.amdhsa_exception_fp_denorm_src 0
		.amdhsa_exception_fp_ieee_div_zero 0
		.amdhsa_exception_fp_ieee_overflow 0
		.amdhsa_exception_fp_ieee_underflow 0
		.amdhsa_exception_fp_ieee_inexact 0
		.amdhsa_exception_int_div_zero 0
	.end_amdhsa_kernel
	.section	.text._ZN7rocprim17ROCPRIM_400000_NS6detail17trampoline_kernelINS0_14default_configENS1_27scan_by_key_config_selectorIllEEZZNS1_16scan_by_key_implILNS1_25lookback_scan_determinismE0ELb0ES3_PKlN6hipcub16HIPCUB_304000_NS21ConstantInputIteratorIllEEPllNSB_3SumENSB_8EqualityElEE10hipError_tPvRmT2_T3_T4_T5_mT6_T7_P12ihipStream_tbENKUlT_T0_E_clISt17integral_constantIbLb1EESW_IbLb0EEEEDaSS_ST_EUlSS_E_NS1_11comp_targetILNS1_3genE5ELNS1_11target_archE942ELNS1_3gpuE9ELNS1_3repE0EEENS1_30default_config_static_selectorELNS0_4arch9wavefront6targetE0EEEvT1_,"axG",@progbits,_ZN7rocprim17ROCPRIM_400000_NS6detail17trampoline_kernelINS0_14default_configENS1_27scan_by_key_config_selectorIllEEZZNS1_16scan_by_key_implILNS1_25lookback_scan_determinismE0ELb0ES3_PKlN6hipcub16HIPCUB_304000_NS21ConstantInputIteratorIllEEPllNSB_3SumENSB_8EqualityElEE10hipError_tPvRmT2_T3_T4_T5_mT6_T7_P12ihipStream_tbENKUlT_T0_E_clISt17integral_constantIbLb1EESW_IbLb0EEEEDaSS_ST_EUlSS_E_NS1_11comp_targetILNS1_3genE5ELNS1_11target_archE942ELNS1_3gpuE9ELNS1_3repE0EEENS1_30default_config_static_selectorELNS0_4arch9wavefront6targetE0EEEvT1_,comdat
.Lfunc_end118:
	.size	_ZN7rocprim17ROCPRIM_400000_NS6detail17trampoline_kernelINS0_14default_configENS1_27scan_by_key_config_selectorIllEEZZNS1_16scan_by_key_implILNS1_25lookback_scan_determinismE0ELb0ES3_PKlN6hipcub16HIPCUB_304000_NS21ConstantInputIteratorIllEEPllNSB_3SumENSB_8EqualityElEE10hipError_tPvRmT2_T3_T4_T5_mT6_T7_P12ihipStream_tbENKUlT_T0_E_clISt17integral_constantIbLb1EESW_IbLb0EEEEDaSS_ST_EUlSS_E_NS1_11comp_targetILNS1_3genE5ELNS1_11target_archE942ELNS1_3gpuE9ELNS1_3repE0EEENS1_30default_config_static_selectorELNS0_4arch9wavefront6targetE0EEEvT1_, .Lfunc_end118-_ZN7rocprim17ROCPRIM_400000_NS6detail17trampoline_kernelINS0_14default_configENS1_27scan_by_key_config_selectorIllEEZZNS1_16scan_by_key_implILNS1_25lookback_scan_determinismE0ELb0ES3_PKlN6hipcub16HIPCUB_304000_NS21ConstantInputIteratorIllEEPllNSB_3SumENSB_8EqualityElEE10hipError_tPvRmT2_T3_T4_T5_mT6_T7_P12ihipStream_tbENKUlT_T0_E_clISt17integral_constantIbLb1EESW_IbLb0EEEEDaSS_ST_EUlSS_E_NS1_11comp_targetILNS1_3genE5ELNS1_11target_archE942ELNS1_3gpuE9ELNS1_3repE0EEENS1_30default_config_static_selectorELNS0_4arch9wavefront6targetE0EEEvT1_
                                        ; -- End function
	.set _ZN7rocprim17ROCPRIM_400000_NS6detail17trampoline_kernelINS0_14default_configENS1_27scan_by_key_config_selectorIllEEZZNS1_16scan_by_key_implILNS1_25lookback_scan_determinismE0ELb0ES3_PKlN6hipcub16HIPCUB_304000_NS21ConstantInputIteratorIllEEPllNSB_3SumENSB_8EqualityElEE10hipError_tPvRmT2_T3_T4_T5_mT6_T7_P12ihipStream_tbENKUlT_T0_E_clISt17integral_constantIbLb1EESW_IbLb0EEEEDaSS_ST_EUlSS_E_NS1_11comp_targetILNS1_3genE5ELNS1_11target_archE942ELNS1_3gpuE9ELNS1_3repE0EEENS1_30default_config_static_selectorELNS0_4arch9wavefront6targetE0EEEvT1_.num_vgpr, 0
	.set _ZN7rocprim17ROCPRIM_400000_NS6detail17trampoline_kernelINS0_14default_configENS1_27scan_by_key_config_selectorIllEEZZNS1_16scan_by_key_implILNS1_25lookback_scan_determinismE0ELb0ES3_PKlN6hipcub16HIPCUB_304000_NS21ConstantInputIteratorIllEEPllNSB_3SumENSB_8EqualityElEE10hipError_tPvRmT2_T3_T4_T5_mT6_T7_P12ihipStream_tbENKUlT_T0_E_clISt17integral_constantIbLb1EESW_IbLb0EEEEDaSS_ST_EUlSS_E_NS1_11comp_targetILNS1_3genE5ELNS1_11target_archE942ELNS1_3gpuE9ELNS1_3repE0EEENS1_30default_config_static_selectorELNS0_4arch9wavefront6targetE0EEEvT1_.num_agpr, 0
	.set _ZN7rocprim17ROCPRIM_400000_NS6detail17trampoline_kernelINS0_14default_configENS1_27scan_by_key_config_selectorIllEEZZNS1_16scan_by_key_implILNS1_25lookback_scan_determinismE0ELb0ES3_PKlN6hipcub16HIPCUB_304000_NS21ConstantInputIteratorIllEEPllNSB_3SumENSB_8EqualityElEE10hipError_tPvRmT2_T3_T4_T5_mT6_T7_P12ihipStream_tbENKUlT_T0_E_clISt17integral_constantIbLb1EESW_IbLb0EEEEDaSS_ST_EUlSS_E_NS1_11comp_targetILNS1_3genE5ELNS1_11target_archE942ELNS1_3gpuE9ELNS1_3repE0EEENS1_30default_config_static_selectorELNS0_4arch9wavefront6targetE0EEEvT1_.numbered_sgpr, 0
	.set _ZN7rocprim17ROCPRIM_400000_NS6detail17trampoline_kernelINS0_14default_configENS1_27scan_by_key_config_selectorIllEEZZNS1_16scan_by_key_implILNS1_25lookback_scan_determinismE0ELb0ES3_PKlN6hipcub16HIPCUB_304000_NS21ConstantInputIteratorIllEEPllNSB_3SumENSB_8EqualityElEE10hipError_tPvRmT2_T3_T4_T5_mT6_T7_P12ihipStream_tbENKUlT_T0_E_clISt17integral_constantIbLb1EESW_IbLb0EEEEDaSS_ST_EUlSS_E_NS1_11comp_targetILNS1_3genE5ELNS1_11target_archE942ELNS1_3gpuE9ELNS1_3repE0EEENS1_30default_config_static_selectorELNS0_4arch9wavefront6targetE0EEEvT1_.num_named_barrier, 0
	.set _ZN7rocprim17ROCPRIM_400000_NS6detail17trampoline_kernelINS0_14default_configENS1_27scan_by_key_config_selectorIllEEZZNS1_16scan_by_key_implILNS1_25lookback_scan_determinismE0ELb0ES3_PKlN6hipcub16HIPCUB_304000_NS21ConstantInputIteratorIllEEPllNSB_3SumENSB_8EqualityElEE10hipError_tPvRmT2_T3_T4_T5_mT6_T7_P12ihipStream_tbENKUlT_T0_E_clISt17integral_constantIbLb1EESW_IbLb0EEEEDaSS_ST_EUlSS_E_NS1_11comp_targetILNS1_3genE5ELNS1_11target_archE942ELNS1_3gpuE9ELNS1_3repE0EEENS1_30default_config_static_selectorELNS0_4arch9wavefront6targetE0EEEvT1_.private_seg_size, 0
	.set _ZN7rocprim17ROCPRIM_400000_NS6detail17trampoline_kernelINS0_14default_configENS1_27scan_by_key_config_selectorIllEEZZNS1_16scan_by_key_implILNS1_25lookback_scan_determinismE0ELb0ES3_PKlN6hipcub16HIPCUB_304000_NS21ConstantInputIteratorIllEEPllNSB_3SumENSB_8EqualityElEE10hipError_tPvRmT2_T3_T4_T5_mT6_T7_P12ihipStream_tbENKUlT_T0_E_clISt17integral_constantIbLb1EESW_IbLb0EEEEDaSS_ST_EUlSS_E_NS1_11comp_targetILNS1_3genE5ELNS1_11target_archE942ELNS1_3gpuE9ELNS1_3repE0EEENS1_30default_config_static_selectorELNS0_4arch9wavefront6targetE0EEEvT1_.uses_vcc, 0
	.set _ZN7rocprim17ROCPRIM_400000_NS6detail17trampoline_kernelINS0_14default_configENS1_27scan_by_key_config_selectorIllEEZZNS1_16scan_by_key_implILNS1_25lookback_scan_determinismE0ELb0ES3_PKlN6hipcub16HIPCUB_304000_NS21ConstantInputIteratorIllEEPllNSB_3SumENSB_8EqualityElEE10hipError_tPvRmT2_T3_T4_T5_mT6_T7_P12ihipStream_tbENKUlT_T0_E_clISt17integral_constantIbLb1EESW_IbLb0EEEEDaSS_ST_EUlSS_E_NS1_11comp_targetILNS1_3genE5ELNS1_11target_archE942ELNS1_3gpuE9ELNS1_3repE0EEENS1_30default_config_static_selectorELNS0_4arch9wavefront6targetE0EEEvT1_.uses_flat_scratch, 0
	.set _ZN7rocprim17ROCPRIM_400000_NS6detail17trampoline_kernelINS0_14default_configENS1_27scan_by_key_config_selectorIllEEZZNS1_16scan_by_key_implILNS1_25lookback_scan_determinismE0ELb0ES3_PKlN6hipcub16HIPCUB_304000_NS21ConstantInputIteratorIllEEPllNSB_3SumENSB_8EqualityElEE10hipError_tPvRmT2_T3_T4_T5_mT6_T7_P12ihipStream_tbENKUlT_T0_E_clISt17integral_constantIbLb1EESW_IbLb0EEEEDaSS_ST_EUlSS_E_NS1_11comp_targetILNS1_3genE5ELNS1_11target_archE942ELNS1_3gpuE9ELNS1_3repE0EEENS1_30default_config_static_selectorELNS0_4arch9wavefront6targetE0EEEvT1_.has_dyn_sized_stack, 0
	.set _ZN7rocprim17ROCPRIM_400000_NS6detail17trampoline_kernelINS0_14default_configENS1_27scan_by_key_config_selectorIllEEZZNS1_16scan_by_key_implILNS1_25lookback_scan_determinismE0ELb0ES3_PKlN6hipcub16HIPCUB_304000_NS21ConstantInputIteratorIllEEPllNSB_3SumENSB_8EqualityElEE10hipError_tPvRmT2_T3_T4_T5_mT6_T7_P12ihipStream_tbENKUlT_T0_E_clISt17integral_constantIbLb1EESW_IbLb0EEEEDaSS_ST_EUlSS_E_NS1_11comp_targetILNS1_3genE5ELNS1_11target_archE942ELNS1_3gpuE9ELNS1_3repE0EEENS1_30default_config_static_selectorELNS0_4arch9wavefront6targetE0EEEvT1_.has_recursion, 0
	.set _ZN7rocprim17ROCPRIM_400000_NS6detail17trampoline_kernelINS0_14default_configENS1_27scan_by_key_config_selectorIllEEZZNS1_16scan_by_key_implILNS1_25lookback_scan_determinismE0ELb0ES3_PKlN6hipcub16HIPCUB_304000_NS21ConstantInputIteratorIllEEPllNSB_3SumENSB_8EqualityElEE10hipError_tPvRmT2_T3_T4_T5_mT6_T7_P12ihipStream_tbENKUlT_T0_E_clISt17integral_constantIbLb1EESW_IbLb0EEEEDaSS_ST_EUlSS_E_NS1_11comp_targetILNS1_3genE5ELNS1_11target_archE942ELNS1_3gpuE9ELNS1_3repE0EEENS1_30default_config_static_selectorELNS0_4arch9wavefront6targetE0EEEvT1_.has_indirect_call, 0
	.section	.AMDGPU.csdata,"",@progbits
; Kernel info:
; codeLenInByte = 0
; TotalNumSgprs: 0
; NumVgprs: 0
; ScratchSize: 0
; MemoryBound: 0
; FloatMode: 240
; IeeeMode: 1
; LDSByteSize: 0 bytes/workgroup (compile time only)
; SGPRBlocks: 0
; VGPRBlocks: 0
; NumSGPRsForWavesPerEU: 1
; NumVGPRsForWavesPerEU: 1
; Occupancy: 16
; WaveLimiterHint : 0
; COMPUTE_PGM_RSRC2:SCRATCH_EN: 0
; COMPUTE_PGM_RSRC2:USER_SGPR: 6
; COMPUTE_PGM_RSRC2:TRAP_HANDLER: 0
; COMPUTE_PGM_RSRC2:TGID_X_EN: 1
; COMPUTE_PGM_RSRC2:TGID_Y_EN: 0
; COMPUTE_PGM_RSRC2:TGID_Z_EN: 0
; COMPUTE_PGM_RSRC2:TIDIG_COMP_CNT: 0
	.section	.text._ZN7rocprim17ROCPRIM_400000_NS6detail17trampoline_kernelINS0_14default_configENS1_27scan_by_key_config_selectorIllEEZZNS1_16scan_by_key_implILNS1_25lookback_scan_determinismE0ELb0ES3_PKlN6hipcub16HIPCUB_304000_NS21ConstantInputIteratorIllEEPllNSB_3SumENSB_8EqualityElEE10hipError_tPvRmT2_T3_T4_T5_mT6_T7_P12ihipStream_tbENKUlT_T0_E_clISt17integral_constantIbLb1EESW_IbLb0EEEEDaSS_ST_EUlSS_E_NS1_11comp_targetILNS1_3genE4ELNS1_11target_archE910ELNS1_3gpuE8ELNS1_3repE0EEENS1_30default_config_static_selectorELNS0_4arch9wavefront6targetE0EEEvT1_,"axG",@progbits,_ZN7rocprim17ROCPRIM_400000_NS6detail17trampoline_kernelINS0_14default_configENS1_27scan_by_key_config_selectorIllEEZZNS1_16scan_by_key_implILNS1_25lookback_scan_determinismE0ELb0ES3_PKlN6hipcub16HIPCUB_304000_NS21ConstantInputIteratorIllEEPllNSB_3SumENSB_8EqualityElEE10hipError_tPvRmT2_T3_T4_T5_mT6_T7_P12ihipStream_tbENKUlT_T0_E_clISt17integral_constantIbLb1EESW_IbLb0EEEEDaSS_ST_EUlSS_E_NS1_11comp_targetILNS1_3genE4ELNS1_11target_archE910ELNS1_3gpuE8ELNS1_3repE0EEENS1_30default_config_static_selectorELNS0_4arch9wavefront6targetE0EEEvT1_,comdat
	.protected	_ZN7rocprim17ROCPRIM_400000_NS6detail17trampoline_kernelINS0_14default_configENS1_27scan_by_key_config_selectorIllEEZZNS1_16scan_by_key_implILNS1_25lookback_scan_determinismE0ELb0ES3_PKlN6hipcub16HIPCUB_304000_NS21ConstantInputIteratorIllEEPllNSB_3SumENSB_8EqualityElEE10hipError_tPvRmT2_T3_T4_T5_mT6_T7_P12ihipStream_tbENKUlT_T0_E_clISt17integral_constantIbLb1EESW_IbLb0EEEEDaSS_ST_EUlSS_E_NS1_11comp_targetILNS1_3genE4ELNS1_11target_archE910ELNS1_3gpuE8ELNS1_3repE0EEENS1_30default_config_static_selectorELNS0_4arch9wavefront6targetE0EEEvT1_ ; -- Begin function _ZN7rocprim17ROCPRIM_400000_NS6detail17trampoline_kernelINS0_14default_configENS1_27scan_by_key_config_selectorIllEEZZNS1_16scan_by_key_implILNS1_25lookback_scan_determinismE0ELb0ES3_PKlN6hipcub16HIPCUB_304000_NS21ConstantInputIteratorIllEEPllNSB_3SumENSB_8EqualityElEE10hipError_tPvRmT2_T3_T4_T5_mT6_T7_P12ihipStream_tbENKUlT_T0_E_clISt17integral_constantIbLb1EESW_IbLb0EEEEDaSS_ST_EUlSS_E_NS1_11comp_targetILNS1_3genE4ELNS1_11target_archE910ELNS1_3gpuE8ELNS1_3repE0EEENS1_30default_config_static_selectorELNS0_4arch9wavefront6targetE0EEEvT1_
	.globl	_ZN7rocprim17ROCPRIM_400000_NS6detail17trampoline_kernelINS0_14default_configENS1_27scan_by_key_config_selectorIllEEZZNS1_16scan_by_key_implILNS1_25lookback_scan_determinismE0ELb0ES3_PKlN6hipcub16HIPCUB_304000_NS21ConstantInputIteratorIllEEPllNSB_3SumENSB_8EqualityElEE10hipError_tPvRmT2_T3_T4_T5_mT6_T7_P12ihipStream_tbENKUlT_T0_E_clISt17integral_constantIbLb1EESW_IbLb0EEEEDaSS_ST_EUlSS_E_NS1_11comp_targetILNS1_3genE4ELNS1_11target_archE910ELNS1_3gpuE8ELNS1_3repE0EEENS1_30default_config_static_selectorELNS0_4arch9wavefront6targetE0EEEvT1_
	.p2align	8
	.type	_ZN7rocprim17ROCPRIM_400000_NS6detail17trampoline_kernelINS0_14default_configENS1_27scan_by_key_config_selectorIllEEZZNS1_16scan_by_key_implILNS1_25lookback_scan_determinismE0ELb0ES3_PKlN6hipcub16HIPCUB_304000_NS21ConstantInputIteratorIllEEPllNSB_3SumENSB_8EqualityElEE10hipError_tPvRmT2_T3_T4_T5_mT6_T7_P12ihipStream_tbENKUlT_T0_E_clISt17integral_constantIbLb1EESW_IbLb0EEEEDaSS_ST_EUlSS_E_NS1_11comp_targetILNS1_3genE4ELNS1_11target_archE910ELNS1_3gpuE8ELNS1_3repE0EEENS1_30default_config_static_selectorELNS0_4arch9wavefront6targetE0EEEvT1_,@function
_ZN7rocprim17ROCPRIM_400000_NS6detail17trampoline_kernelINS0_14default_configENS1_27scan_by_key_config_selectorIllEEZZNS1_16scan_by_key_implILNS1_25lookback_scan_determinismE0ELb0ES3_PKlN6hipcub16HIPCUB_304000_NS21ConstantInputIteratorIllEEPllNSB_3SumENSB_8EqualityElEE10hipError_tPvRmT2_T3_T4_T5_mT6_T7_P12ihipStream_tbENKUlT_T0_E_clISt17integral_constantIbLb1EESW_IbLb0EEEEDaSS_ST_EUlSS_E_NS1_11comp_targetILNS1_3genE4ELNS1_11target_archE910ELNS1_3gpuE8ELNS1_3repE0EEENS1_30default_config_static_selectorELNS0_4arch9wavefront6targetE0EEEvT1_: ; @_ZN7rocprim17ROCPRIM_400000_NS6detail17trampoline_kernelINS0_14default_configENS1_27scan_by_key_config_selectorIllEEZZNS1_16scan_by_key_implILNS1_25lookback_scan_determinismE0ELb0ES3_PKlN6hipcub16HIPCUB_304000_NS21ConstantInputIteratorIllEEPllNSB_3SumENSB_8EqualityElEE10hipError_tPvRmT2_T3_T4_T5_mT6_T7_P12ihipStream_tbENKUlT_T0_E_clISt17integral_constantIbLb1EESW_IbLb0EEEEDaSS_ST_EUlSS_E_NS1_11comp_targetILNS1_3genE4ELNS1_11target_archE910ELNS1_3gpuE8ELNS1_3repE0EEENS1_30default_config_static_selectorELNS0_4arch9wavefront6targetE0EEEvT1_
; %bb.0:
	.section	.rodata,"a",@progbits
	.p2align	6, 0x0
	.amdhsa_kernel _ZN7rocprim17ROCPRIM_400000_NS6detail17trampoline_kernelINS0_14default_configENS1_27scan_by_key_config_selectorIllEEZZNS1_16scan_by_key_implILNS1_25lookback_scan_determinismE0ELb0ES3_PKlN6hipcub16HIPCUB_304000_NS21ConstantInputIteratorIllEEPllNSB_3SumENSB_8EqualityElEE10hipError_tPvRmT2_T3_T4_T5_mT6_T7_P12ihipStream_tbENKUlT_T0_E_clISt17integral_constantIbLb1EESW_IbLb0EEEEDaSS_ST_EUlSS_E_NS1_11comp_targetILNS1_3genE4ELNS1_11target_archE910ELNS1_3gpuE8ELNS1_3repE0EEENS1_30default_config_static_selectorELNS0_4arch9wavefront6targetE0EEEvT1_
		.amdhsa_group_segment_fixed_size 0
		.amdhsa_private_segment_fixed_size 0
		.amdhsa_kernarg_size 144
		.amdhsa_user_sgpr_count 6
		.amdhsa_user_sgpr_private_segment_buffer 1
		.amdhsa_user_sgpr_dispatch_ptr 0
		.amdhsa_user_sgpr_queue_ptr 0
		.amdhsa_user_sgpr_kernarg_segment_ptr 1
		.amdhsa_user_sgpr_dispatch_id 0
		.amdhsa_user_sgpr_flat_scratch_init 0
		.amdhsa_user_sgpr_private_segment_size 0
		.amdhsa_wavefront_size32 1
		.amdhsa_uses_dynamic_stack 0
		.amdhsa_system_sgpr_private_segment_wavefront_offset 0
		.amdhsa_system_sgpr_workgroup_id_x 1
		.amdhsa_system_sgpr_workgroup_id_y 0
		.amdhsa_system_sgpr_workgroup_id_z 0
		.amdhsa_system_sgpr_workgroup_info 0
		.amdhsa_system_vgpr_workitem_id 0
		.amdhsa_next_free_vgpr 1
		.amdhsa_next_free_sgpr 1
		.amdhsa_reserve_vcc 0
		.amdhsa_reserve_flat_scratch 0
		.amdhsa_float_round_mode_32 0
		.amdhsa_float_round_mode_16_64 0
		.amdhsa_float_denorm_mode_32 3
		.amdhsa_float_denorm_mode_16_64 3
		.amdhsa_dx10_clamp 1
		.amdhsa_ieee_mode 1
		.amdhsa_fp16_overflow 0
		.amdhsa_workgroup_processor_mode 1
		.amdhsa_memory_ordered 1
		.amdhsa_forward_progress 1
		.amdhsa_shared_vgpr_count 0
		.amdhsa_exception_fp_ieee_invalid_op 0
		.amdhsa_exception_fp_denorm_src 0
		.amdhsa_exception_fp_ieee_div_zero 0
		.amdhsa_exception_fp_ieee_overflow 0
		.amdhsa_exception_fp_ieee_underflow 0
		.amdhsa_exception_fp_ieee_inexact 0
		.amdhsa_exception_int_div_zero 0
	.end_amdhsa_kernel
	.section	.text._ZN7rocprim17ROCPRIM_400000_NS6detail17trampoline_kernelINS0_14default_configENS1_27scan_by_key_config_selectorIllEEZZNS1_16scan_by_key_implILNS1_25lookback_scan_determinismE0ELb0ES3_PKlN6hipcub16HIPCUB_304000_NS21ConstantInputIteratorIllEEPllNSB_3SumENSB_8EqualityElEE10hipError_tPvRmT2_T3_T4_T5_mT6_T7_P12ihipStream_tbENKUlT_T0_E_clISt17integral_constantIbLb1EESW_IbLb0EEEEDaSS_ST_EUlSS_E_NS1_11comp_targetILNS1_3genE4ELNS1_11target_archE910ELNS1_3gpuE8ELNS1_3repE0EEENS1_30default_config_static_selectorELNS0_4arch9wavefront6targetE0EEEvT1_,"axG",@progbits,_ZN7rocprim17ROCPRIM_400000_NS6detail17trampoline_kernelINS0_14default_configENS1_27scan_by_key_config_selectorIllEEZZNS1_16scan_by_key_implILNS1_25lookback_scan_determinismE0ELb0ES3_PKlN6hipcub16HIPCUB_304000_NS21ConstantInputIteratorIllEEPllNSB_3SumENSB_8EqualityElEE10hipError_tPvRmT2_T3_T4_T5_mT6_T7_P12ihipStream_tbENKUlT_T0_E_clISt17integral_constantIbLb1EESW_IbLb0EEEEDaSS_ST_EUlSS_E_NS1_11comp_targetILNS1_3genE4ELNS1_11target_archE910ELNS1_3gpuE8ELNS1_3repE0EEENS1_30default_config_static_selectorELNS0_4arch9wavefront6targetE0EEEvT1_,comdat
.Lfunc_end119:
	.size	_ZN7rocprim17ROCPRIM_400000_NS6detail17trampoline_kernelINS0_14default_configENS1_27scan_by_key_config_selectorIllEEZZNS1_16scan_by_key_implILNS1_25lookback_scan_determinismE0ELb0ES3_PKlN6hipcub16HIPCUB_304000_NS21ConstantInputIteratorIllEEPllNSB_3SumENSB_8EqualityElEE10hipError_tPvRmT2_T3_T4_T5_mT6_T7_P12ihipStream_tbENKUlT_T0_E_clISt17integral_constantIbLb1EESW_IbLb0EEEEDaSS_ST_EUlSS_E_NS1_11comp_targetILNS1_3genE4ELNS1_11target_archE910ELNS1_3gpuE8ELNS1_3repE0EEENS1_30default_config_static_selectorELNS0_4arch9wavefront6targetE0EEEvT1_, .Lfunc_end119-_ZN7rocprim17ROCPRIM_400000_NS6detail17trampoline_kernelINS0_14default_configENS1_27scan_by_key_config_selectorIllEEZZNS1_16scan_by_key_implILNS1_25lookback_scan_determinismE0ELb0ES3_PKlN6hipcub16HIPCUB_304000_NS21ConstantInputIteratorIllEEPllNSB_3SumENSB_8EqualityElEE10hipError_tPvRmT2_T3_T4_T5_mT6_T7_P12ihipStream_tbENKUlT_T0_E_clISt17integral_constantIbLb1EESW_IbLb0EEEEDaSS_ST_EUlSS_E_NS1_11comp_targetILNS1_3genE4ELNS1_11target_archE910ELNS1_3gpuE8ELNS1_3repE0EEENS1_30default_config_static_selectorELNS0_4arch9wavefront6targetE0EEEvT1_
                                        ; -- End function
	.set _ZN7rocprim17ROCPRIM_400000_NS6detail17trampoline_kernelINS0_14default_configENS1_27scan_by_key_config_selectorIllEEZZNS1_16scan_by_key_implILNS1_25lookback_scan_determinismE0ELb0ES3_PKlN6hipcub16HIPCUB_304000_NS21ConstantInputIteratorIllEEPllNSB_3SumENSB_8EqualityElEE10hipError_tPvRmT2_T3_T4_T5_mT6_T7_P12ihipStream_tbENKUlT_T0_E_clISt17integral_constantIbLb1EESW_IbLb0EEEEDaSS_ST_EUlSS_E_NS1_11comp_targetILNS1_3genE4ELNS1_11target_archE910ELNS1_3gpuE8ELNS1_3repE0EEENS1_30default_config_static_selectorELNS0_4arch9wavefront6targetE0EEEvT1_.num_vgpr, 0
	.set _ZN7rocprim17ROCPRIM_400000_NS6detail17trampoline_kernelINS0_14default_configENS1_27scan_by_key_config_selectorIllEEZZNS1_16scan_by_key_implILNS1_25lookback_scan_determinismE0ELb0ES3_PKlN6hipcub16HIPCUB_304000_NS21ConstantInputIteratorIllEEPllNSB_3SumENSB_8EqualityElEE10hipError_tPvRmT2_T3_T4_T5_mT6_T7_P12ihipStream_tbENKUlT_T0_E_clISt17integral_constantIbLb1EESW_IbLb0EEEEDaSS_ST_EUlSS_E_NS1_11comp_targetILNS1_3genE4ELNS1_11target_archE910ELNS1_3gpuE8ELNS1_3repE0EEENS1_30default_config_static_selectorELNS0_4arch9wavefront6targetE0EEEvT1_.num_agpr, 0
	.set _ZN7rocprim17ROCPRIM_400000_NS6detail17trampoline_kernelINS0_14default_configENS1_27scan_by_key_config_selectorIllEEZZNS1_16scan_by_key_implILNS1_25lookback_scan_determinismE0ELb0ES3_PKlN6hipcub16HIPCUB_304000_NS21ConstantInputIteratorIllEEPllNSB_3SumENSB_8EqualityElEE10hipError_tPvRmT2_T3_T4_T5_mT6_T7_P12ihipStream_tbENKUlT_T0_E_clISt17integral_constantIbLb1EESW_IbLb0EEEEDaSS_ST_EUlSS_E_NS1_11comp_targetILNS1_3genE4ELNS1_11target_archE910ELNS1_3gpuE8ELNS1_3repE0EEENS1_30default_config_static_selectorELNS0_4arch9wavefront6targetE0EEEvT1_.numbered_sgpr, 0
	.set _ZN7rocprim17ROCPRIM_400000_NS6detail17trampoline_kernelINS0_14default_configENS1_27scan_by_key_config_selectorIllEEZZNS1_16scan_by_key_implILNS1_25lookback_scan_determinismE0ELb0ES3_PKlN6hipcub16HIPCUB_304000_NS21ConstantInputIteratorIllEEPllNSB_3SumENSB_8EqualityElEE10hipError_tPvRmT2_T3_T4_T5_mT6_T7_P12ihipStream_tbENKUlT_T0_E_clISt17integral_constantIbLb1EESW_IbLb0EEEEDaSS_ST_EUlSS_E_NS1_11comp_targetILNS1_3genE4ELNS1_11target_archE910ELNS1_3gpuE8ELNS1_3repE0EEENS1_30default_config_static_selectorELNS0_4arch9wavefront6targetE0EEEvT1_.num_named_barrier, 0
	.set _ZN7rocprim17ROCPRIM_400000_NS6detail17trampoline_kernelINS0_14default_configENS1_27scan_by_key_config_selectorIllEEZZNS1_16scan_by_key_implILNS1_25lookback_scan_determinismE0ELb0ES3_PKlN6hipcub16HIPCUB_304000_NS21ConstantInputIteratorIllEEPllNSB_3SumENSB_8EqualityElEE10hipError_tPvRmT2_T3_T4_T5_mT6_T7_P12ihipStream_tbENKUlT_T0_E_clISt17integral_constantIbLb1EESW_IbLb0EEEEDaSS_ST_EUlSS_E_NS1_11comp_targetILNS1_3genE4ELNS1_11target_archE910ELNS1_3gpuE8ELNS1_3repE0EEENS1_30default_config_static_selectorELNS0_4arch9wavefront6targetE0EEEvT1_.private_seg_size, 0
	.set _ZN7rocprim17ROCPRIM_400000_NS6detail17trampoline_kernelINS0_14default_configENS1_27scan_by_key_config_selectorIllEEZZNS1_16scan_by_key_implILNS1_25lookback_scan_determinismE0ELb0ES3_PKlN6hipcub16HIPCUB_304000_NS21ConstantInputIteratorIllEEPllNSB_3SumENSB_8EqualityElEE10hipError_tPvRmT2_T3_T4_T5_mT6_T7_P12ihipStream_tbENKUlT_T0_E_clISt17integral_constantIbLb1EESW_IbLb0EEEEDaSS_ST_EUlSS_E_NS1_11comp_targetILNS1_3genE4ELNS1_11target_archE910ELNS1_3gpuE8ELNS1_3repE0EEENS1_30default_config_static_selectorELNS0_4arch9wavefront6targetE0EEEvT1_.uses_vcc, 0
	.set _ZN7rocprim17ROCPRIM_400000_NS6detail17trampoline_kernelINS0_14default_configENS1_27scan_by_key_config_selectorIllEEZZNS1_16scan_by_key_implILNS1_25lookback_scan_determinismE0ELb0ES3_PKlN6hipcub16HIPCUB_304000_NS21ConstantInputIteratorIllEEPllNSB_3SumENSB_8EqualityElEE10hipError_tPvRmT2_T3_T4_T5_mT6_T7_P12ihipStream_tbENKUlT_T0_E_clISt17integral_constantIbLb1EESW_IbLb0EEEEDaSS_ST_EUlSS_E_NS1_11comp_targetILNS1_3genE4ELNS1_11target_archE910ELNS1_3gpuE8ELNS1_3repE0EEENS1_30default_config_static_selectorELNS0_4arch9wavefront6targetE0EEEvT1_.uses_flat_scratch, 0
	.set _ZN7rocprim17ROCPRIM_400000_NS6detail17trampoline_kernelINS0_14default_configENS1_27scan_by_key_config_selectorIllEEZZNS1_16scan_by_key_implILNS1_25lookback_scan_determinismE0ELb0ES3_PKlN6hipcub16HIPCUB_304000_NS21ConstantInputIteratorIllEEPllNSB_3SumENSB_8EqualityElEE10hipError_tPvRmT2_T3_T4_T5_mT6_T7_P12ihipStream_tbENKUlT_T0_E_clISt17integral_constantIbLb1EESW_IbLb0EEEEDaSS_ST_EUlSS_E_NS1_11comp_targetILNS1_3genE4ELNS1_11target_archE910ELNS1_3gpuE8ELNS1_3repE0EEENS1_30default_config_static_selectorELNS0_4arch9wavefront6targetE0EEEvT1_.has_dyn_sized_stack, 0
	.set _ZN7rocprim17ROCPRIM_400000_NS6detail17trampoline_kernelINS0_14default_configENS1_27scan_by_key_config_selectorIllEEZZNS1_16scan_by_key_implILNS1_25lookback_scan_determinismE0ELb0ES3_PKlN6hipcub16HIPCUB_304000_NS21ConstantInputIteratorIllEEPllNSB_3SumENSB_8EqualityElEE10hipError_tPvRmT2_T3_T4_T5_mT6_T7_P12ihipStream_tbENKUlT_T0_E_clISt17integral_constantIbLb1EESW_IbLb0EEEEDaSS_ST_EUlSS_E_NS1_11comp_targetILNS1_3genE4ELNS1_11target_archE910ELNS1_3gpuE8ELNS1_3repE0EEENS1_30default_config_static_selectorELNS0_4arch9wavefront6targetE0EEEvT1_.has_recursion, 0
	.set _ZN7rocprim17ROCPRIM_400000_NS6detail17trampoline_kernelINS0_14default_configENS1_27scan_by_key_config_selectorIllEEZZNS1_16scan_by_key_implILNS1_25lookback_scan_determinismE0ELb0ES3_PKlN6hipcub16HIPCUB_304000_NS21ConstantInputIteratorIllEEPllNSB_3SumENSB_8EqualityElEE10hipError_tPvRmT2_T3_T4_T5_mT6_T7_P12ihipStream_tbENKUlT_T0_E_clISt17integral_constantIbLb1EESW_IbLb0EEEEDaSS_ST_EUlSS_E_NS1_11comp_targetILNS1_3genE4ELNS1_11target_archE910ELNS1_3gpuE8ELNS1_3repE0EEENS1_30default_config_static_selectorELNS0_4arch9wavefront6targetE0EEEvT1_.has_indirect_call, 0
	.section	.AMDGPU.csdata,"",@progbits
; Kernel info:
; codeLenInByte = 0
; TotalNumSgprs: 0
; NumVgprs: 0
; ScratchSize: 0
; MemoryBound: 0
; FloatMode: 240
; IeeeMode: 1
; LDSByteSize: 0 bytes/workgroup (compile time only)
; SGPRBlocks: 0
; VGPRBlocks: 0
; NumSGPRsForWavesPerEU: 1
; NumVGPRsForWavesPerEU: 1
; Occupancy: 16
; WaveLimiterHint : 0
; COMPUTE_PGM_RSRC2:SCRATCH_EN: 0
; COMPUTE_PGM_RSRC2:USER_SGPR: 6
; COMPUTE_PGM_RSRC2:TRAP_HANDLER: 0
; COMPUTE_PGM_RSRC2:TGID_X_EN: 1
; COMPUTE_PGM_RSRC2:TGID_Y_EN: 0
; COMPUTE_PGM_RSRC2:TGID_Z_EN: 0
; COMPUTE_PGM_RSRC2:TIDIG_COMP_CNT: 0
	.section	.text._ZN7rocprim17ROCPRIM_400000_NS6detail17trampoline_kernelINS0_14default_configENS1_27scan_by_key_config_selectorIllEEZZNS1_16scan_by_key_implILNS1_25lookback_scan_determinismE0ELb0ES3_PKlN6hipcub16HIPCUB_304000_NS21ConstantInputIteratorIllEEPllNSB_3SumENSB_8EqualityElEE10hipError_tPvRmT2_T3_T4_T5_mT6_T7_P12ihipStream_tbENKUlT_T0_E_clISt17integral_constantIbLb1EESW_IbLb0EEEEDaSS_ST_EUlSS_E_NS1_11comp_targetILNS1_3genE3ELNS1_11target_archE908ELNS1_3gpuE7ELNS1_3repE0EEENS1_30default_config_static_selectorELNS0_4arch9wavefront6targetE0EEEvT1_,"axG",@progbits,_ZN7rocprim17ROCPRIM_400000_NS6detail17trampoline_kernelINS0_14default_configENS1_27scan_by_key_config_selectorIllEEZZNS1_16scan_by_key_implILNS1_25lookback_scan_determinismE0ELb0ES3_PKlN6hipcub16HIPCUB_304000_NS21ConstantInputIteratorIllEEPllNSB_3SumENSB_8EqualityElEE10hipError_tPvRmT2_T3_T4_T5_mT6_T7_P12ihipStream_tbENKUlT_T0_E_clISt17integral_constantIbLb1EESW_IbLb0EEEEDaSS_ST_EUlSS_E_NS1_11comp_targetILNS1_3genE3ELNS1_11target_archE908ELNS1_3gpuE7ELNS1_3repE0EEENS1_30default_config_static_selectorELNS0_4arch9wavefront6targetE0EEEvT1_,comdat
	.protected	_ZN7rocprim17ROCPRIM_400000_NS6detail17trampoline_kernelINS0_14default_configENS1_27scan_by_key_config_selectorIllEEZZNS1_16scan_by_key_implILNS1_25lookback_scan_determinismE0ELb0ES3_PKlN6hipcub16HIPCUB_304000_NS21ConstantInputIteratorIllEEPllNSB_3SumENSB_8EqualityElEE10hipError_tPvRmT2_T3_T4_T5_mT6_T7_P12ihipStream_tbENKUlT_T0_E_clISt17integral_constantIbLb1EESW_IbLb0EEEEDaSS_ST_EUlSS_E_NS1_11comp_targetILNS1_3genE3ELNS1_11target_archE908ELNS1_3gpuE7ELNS1_3repE0EEENS1_30default_config_static_selectorELNS0_4arch9wavefront6targetE0EEEvT1_ ; -- Begin function _ZN7rocprim17ROCPRIM_400000_NS6detail17trampoline_kernelINS0_14default_configENS1_27scan_by_key_config_selectorIllEEZZNS1_16scan_by_key_implILNS1_25lookback_scan_determinismE0ELb0ES3_PKlN6hipcub16HIPCUB_304000_NS21ConstantInputIteratorIllEEPllNSB_3SumENSB_8EqualityElEE10hipError_tPvRmT2_T3_T4_T5_mT6_T7_P12ihipStream_tbENKUlT_T0_E_clISt17integral_constantIbLb1EESW_IbLb0EEEEDaSS_ST_EUlSS_E_NS1_11comp_targetILNS1_3genE3ELNS1_11target_archE908ELNS1_3gpuE7ELNS1_3repE0EEENS1_30default_config_static_selectorELNS0_4arch9wavefront6targetE0EEEvT1_
	.globl	_ZN7rocprim17ROCPRIM_400000_NS6detail17trampoline_kernelINS0_14default_configENS1_27scan_by_key_config_selectorIllEEZZNS1_16scan_by_key_implILNS1_25lookback_scan_determinismE0ELb0ES3_PKlN6hipcub16HIPCUB_304000_NS21ConstantInputIteratorIllEEPllNSB_3SumENSB_8EqualityElEE10hipError_tPvRmT2_T3_T4_T5_mT6_T7_P12ihipStream_tbENKUlT_T0_E_clISt17integral_constantIbLb1EESW_IbLb0EEEEDaSS_ST_EUlSS_E_NS1_11comp_targetILNS1_3genE3ELNS1_11target_archE908ELNS1_3gpuE7ELNS1_3repE0EEENS1_30default_config_static_selectorELNS0_4arch9wavefront6targetE0EEEvT1_
	.p2align	8
	.type	_ZN7rocprim17ROCPRIM_400000_NS6detail17trampoline_kernelINS0_14default_configENS1_27scan_by_key_config_selectorIllEEZZNS1_16scan_by_key_implILNS1_25lookback_scan_determinismE0ELb0ES3_PKlN6hipcub16HIPCUB_304000_NS21ConstantInputIteratorIllEEPllNSB_3SumENSB_8EqualityElEE10hipError_tPvRmT2_T3_T4_T5_mT6_T7_P12ihipStream_tbENKUlT_T0_E_clISt17integral_constantIbLb1EESW_IbLb0EEEEDaSS_ST_EUlSS_E_NS1_11comp_targetILNS1_3genE3ELNS1_11target_archE908ELNS1_3gpuE7ELNS1_3repE0EEENS1_30default_config_static_selectorELNS0_4arch9wavefront6targetE0EEEvT1_,@function
_ZN7rocprim17ROCPRIM_400000_NS6detail17trampoline_kernelINS0_14default_configENS1_27scan_by_key_config_selectorIllEEZZNS1_16scan_by_key_implILNS1_25lookback_scan_determinismE0ELb0ES3_PKlN6hipcub16HIPCUB_304000_NS21ConstantInputIteratorIllEEPllNSB_3SumENSB_8EqualityElEE10hipError_tPvRmT2_T3_T4_T5_mT6_T7_P12ihipStream_tbENKUlT_T0_E_clISt17integral_constantIbLb1EESW_IbLb0EEEEDaSS_ST_EUlSS_E_NS1_11comp_targetILNS1_3genE3ELNS1_11target_archE908ELNS1_3gpuE7ELNS1_3repE0EEENS1_30default_config_static_selectorELNS0_4arch9wavefront6targetE0EEEvT1_: ; @_ZN7rocprim17ROCPRIM_400000_NS6detail17trampoline_kernelINS0_14default_configENS1_27scan_by_key_config_selectorIllEEZZNS1_16scan_by_key_implILNS1_25lookback_scan_determinismE0ELb0ES3_PKlN6hipcub16HIPCUB_304000_NS21ConstantInputIteratorIllEEPllNSB_3SumENSB_8EqualityElEE10hipError_tPvRmT2_T3_T4_T5_mT6_T7_P12ihipStream_tbENKUlT_T0_E_clISt17integral_constantIbLb1EESW_IbLb0EEEEDaSS_ST_EUlSS_E_NS1_11comp_targetILNS1_3genE3ELNS1_11target_archE908ELNS1_3gpuE7ELNS1_3repE0EEENS1_30default_config_static_selectorELNS0_4arch9wavefront6targetE0EEEvT1_
; %bb.0:
	.section	.rodata,"a",@progbits
	.p2align	6, 0x0
	.amdhsa_kernel _ZN7rocprim17ROCPRIM_400000_NS6detail17trampoline_kernelINS0_14default_configENS1_27scan_by_key_config_selectorIllEEZZNS1_16scan_by_key_implILNS1_25lookback_scan_determinismE0ELb0ES3_PKlN6hipcub16HIPCUB_304000_NS21ConstantInputIteratorIllEEPllNSB_3SumENSB_8EqualityElEE10hipError_tPvRmT2_T3_T4_T5_mT6_T7_P12ihipStream_tbENKUlT_T0_E_clISt17integral_constantIbLb1EESW_IbLb0EEEEDaSS_ST_EUlSS_E_NS1_11comp_targetILNS1_3genE3ELNS1_11target_archE908ELNS1_3gpuE7ELNS1_3repE0EEENS1_30default_config_static_selectorELNS0_4arch9wavefront6targetE0EEEvT1_
		.amdhsa_group_segment_fixed_size 0
		.amdhsa_private_segment_fixed_size 0
		.amdhsa_kernarg_size 144
		.amdhsa_user_sgpr_count 6
		.amdhsa_user_sgpr_private_segment_buffer 1
		.amdhsa_user_sgpr_dispatch_ptr 0
		.amdhsa_user_sgpr_queue_ptr 0
		.amdhsa_user_sgpr_kernarg_segment_ptr 1
		.amdhsa_user_sgpr_dispatch_id 0
		.amdhsa_user_sgpr_flat_scratch_init 0
		.amdhsa_user_sgpr_private_segment_size 0
		.amdhsa_wavefront_size32 1
		.amdhsa_uses_dynamic_stack 0
		.amdhsa_system_sgpr_private_segment_wavefront_offset 0
		.amdhsa_system_sgpr_workgroup_id_x 1
		.amdhsa_system_sgpr_workgroup_id_y 0
		.amdhsa_system_sgpr_workgroup_id_z 0
		.amdhsa_system_sgpr_workgroup_info 0
		.amdhsa_system_vgpr_workitem_id 0
		.amdhsa_next_free_vgpr 1
		.amdhsa_next_free_sgpr 1
		.amdhsa_reserve_vcc 0
		.amdhsa_reserve_flat_scratch 0
		.amdhsa_float_round_mode_32 0
		.amdhsa_float_round_mode_16_64 0
		.amdhsa_float_denorm_mode_32 3
		.amdhsa_float_denorm_mode_16_64 3
		.amdhsa_dx10_clamp 1
		.amdhsa_ieee_mode 1
		.amdhsa_fp16_overflow 0
		.amdhsa_workgroup_processor_mode 1
		.amdhsa_memory_ordered 1
		.amdhsa_forward_progress 1
		.amdhsa_shared_vgpr_count 0
		.amdhsa_exception_fp_ieee_invalid_op 0
		.amdhsa_exception_fp_denorm_src 0
		.amdhsa_exception_fp_ieee_div_zero 0
		.amdhsa_exception_fp_ieee_overflow 0
		.amdhsa_exception_fp_ieee_underflow 0
		.amdhsa_exception_fp_ieee_inexact 0
		.amdhsa_exception_int_div_zero 0
	.end_amdhsa_kernel
	.section	.text._ZN7rocprim17ROCPRIM_400000_NS6detail17trampoline_kernelINS0_14default_configENS1_27scan_by_key_config_selectorIllEEZZNS1_16scan_by_key_implILNS1_25lookback_scan_determinismE0ELb0ES3_PKlN6hipcub16HIPCUB_304000_NS21ConstantInputIteratorIllEEPllNSB_3SumENSB_8EqualityElEE10hipError_tPvRmT2_T3_T4_T5_mT6_T7_P12ihipStream_tbENKUlT_T0_E_clISt17integral_constantIbLb1EESW_IbLb0EEEEDaSS_ST_EUlSS_E_NS1_11comp_targetILNS1_3genE3ELNS1_11target_archE908ELNS1_3gpuE7ELNS1_3repE0EEENS1_30default_config_static_selectorELNS0_4arch9wavefront6targetE0EEEvT1_,"axG",@progbits,_ZN7rocprim17ROCPRIM_400000_NS6detail17trampoline_kernelINS0_14default_configENS1_27scan_by_key_config_selectorIllEEZZNS1_16scan_by_key_implILNS1_25lookback_scan_determinismE0ELb0ES3_PKlN6hipcub16HIPCUB_304000_NS21ConstantInputIteratorIllEEPllNSB_3SumENSB_8EqualityElEE10hipError_tPvRmT2_T3_T4_T5_mT6_T7_P12ihipStream_tbENKUlT_T0_E_clISt17integral_constantIbLb1EESW_IbLb0EEEEDaSS_ST_EUlSS_E_NS1_11comp_targetILNS1_3genE3ELNS1_11target_archE908ELNS1_3gpuE7ELNS1_3repE0EEENS1_30default_config_static_selectorELNS0_4arch9wavefront6targetE0EEEvT1_,comdat
.Lfunc_end120:
	.size	_ZN7rocprim17ROCPRIM_400000_NS6detail17trampoline_kernelINS0_14default_configENS1_27scan_by_key_config_selectorIllEEZZNS1_16scan_by_key_implILNS1_25lookback_scan_determinismE0ELb0ES3_PKlN6hipcub16HIPCUB_304000_NS21ConstantInputIteratorIllEEPllNSB_3SumENSB_8EqualityElEE10hipError_tPvRmT2_T3_T4_T5_mT6_T7_P12ihipStream_tbENKUlT_T0_E_clISt17integral_constantIbLb1EESW_IbLb0EEEEDaSS_ST_EUlSS_E_NS1_11comp_targetILNS1_3genE3ELNS1_11target_archE908ELNS1_3gpuE7ELNS1_3repE0EEENS1_30default_config_static_selectorELNS0_4arch9wavefront6targetE0EEEvT1_, .Lfunc_end120-_ZN7rocprim17ROCPRIM_400000_NS6detail17trampoline_kernelINS0_14default_configENS1_27scan_by_key_config_selectorIllEEZZNS1_16scan_by_key_implILNS1_25lookback_scan_determinismE0ELb0ES3_PKlN6hipcub16HIPCUB_304000_NS21ConstantInputIteratorIllEEPllNSB_3SumENSB_8EqualityElEE10hipError_tPvRmT2_T3_T4_T5_mT6_T7_P12ihipStream_tbENKUlT_T0_E_clISt17integral_constantIbLb1EESW_IbLb0EEEEDaSS_ST_EUlSS_E_NS1_11comp_targetILNS1_3genE3ELNS1_11target_archE908ELNS1_3gpuE7ELNS1_3repE0EEENS1_30default_config_static_selectorELNS0_4arch9wavefront6targetE0EEEvT1_
                                        ; -- End function
	.set _ZN7rocprim17ROCPRIM_400000_NS6detail17trampoline_kernelINS0_14default_configENS1_27scan_by_key_config_selectorIllEEZZNS1_16scan_by_key_implILNS1_25lookback_scan_determinismE0ELb0ES3_PKlN6hipcub16HIPCUB_304000_NS21ConstantInputIteratorIllEEPllNSB_3SumENSB_8EqualityElEE10hipError_tPvRmT2_T3_T4_T5_mT6_T7_P12ihipStream_tbENKUlT_T0_E_clISt17integral_constantIbLb1EESW_IbLb0EEEEDaSS_ST_EUlSS_E_NS1_11comp_targetILNS1_3genE3ELNS1_11target_archE908ELNS1_3gpuE7ELNS1_3repE0EEENS1_30default_config_static_selectorELNS0_4arch9wavefront6targetE0EEEvT1_.num_vgpr, 0
	.set _ZN7rocprim17ROCPRIM_400000_NS6detail17trampoline_kernelINS0_14default_configENS1_27scan_by_key_config_selectorIllEEZZNS1_16scan_by_key_implILNS1_25lookback_scan_determinismE0ELb0ES3_PKlN6hipcub16HIPCUB_304000_NS21ConstantInputIteratorIllEEPllNSB_3SumENSB_8EqualityElEE10hipError_tPvRmT2_T3_T4_T5_mT6_T7_P12ihipStream_tbENKUlT_T0_E_clISt17integral_constantIbLb1EESW_IbLb0EEEEDaSS_ST_EUlSS_E_NS1_11comp_targetILNS1_3genE3ELNS1_11target_archE908ELNS1_3gpuE7ELNS1_3repE0EEENS1_30default_config_static_selectorELNS0_4arch9wavefront6targetE0EEEvT1_.num_agpr, 0
	.set _ZN7rocprim17ROCPRIM_400000_NS6detail17trampoline_kernelINS0_14default_configENS1_27scan_by_key_config_selectorIllEEZZNS1_16scan_by_key_implILNS1_25lookback_scan_determinismE0ELb0ES3_PKlN6hipcub16HIPCUB_304000_NS21ConstantInputIteratorIllEEPllNSB_3SumENSB_8EqualityElEE10hipError_tPvRmT2_T3_T4_T5_mT6_T7_P12ihipStream_tbENKUlT_T0_E_clISt17integral_constantIbLb1EESW_IbLb0EEEEDaSS_ST_EUlSS_E_NS1_11comp_targetILNS1_3genE3ELNS1_11target_archE908ELNS1_3gpuE7ELNS1_3repE0EEENS1_30default_config_static_selectorELNS0_4arch9wavefront6targetE0EEEvT1_.numbered_sgpr, 0
	.set _ZN7rocprim17ROCPRIM_400000_NS6detail17trampoline_kernelINS0_14default_configENS1_27scan_by_key_config_selectorIllEEZZNS1_16scan_by_key_implILNS1_25lookback_scan_determinismE0ELb0ES3_PKlN6hipcub16HIPCUB_304000_NS21ConstantInputIteratorIllEEPllNSB_3SumENSB_8EqualityElEE10hipError_tPvRmT2_T3_T4_T5_mT6_T7_P12ihipStream_tbENKUlT_T0_E_clISt17integral_constantIbLb1EESW_IbLb0EEEEDaSS_ST_EUlSS_E_NS1_11comp_targetILNS1_3genE3ELNS1_11target_archE908ELNS1_3gpuE7ELNS1_3repE0EEENS1_30default_config_static_selectorELNS0_4arch9wavefront6targetE0EEEvT1_.num_named_barrier, 0
	.set _ZN7rocprim17ROCPRIM_400000_NS6detail17trampoline_kernelINS0_14default_configENS1_27scan_by_key_config_selectorIllEEZZNS1_16scan_by_key_implILNS1_25lookback_scan_determinismE0ELb0ES3_PKlN6hipcub16HIPCUB_304000_NS21ConstantInputIteratorIllEEPllNSB_3SumENSB_8EqualityElEE10hipError_tPvRmT2_T3_T4_T5_mT6_T7_P12ihipStream_tbENKUlT_T0_E_clISt17integral_constantIbLb1EESW_IbLb0EEEEDaSS_ST_EUlSS_E_NS1_11comp_targetILNS1_3genE3ELNS1_11target_archE908ELNS1_3gpuE7ELNS1_3repE0EEENS1_30default_config_static_selectorELNS0_4arch9wavefront6targetE0EEEvT1_.private_seg_size, 0
	.set _ZN7rocprim17ROCPRIM_400000_NS6detail17trampoline_kernelINS0_14default_configENS1_27scan_by_key_config_selectorIllEEZZNS1_16scan_by_key_implILNS1_25lookback_scan_determinismE0ELb0ES3_PKlN6hipcub16HIPCUB_304000_NS21ConstantInputIteratorIllEEPllNSB_3SumENSB_8EqualityElEE10hipError_tPvRmT2_T3_T4_T5_mT6_T7_P12ihipStream_tbENKUlT_T0_E_clISt17integral_constantIbLb1EESW_IbLb0EEEEDaSS_ST_EUlSS_E_NS1_11comp_targetILNS1_3genE3ELNS1_11target_archE908ELNS1_3gpuE7ELNS1_3repE0EEENS1_30default_config_static_selectorELNS0_4arch9wavefront6targetE0EEEvT1_.uses_vcc, 0
	.set _ZN7rocprim17ROCPRIM_400000_NS6detail17trampoline_kernelINS0_14default_configENS1_27scan_by_key_config_selectorIllEEZZNS1_16scan_by_key_implILNS1_25lookback_scan_determinismE0ELb0ES3_PKlN6hipcub16HIPCUB_304000_NS21ConstantInputIteratorIllEEPllNSB_3SumENSB_8EqualityElEE10hipError_tPvRmT2_T3_T4_T5_mT6_T7_P12ihipStream_tbENKUlT_T0_E_clISt17integral_constantIbLb1EESW_IbLb0EEEEDaSS_ST_EUlSS_E_NS1_11comp_targetILNS1_3genE3ELNS1_11target_archE908ELNS1_3gpuE7ELNS1_3repE0EEENS1_30default_config_static_selectorELNS0_4arch9wavefront6targetE0EEEvT1_.uses_flat_scratch, 0
	.set _ZN7rocprim17ROCPRIM_400000_NS6detail17trampoline_kernelINS0_14default_configENS1_27scan_by_key_config_selectorIllEEZZNS1_16scan_by_key_implILNS1_25lookback_scan_determinismE0ELb0ES3_PKlN6hipcub16HIPCUB_304000_NS21ConstantInputIteratorIllEEPllNSB_3SumENSB_8EqualityElEE10hipError_tPvRmT2_T3_T4_T5_mT6_T7_P12ihipStream_tbENKUlT_T0_E_clISt17integral_constantIbLb1EESW_IbLb0EEEEDaSS_ST_EUlSS_E_NS1_11comp_targetILNS1_3genE3ELNS1_11target_archE908ELNS1_3gpuE7ELNS1_3repE0EEENS1_30default_config_static_selectorELNS0_4arch9wavefront6targetE0EEEvT1_.has_dyn_sized_stack, 0
	.set _ZN7rocprim17ROCPRIM_400000_NS6detail17trampoline_kernelINS0_14default_configENS1_27scan_by_key_config_selectorIllEEZZNS1_16scan_by_key_implILNS1_25lookback_scan_determinismE0ELb0ES3_PKlN6hipcub16HIPCUB_304000_NS21ConstantInputIteratorIllEEPllNSB_3SumENSB_8EqualityElEE10hipError_tPvRmT2_T3_T4_T5_mT6_T7_P12ihipStream_tbENKUlT_T0_E_clISt17integral_constantIbLb1EESW_IbLb0EEEEDaSS_ST_EUlSS_E_NS1_11comp_targetILNS1_3genE3ELNS1_11target_archE908ELNS1_3gpuE7ELNS1_3repE0EEENS1_30default_config_static_selectorELNS0_4arch9wavefront6targetE0EEEvT1_.has_recursion, 0
	.set _ZN7rocprim17ROCPRIM_400000_NS6detail17trampoline_kernelINS0_14default_configENS1_27scan_by_key_config_selectorIllEEZZNS1_16scan_by_key_implILNS1_25lookback_scan_determinismE0ELb0ES3_PKlN6hipcub16HIPCUB_304000_NS21ConstantInputIteratorIllEEPllNSB_3SumENSB_8EqualityElEE10hipError_tPvRmT2_T3_T4_T5_mT6_T7_P12ihipStream_tbENKUlT_T0_E_clISt17integral_constantIbLb1EESW_IbLb0EEEEDaSS_ST_EUlSS_E_NS1_11comp_targetILNS1_3genE3ELNS1_11target_archE908ELNS1_3gpuE7ELNS1_3repE0EEENS1_30default_config_static_selectorELNS0_4arch9wavefront6targetE0EEEvT1_.has_indirect_call, 0
	.section	.AMDGPU.csdata,"",@progbits
; Kernel info:
; codeLenInByte = 0
; TotalNumSgprs: 0
; NumVgprs: 0
; ScratchSize: 0
; MemoryBound: 0
; FloatMode: 240
; IeeeMode: 1
; LDSByteSize: 0 bytes/workgroup (compile time only)
; SGPRBlocks: 0
; VGPRBlocks: 0
; NumSGPRsForWavesPerEU: 1
; NumVGPRsForWavesPerEU: 1
; Occupancy: 16
; WaveLimiterHint : 0
; COMPUTE_PGM_RSRC2:SCRATCH_EN: 0
; COMPUTE_PGM_RSRC2:USER_SGPR: 6
; COMPUTE_PGM_RSRC2:TRAP_HANDLER: 0
; COMPUTE_PGM_RSRC2:TGID_X_EN: 1
; COMPUTE_PGM_RSRC2:TGID_Y_EN: 0
; COMPUTE_PGM_RSRC2:TGID_Z_EN: 0
; COMPUTE_PGM_RSRC2:TIDIG_COMP_CNT: 0
	.section	.text._ZN7rocprim17ROCPRIM_400000_NS6detail17trampoline_kernelINS0_14default_configENS1_27scan_by_key_config_selectorIllEEZZNS1_16scan_by_key_implILNS1_25lookback_scan_determinismE0ELb0ES3_PKlN6hipcub16HIPCUB_304000_NS21ConstantInputIteratorIllEEPllNSB_3SumENSB_8EqualityElEE10hipError_tPvRmT2_T3_T4_T5_mT6_T7_P12ihipStream_tbENKUlT_T0_E_clISt17integral_constantIbLb1EESW_IbLb0EEEEDaSS_ST_EUlSS_E_NS1_11comp_targetILNS1_3genE2ELNS1_11target_archE906ELNS1_3gpuE6ELNS1_3repE0EEENS1_30default_config_static_selectorELNS0_4arch9wavefront6targetE0EEEvT1_,"axG",@progbits,_ZN7rocprim17ROCPRIM_400000_NS6detail17trampoline_kernelINS0_14default_configENS1_27scan_by_key_config_selectorIllEEZZNS1_16scan_by_key_implILNS1_25lookback_scan_determinismE0ELb0ES3_PKlN6hipcub16HIPCUB_304000_NS21ConstantInputIteratorIllEEPllNSB_3SumENSB_8EqualityElEE10hipError_tPvRmT2_T3_T4_T5_mT6_T7_P12ihipStream_tbENKUlT_T0_E_clISt17integral_constantIbLb1EESW_IbLb0EEEEDaSS_ST_EUlSS_E_NS1_11comp_targetILNS1_3genE2ELNS1_11target_archE906ELNS1_3gpuE6ELNS1_3repE0EEENS1_30default_config_static_selectorELNS0_4arch9wavefront6targetE0EEEvT1_,comdat
	.protected	_ZN7rocprim17ROCPRIM_400000_NS6detail17trampoline_kernelINS0_14default_configENS1_27scan_by_key_config_selectorIllEEZZNS1_16scan_by_key_implILNS1_25lookback_scan_determinismE0ELb0ES3_PKlN6hipcub16HIPCUB_304000_NS21ConstantInputIteratorIllEEPllNSB_3SumENSB_8EqualityElEE10hipError_tPvRmT2_T3_T4_T5_mT6_T7_P12ihipStream_tbENKUlT_T0_E_clISt17integral_constantIbLb1EESW_IbLb0EEEEDaSS_ST_EUlSS_E_NS1_11comp_targetILNS1_3genE2ELNS1_11target_archE906ELNS1_3gpuE6ELNS1_3repE0EEENS1_30default_config_static_selectorELNS0_4arch9wavefront6targetE0EEEvT1_ ; -- Begin function _ZN7rocprim17ROCPRIM_400000_NS6detail17trampoline_kernelINS0_14default_configENS1_27scan_by_key_config_selectorIllEEZZNS1_16scan_by_key_implILNS1_25lookback_scan_determinismE0ELb0ES3_PKlN6hipcub16HIPCUB_304000_NS21ConstantInputIteratorIllEEPllNSB_3SumENSB_8EqualityElEE10hipError_tPvRmT2_T3_T4_T5_mT6_T7_P12ihipStream_tbENKUlT_T0_E_clISt17integral_constantIbLb1EESW_IbLb0EEEEDaSS_ST_EUlSS_E_NS1_11comp_targetILNS1_3genE2ELNS1_11target_archE906ELNS1_3gpuE6ELNS1_3repE0EEENS1_30default_config_static_selectorELNS0_4arch9wavefront6targetE0EEEvT1_
	.globl	_ZN7rocprim17ROCPRIM_400000_NS6detail17trampoline_kernelINS0_14default_configENS1_27scan_by_key_config_selectorIllEEZZNS1_16scan_by_key_implILNS1_25lookback_scan_determinismE0ELb0ES3_PKlN6hipcub16HIPCUB_304000_NS21ConstantInputIteratorIllEEPllNSB_3SumENSB_8EqualityElEE10hipError_tPvRmT2_T3_T4_T5_mT6_T7_P12ihipStream_tbENKUlT_T0_E_clISt17integral_constantIbLb1EESW_IbLb0EEEEDaSS_ST_EUlSS_E_NS1_11comp_targetILNS1_3genE2ELNS1_11target_archE906ELNS1_3gpuE6ELNS1_3repE0EEENS1_30default_config_static_selectorELNS0_4arch9wavefront6targetE0EEEvT1_
	.p2align	8
	.type	_ZN7rocprim17ROCPRIM_400000_NS6detail17trampoline_kernelINS0_14default_configENS1_27scan_by_key_config_selectorIllEEZZNS1_16scan_by_key_implILNS1_25lookback_scan_determinismE0ELb0ES3_PKlN6hipcub16HIPCUB_304000_NS21ConstantInputIteratorIllEEPllNSB_3SumENSB_8EqualityElEE10hipError_tPvRmT2_T3_T4_T5_mT6_T7_P12ihipStream_tbENKUlT_T0_E_clISt17integral_constantIbLb1EESW_IbLb0EEEEDaSS_ST_EUlSS_E_NS1_11comp_targetILNS1_3genE2ELNS1_11target_archE906ELNS1_3gpuE6ELNS1_3repE0EEENS1_30default_config_static_selectorELNS0_4arch9wavefront6targetE0EEEvT1_,@function
_ZN7rocprim17ROCPRIM_400000_NS6detail17trampoline_kernelINS0_14default_configENS1_27scan_by_key_config_selectorIllEEZZNS1_16scan_by_key_implILNS1_25lookback_scan_determinismE0ELb0ES3_PKlN6hipcub16HIPCUB_304000_NS21ConstantInputIteratorIllEEPllNSB_3SumENSB_8EqualityElEE10hipError_tPvRmT2_T3_T4_T5_mT6_T7_P12ihipStream_tbENKUlT_T0_E_clISt17integral_constantIbLb1EESW_IbLb0EEEEDaSS_ST_EUlSS_E_NS1_11comp_targetILNS1_3genE2ELNS1_11target_archE906ELNS1_3gpuE6ELNS1_3repE0EEENS1_30default_config_static_selectorELNS0_4arch9wavefront6targetE0EEEvT1_: ; @_ZN7rocprim17ROCPRIM_400000_NS6detail17trampoline_kernelINS0_14default_configENS1_27scan_by_key_config_selectorIllEEZZNS1_16scan_by_key_implILNS1_25lookback_scan_determinismE0ELb0ES3_PKlN6hipcub16HIPCUB_304000_NS21ConstantInputIteratorIllEEPllNSB_3SumENSB_8EqualityElEE10hipError_tPvRmT2_T3_T4_T5_mT6_T7_P12ihipStream_tbENKUlT_T0_E_clISt17integral_constantIbLb1EESW_IbLb0EEEEDaSS_ST_EUlSS_E_NS1_11comp_targetILNS1_3genE2ELNS1_11target_archE906ELNS1_3gpuE6ELNS1_3repE0EEENS1_30default_config_static_selectorELNS0_4arch9wavefront6targetE0EEEvT1_
; %bb.0:
	.section	.rodata,"a",@progbits
	.p2align	6, 0x0
	.amdhsa_kernel _ZN7rocprim17ROCPRIM_400000_NS6detail17trampoline_kernelINS0_14default_configENS1_27scan_by_key_config_selectorIllEEZZNS1_16scan_by_key_implILNS1_25lookback_scan_determinismE0ELb0ES3_PKlN6hipcub16HIPCUB_304000_NS21ConstantInputIteratorIllEEPllNSB_3SumENSB_8EqualityElEE10hipError_tPvRmT2_T3_T4_T5_mT6_T7_P12ihipStream_tbENKUlT_T0_E_clISt17integral_constantIbLb1EESW_IbLb0EEEEDaSS_ST_EUlSS_E_NS1_11comp_targetILNS1_3genE2ELNS1_11target_archE906ELNS1_3gpuE6ELNS1_3repE0EEENS1_30default_config_static_selectorELNS0_4arch9wavefront6targetE0EEEvT1_
		.amdhsa_group_segment_fixed_size 0
		.amdhsa_private_segment_fixed_size 0
		.amdhsa_kernarg_size 144
		.amdhsa_user_sgpr_count 6
		.amdhsa_user_sgpr_private_segment_buffer 1
		.amdhsa_user_sgpr_dispatch_ptr 0
		.amdhsa_user_sgpr_queue_ptr 0
		.amdhsa_user_sgpr_kernarg_segment_ptr 1
		.amdhsa_user_sgpr_dispatch_id 0
		.amdhsa_user_sgpr_flat_scratch_init 0
		.amdhsa_user_sgpr_private_segment_size 0
		.amdhsa_wavefront_size32 1
		.amdhsa_uses_dynamic_stack 0
		.amdhsa_system_sgpr_private_segment_wavefront_offset 0
		.amdhsa_system_sgpr_workgroup_id_x 1
		.amdhsa_system_sgpr_workgroup_id_y 0
		.amdhsa_system_sgpr_workgroup_id_z 0
		.amdhsa_system_sgpr_workgroup_info 0
		.amdhsa_system_vgpr_workitem_id 0
		.amdhsa_next_free_vgpr 1
		.amdhsa_next_free_sgpr 1
		.amdhsa_reserve_vcc 0
		.amdhsa_reserve_flat_scratch 0
		.amdhsa_float_round_mode_32 0
		.amdhsa_float_round_mode_16_64 0
		.amdhsa_float_denorm_mode_32 3
		.amdhsa_float_denorm_mode_16_64 3
		.amdhsa_dx10_clamp 1
		.amdhsa_ieee_mode 1
		.amdhsa_fp16_overflow 0
		.amdhsa_workgroup_processor_mode 1
		.amdhsa_memory_ordered 1
		.amdhsa_forward_progress 1
		.amdhsa_shared_vgpr_count 0
		.amdhsa_exception_fp_ieee_invalid_op 0
		.amdhsa_exception_fp_denorm_src 0
		.amdhsa_exception_fp_ieee_div_zero 0
		.amdhsa_exception_fp_ieee_overflow 0
		.amdhsa_exception_fp_ieee_underflow 0
		.amdhsa_exception_fp_ieee_inexact 0
		.amdhsa_exception_int_div_zero 0
	.end_amdhsa_kernel
	.section	.text._ZN7rocprim17ROCPRIM_400000_NS6detail17trampoline_kernelINS0_14default_configENS1_27scan_by_key_config_selectorIllEEZZNS1_16scan_by_key_implILNS1_25lookback_scan_determinismE0ELb0ES3_PKlN6hipcub16HIPCUB_304000_NS21ConstantInputIteratorIllEEPllNSB_3SumENSB_8EqualityElEE10hipError_tPvRmT2_T3_T4_T5_mT6_T7_P12ihipStream_tbENKUlT_T0_E_clISt17integral_constantIbLb1EESW_IbLb0EEEEDaSS_ST_EUlSS_E_NS1_11comp_targetILNS1_3genE2ELNS1_11target_archE906ELNS1_3gpuE6ELNS1_3repE0EEENS1_30default_config_static_selectorELNS0_4arch9wavefront6targetE0EEEvT1_,"axG",@progbits,_ZN7rocprim17ROCPRIM_400000_NS6detail17trampoline_kernelINS0_14default_configENS1_27scan_by_key_config_selectorIllEEZZNS1_16scan_by_key_implILNS1_25lookback_scan_determinismE0ELb0ES3_PKlN6hipcub16HIPCUB_304000_NS21ConstantInputIteratorIllEEPllNSB_3SumENSB_8EqualityElEE10hipError_tPvRmT2_T3_T4_T5_mT6_T7_P12ihipStream_tbENKUlT_T0_E_clISt17integral_constantIbLb1EESW_IbLb0EEEEDaSS_ST_EUlSS_E_NS1_11comp_targetILNS1_3genE2ELNS1_11target_archE906ELNS1_3gpuE6ELNS1_3repE0EEENS1_30default_config_static_selectorELNS0_4arch9wavefront6targetE0EEEvT1_,comdat
.Lfunc_end121:
	.size	_ZN7rocprim17ROCPRIM_400000_NS6detail17trampoline_kernelINS0_14default_configENS1_27scan_by_key_config_selectorIllEEZZNS1_16scan_by_key_implILNS1_25lookback_scan_determinismE0ELb0ES3_PKlN6hipcub16HIPCUB_304000_NS21ConstantInputIteratorIllEEPllNSB_3SumENSB_8EqualityElEE10hipError_tPvRmT2_T3_T4_T5_mT6_T7_P12ihipStream_tbENKUlT_T0_E_clISt17integral_constantIbLb1EESW_IbLb0EEEEDaSS_ST_EUlSS_E_NS1_11comp_targetILNS1_3genE2ELNS1_11target_archE906ELNS1_3gpuE6ELNS1_3repE0EEENS1_30default_config_static_selectorELNS0_4arch9wavefront6targetE0EEEvT1_, .Lfunc_end121-_ZN7rocprim17ROCPRIM_400000_NS6detail17trampoline_kernelINS0_14default_configENS1_27scan_by_key_config_selectorIllEEZZNS1_16scan_by_key_implILNS1_25lookback_scan_determinismE0ELb0ES3_PKlN6hipcub16HIPCUB_304000_NS21ConstantInputIteratorIllEEPllNSB_3SumENSB_8EqualityElEE10hipError_tPvRmT2_T3_T4_T5_mT6_T7_P12ihipStream_tbENKUlT_T0_E_clISt17integral_constantIbLb1EESW_IbLb0EEEEDaSS_ST_EUlSS_E_NS1_11comp_targetILNS1_3genE2ELNS1_11target_archE906ELNS1_3gpuE6ELNS1_3repE0EEENS1_30default_config_static_selectorELNS0_4arch9wavefront6targetE0EEEvT1_
                                        ; -- End function
	.set _ZN7rocprim17ROCPRIM_400000_NS6detail17trampoline_kernelINS0_14default_configENS1_27scan_by_key_config_selectorIllEEZZNS1_16scan_by_key_implILNS1_25lookback_scan_determinismE0ELb0ES3_PKlN6hipcub16HIPCUB_304000_NS21ConstantInputIteratorIllEEPllNSB_3SumENSB_8EqualityElEE10hipError_tPvRmT2_T3_T4_T5_mT6_T7_P12ihipStream_tbENKUlT_T0_E_clISt17integral_constantIbLb1EESW_IbLb0EEEEDaSS_ST_EUlSS_E_NS1_11comp_targetILNS1_3genE2ELNS1_11target_archE906ELNS1_3gpuE6ELNS1_3repE0EEENS1_30default_config_static_selectorELNS0_4arch9wavefront6targetE0EEEvT1_.num_vgpr, 0
	.set _ZN7rocprim17ROCPRIM_400000_NS6detail17trampoline_kernelINS0_14default_configENS1_27scan_by_key_config_selectorIllEEZZNS1_16scan_by_key_implILNS1_25lookback_scan_determinismE0ELb0ES3_PKlN6hipcub16HIPCUB_304000_NS21ConstantInputIteratorIllEEPllNSB_3SumENSB_8EqualityElEE10hipError_tPvRmT2_T3_T4_T5_mT6_T7_P12ihipStream_tbENKUlT_T0_E_clISt17integral_constantIbLb1EESW_IbLb0EEEEDaSS_ST_EUlSS_E_NS1_11comp_targetILNS1_3genE2ELNS1_11target_archE906ELNS1_3gpuE6ELNS1_3repE0EEENS1_30default_config_static_selectorELNS0_4arch9wavefront6targetE0EEEvT1_.num_agpr, 0
	.set _ZN7rocprim17ROCPRIM_400000_NS6detail17trampoline_kernelINS0_14default_configENS1_27scan_by_key_config_selectorIllEEZZNS1_16scan_by_key_implILNS1_25lookback_scan_determinismE0ELb0ES3_PKlN6hipcub16HIPCUB_304000_NS21ConstantInputIteratorIllEEPllNSB_3SumENSB_8EqualityElEE10hipError_tPvRmT2_T3_T4_T5_mT6_T7_P12ihipStream_tbENKUlT_T0_E_clISt17integral_constantIbLb1EESW_IbLb0EEEEDaSS_ST_EUlSS_E_NS1_11comp_targetILNS1_3genE2ELNS1_11target_archE906ELNS1_3gpuE6ELNS1_3repE0EEENS1_30default_config_static_selectorELNS0_4arch9wavefront6targetE0EEEvT1_.numbered_sgpr, 0
	.set _ZN7rocprim17ROCPRIM_400000_NS6detail17trampoline_kernelINS0_14default_configENS1_27scan_by_key_config_selectorIllEEZZNS1_16scan_by_key_implILNS1_25lookback_scan_determinismE0ELb0ES3_PKlN6hipcub16HIPCUB_304000_NS21ConstantInputIteratorIllEEPllNSB_3SumENSB_8EqualityElEE10hipError_tPvRmT2_T3_T4_T5_mT6_T7_P12ihipStream_tbENKUlT_T0_E_clISt17integral_constantIbLb1EESW_IbLb0EEEEDaSS_ST_EUlSS_E_NS1_11comp_targetILNS1_3genE2ELNS1_11target_archE906ELNS1_3gpuE6ELNS1_3repE0EEENS1_30default_config_static_selectorELNS0_4arch9wavefront6targetE0EEEvT1_.num_named_barrier, 0
	.set _ZN7rocprim17ROCPRIM_400000_NS6detail17trampoline_kernelINS0_14default_configENS1_27scan_by_key_config_selectorIllEEZZNS1_16scan_by_key_implILNS1_25lookback_scan_determinismE0ELb0ES3_PKlN6hipcub16HIPCUB_304000_NS21ConstantInputIteratorIllEEPllNSB_3SumENSB_8EqualityElEE10hipError_tPvRmT2_T3_T4_T5_mT6_T7_P12ihipStream_tbENKUlT_T0_E_clISt17integral_constantIbLb1EESW_IbLb0EEEEDaSS_ST_EUlSS_E_NS1_11comp_targetILNS1_3genE2ELNS1_11target_archE906ELNS1_3gpuE6ELNS1_3repE0EEENS1_30default_config_static_selectorELNS0_4arch9wavefront6targetE0EEEvT1_.private_seg_size, 0
	.set _ZN7rocprim17ROCPRIM_400000_NS6detail17trampoline_kernelINS0_14default_configENS1_27scan_by_key_config_selectorIllEEZZNS1_16scan_by_key_implILNS1_25lookback_scan_determinismE0ELb0ES3_PKlN6hipcub16HIPCUB_304000_NS21ConstantInputIteratorIllEEPllNSB_3SumENSB_8EqualityElEE10hipError_tPvRmT2_T3_T4_T5_mT6_T7_P12ihipStream_tbENKUlT_T0_E_clISt17integral_constantIbLb1EESW_IbLb0EEEEDaSS_ST_EUlSS_E_NS1_11comp_targetILNS1_3genE2ELNS1_11target_archE906ELNS1_3gpuE6ELNS1_3repE0EEENS1_30default_config_static_selectorELNS0_4arch9wavefront6targetE0EEEvT1_.uses_vcc, 0
	.set _ZN7rocprim17ROCPRIM_400000_NS6detail17trampoline_kernelINS0_14default_configENS1_27scan_by_key_config_selectorIllEEZZNS1_16scan_by_key_implILNS1_25lookback_scan_determinismE0ELb0ES3_PKlN6hipcub16HIPCUB_304000_NS21ConstantInputIteratorIllEEPllNSB_3SumENSB_8EqualityElEE10hipError_tPvRmT2_T3_T4_T5_mT6_T7_P12ihipStream_tbENKUlT_T0_E_clISt17integral_constantIbLb1EESW_IbLb0EEEEDaSS_ST_EUlSS_E_NS1_11comp_targetILNS1_3genE2ELNS1_11target_archE906ELNS1_3gpuE6ELNS1_3repE0EEENS1_30default_config_static_selectorELNS0_4arch9wavefront6targetE0EEEvT1_.uses_flat_scratch, 0
	.set _ZN7rocprim17ROCPRIM_400000_NS6detail17trampoline_kernelINS0_14default_configENS1_27scan_by_key_config_selectorIllEEZZNS1_16scan_by_key_implILNS1_25lookback_scan_determinismE0ELb0ES3_PKlN6hipcub16HIPCUB_304000_NS21ConstantInputIteratorIllEEPllNSB_3SumENSB_8EqualityElEE10hipError_tPvRmT2_T3_T4_T5_mT6_T7_P12ihipStream_tbENKUlT_T0_E_clISt17integral_constantIbLb1EESW_IbLb0EEEEDaSS_ST_EUlSS_E_NS1_11comp_targetILNS1_3genE2ELNS1_11target_archE906ELNS1_3gpuE6ELNS1_3repE0EEENS1_30default_config_static_selectorELNS0_4arch9wavefront6targetE0EEEvT1_.has_dyn_sized_stack, 0
	.set _ZN7rocprim17ROCPRIM_400000_NS6detail17trampoline_kernelINS0_14default_configENS1_27scan_by_key_config_selectorIllEEZZNS1_16scan_by_key_implILNS1_25lookback_scan_determinismE0ELb0ES3_PKlN6hipcub16HIPCUB_304000_NS21ConstantInputIteratorIllEEPllNSB_3SumENSB_8EqualityElEE10hipError_tPvRmT2_T3_T4_T5_mT6_T7_P12ihipStream_tbENKUlT_T0_E_clISt17integral_constantIbLb1EESW_IbLb0EEEEDaSS_ST_EUlSS_E_NS1_11comp_targetILNS1_3genE2ELNS1_11target_archE906ELNS1_3gpuE6ELNS1_3repE0EEENS1_30default_config_static_selectorELNS0_4arch9wavefront6targetE0EEEvT1_.has_recursion, 0
	.set _ZN7rocprim17ROCPRIM_400000_NS6detail17trampoline_kernelINS0_14default_configENS1_27scan_by_key_config_selectorIllEEZZNS1_16scan_by_key_implILNS1_25lookback_scan_determinismE0ELb0ES3_PKlN6hipcub16HIPCUB_304000_NS21ConstantInputIteratorIllEEPllNSB_3SumENSB_8EqualityElEE10hipError_tPvRmT2_T3_T4_T5_mT6_T7_P12ihipStream_tbENKUlT_T0_E_clISt17integral_constantIbLb1EESW_IbLb0EEEEDaSS_ST_EUlSS_E_NS1_11comp_targetILNS1_3genE2ELNS1_11target_archE906ELNS1_3gpuE6ELNS1_3repE0EEENS1_30default_config_static_selectorELNS0_4arch9wavefront6targetE0EEEvT1_.has_indirect_call, 0
	.section	.AMDGPU.csdata,"",@progbits
; Kernel info:
; codeLenInByte = 0
; TotalNumSgprs: 0
; NumVgprs: 0
; ScratchSize: 0
; MemoryBound: 0
; FloatMode: 240
; IeeeMode: 1
; LDSByteSize: 0 bytes/workgroup (compile time only)
; SGPRBlocks: 0
; VGPRBlocks: 0
; NumSGPRsForWavesPerEU: 1
; NumVGPRsForWavesPerEU: 1
; Occupancy: 16
; WaveLimiterHint : 0
; COMPUTE_PGM_RSRC2:SCRATCH_EN: 0
; COMPUTE_PGM_RSRC2:USER_SGPR: 6
; COMPUTE_PGM_RSRC2:TRAP_HANDLER: 0
; COMPUTE_PGM_RSRC2:TGID_X_EN: 1
; COMPUTE_PGM_RSRC2:TGID_Y_EN: 0
; COMPUTE_PGM_RSRC2:TGID_Z_EN: 0
; COMPUTE_PGM_RSRC2:TIDIG_COMP_CNT: 0
	.section	.text._ZN7rocprim17ROCPRIM_400000_NS6detail17trampoline_kernelINS0_14default_configENS1_27scan_by_key_config_selectorIllEEZZNS1_16scan_by_key_implILNS1_25lookback_scan_determinismE0ELb0ES3_PKlN6hipcub16HIPCUB_304000_NS21ConstantInputIteratorIllEEPllNSB_3SumENSB_8EqualityElEE10hipError_tPvRmT2_T3_T4_T5_mT6_T7_P12ihipStream_tbENKUlT_T0_E_clISt17integral_constantIbLb1EESW_IbLb0EEEEDaSS_ST_EUlSS_E_NS1_11comp_targetILNS1_3genE10ELNS1_11target_archE1200ELNS1_3gpuE4ELNS1_3repE0EEENS1_30default_config_static_selectorELNS0_4arch9wavefront6targetE0EEEvT1_,"axG",@progbits,_ZN7rocprim17ROCPRIM_400000_NS6detail17trampoline_kernelINS0_14default_configENS1_27scan_by_key_config_selectorIllEEZZNS1_16scan_by_key_implILNS1_25lookback_scan_determinismE0ELb0ES3_PKlN6hipcub16HIPCUB_304000_NS21ConstantInputIteratorIllEEPllNSB_3SumENSB_8EqualityElEE10hipError_tPvRmT2_T3_T4_T5_mT6_T7_P12ihipStream_tbENKUlT_T0_E_clISt17integral_constantIbLb1EESW_IbLb0EEEEDaSS_ST_EUlSS_E_NS1_11comp_targetILNS1_3genE10ELNS1_11target_archE1200ELNS1_3gpuE4ELNS1_3repE0EEENS1_30default_config_static_selectorELNS0_4arch9wavefront6targetE0EEEvT1_,comdat
	.protected	_ZN7rocprim17ROCPRIM_400000_NS6detail17trampoline_kernelINS0_14default_configENS1_27scan_by_key_config_selectorIllEEZZNS1_16scan_by_key_implILNS1_25lookback_scan_determinismE0ELb0ES3_PKlN6hipcub16HIPCUB_304000_NS21ConstantInputIteratorIllEEPllNSB_3SumENSB_8EqualityElEE10hipError_tPvRmT2_T3_T4_T5_mT6_T7_P12ihipStream_tbENKUlT_T0_E_clISt17integral_constantIbLb1EESW_IbLb0EEEEDaSS_ST_EUlSS_E_NS1_11comp_targetILNS1_3genE10ELNS1_11target_archE1200ELNS1_3gpuE4ELNS1_3repE0EEENS1_30default_config_static_selectorELNS0_4arch9wavefront6targetE0EEEvT1_ ; -- Begin function _ZN7rocprim17ROCPRIM_400000_NS6detail17trampoline_kernelINS0_14default_configENS1_27scan_by_key_config_selectorIllEEZZNS1_16scan_by_key_implILNS1_25lookback_scan_determinismE0ELb0ES3_PKlN6hipcub16HIPCUB_304000_NS21ConstantInputIteratorIllEEPllNSB_3SumENSB_8EqualityElEE10hipError_tPvRmT2_T3_T4_T5_mT6_T7_P12ihipStream_tbENKUlT_T0_E_clISt17integral_constantIbLb1EESW_IbLb0EEEEDaSS_ST_EUlSS_E_NS1_11comp_targetILNS1_3genE10ELNS1_11target_archE1200ELNS1_3gpuE4ELNS1_3repE0EEENS1_30default_config_static_selectorELNS0_4arch9wavefront6targetE0EEEvT1_
	.globl	_ZN7rocprim17ROCPRIM_400000_NS6detail17trampoline_kernelINS0_14default_configENS1_27scan_by_key_config_selectorIllEEZZNS1_16scan_by_key_implILNS1_25lookback_scan_determinismE0ELb0ES3_PKlN6hipcub16HIPCUB_304000_NS21ConstantInputIteratorIllEEPllNSB_3SumENSB_8EqualityElEE10hipError_tPvRmT2_T3_T4_T5_mT6_T7_P12ihipStream_tbENKUlT_T0_E_clISt17integral_constantIbLb1EESW_IbLb0EEEEDaSS_ST_EUlSS_E_NS1_11comp_targetILNS1_3genE10ELNS1_11target_archE1200ELNS1_3gpuE4ELNS1_3repE0EEENS1_30default_config_static_selectorELNS0_4arch9wavefront6targetE0EEEvT1_
	.p2align	8
	.type	_ZN7rocprim17ROCPRIM_400000_NS6detail17trampoline_kernelINS0_14default_configENS1_27scan_by_key_config_selectorIllEEZZNS1_16scan_by_key_implILNS1_25lookback_scan_determinismE0ELb0ES3_PKlN6hipcub16HIPCUB_304000_NS21ConstantInputIteratorIllEEPllNSB_3SumENSB_8EqualityElEE10hipError_tPvRmT2_T3_T4_T5_mT6_T7_P12ihipStream_tbENKUlT_T0_E_clISt17integral_constantIbLb1EESW_IbLb0EEEEDaSS_ST_EUlSS_E_NS1_11comp_targetILNS1_3genE10ELNS1_11target_archE1200ELNS1_3gpuE4ELNS1_3repE0EEENS1_30default_config_static_selectorELNS0_4arch9wavefront6targetE0EEEvT1_,@function
_ZN7rocprim17ROCPRIM_400000_NS6detail17trampoline_kernelINS0_14default_configENS1_27scan_by_key_config_selectorIllEEZZNS1_16scan_by_key_implILNS1_25lookback_scan_determinismE0ELb0ES3_PKlN6hipcub16HIPCUB_304000_NS21ConstantInputIteratorIllEEPllNSB_3SumENSB_8EqualityElEE10hipError_tPvRmT2_T3_T4_T5_mT6_T7_P12ihipStream_tbENKUlT_T0_E_clISt17integral_constantIbLb1EESW_IbLb0EEEEDaSS_ST_EUlSS_E_NS1_11comp_targetILNS1_3genE10ELNS1_11target_archE1200ELNS1_3gpuE4ELNS1_3repE0EEENS1_30default_config_static_selectorELNS0_4arch9wavefront6targetE0EEEvT1_: ; @_ZN7rocprim17ROCPRIM_400000_NS6detail17trampoline_kernelINS0_14default_configENS1_27scan_by_key_config_selectorIllEEZZNS1_16scan_by_key_implILNS1_25lookback_scan_determinismE0ELb0ES3_PKlN6hipcub16HIPCUB_304000_NS21ConstantInputIteratorIllEEPllNSB_3SumENSB_8EqualityElEE10hipError_tPvRmT2_T3_T4_T5_mT6_T7_P12ihipStream_tbENKUlT_T0_E_clISt17integral_constantIbLb1EESW_IbLb0EEEEDaSS_ST_EUlSS_E_NS1_11comp_targetILNS1_3genE10ELNS1_11target_archE1200ELNS1_3gpuE4ELNS1_3repE0EEENS1_30default_config_static_selectorELNS0_4arch9wavefront6targetE0EEEvT1_
; %bb.0:
	.section	.rodata,"a",@progbits
	.p2align	6, 0x0
	.amdhsa_kernel _ZN7rocprim17ROCPRIM_400000_NS6detail17trampoline_kernelINS0_14default_configENS1_27scan_by_key_config_selectorIllEEZZNS1_16scan_by_key_implILNS1_25lookback_scan_determinismE0ELb0ES3_PKlN6hipcub16HIPCUB_304000_NS21ConstantInputIteratorIllEEPllNSB_3SumENSB_8EqualityElEE10hipError_tPvRmT2_T3_T4_T5_mT6_T7_P12ihipStream_tbENKUlT_T0_E_clISt17integral_constantIbLb1EESW_IbLb0EEEEDaSS_ST_EUlSS_E_NS1_11comp_targetILNS1_3genE10ELNS1_11target_archE1200ELNS1_3gpuE4ELNS1_3repE0EEENS1_30default_config_static_selectorELNS0_4arch9wavefront6targetE0EEEvT1_
		.amdhsa_group_segment_fixed_size 0
		.amdhsa_private_segment_fixed_size 0
		.amdhsa_kernarg_size 144
		.amdhsa_user_sgpr_count 6
		.amdhsa_user_sgpr_private_segment_buffer 1
		.amdhsa_user_sgpr_dispatch_ptr 0
		.amdhsa_user_sgpr_queue_ptr 0
		.amdhsa_user_sgpr_kernarg_segment_ptr 1
		.amdhsa_user_sgpr_dispatch_id 0
		.amdhsa_user_sgpr_flat_scratch_init 0
		.amdhsa_user_sgpr_private_segment_size 0
		.amdhsa_wavefront_size32 1
		.amdhsa_uses_dynamic_stack 0
		.amdhsa_system_sgpr_private_segment_wavefront_offset 0
		.amdhsa_system_sgpr_workgroup_id_x 1
		.amdhsa_system_sgpr_workgroup_id_y 0
		.amdhsa_system_sgpr_workgroup_id_z 0
		.amdhsa_system_sgpr_workgroup_info 0
		.amdhsa_system_vgpr_workitem_id 0
		.amdhsa_next_free_vgpr 1
		.amdhsa_next_free_sgpr 1
		.amdhsa_reserve_vcc 0
		.amdhsa_reserve_flat_scratch 0
		.amdhsa_float_round_mode_32 0
		.amdhsa_float_round_mode_16_64 0
		.amdhsa_float_denorm_mode_32 3
		.amdhsa_float_denorm_mode_16_64 3
		.amdhsa_dx10_clamp 1
		.amdhsa_ieee_mode 1
		.amdhsa_fp16_overflow 0
		.amdhsa_workgroup_processor_mode 1
		.amdhsa_memory_ordered 1
		.amdhsa_forward_progress 1
		.amdhsa_shared_vgpr_count 0
		.amdhsa_exception_fp_ieee_invalid_op 0
		.amdhsa_exception_fp_denorm_src 0
		.amdhsa_exception_fp_ieee_div_zero 0
		.amdhsa_exception_fp_ieee_overflow 0
		.amdhsa_exception_fp_ieee_underflow 0
		.amdhsa_exception_fp_ieee_inexact 0
		.amdhsa_exception_int_div_zero 0
	.end_amdhsa_kernel
	.section	.text._ZN7rocprim17ROCPRIM_400000_NS6detail17trampoline_kernelINS0_14default_configENS1_27scan_by_key_config_selectorIllEEZZNS1_16scan_by_key_implILNS1_25lookback_scan_determinismE0ELb0ES3_PKlN6hipcub16HIPCUB_304000_NS21ConstantInputIteratorIllEEPllNSB_3SumENSB_8EqualityElEE10hipError_tPvRmT2_T3_T4_T5_mT6_T7_P12ihipStream_tbENKUlT_T0_E_clISt17integral_constantIbLb1EESW_IbLb0EEEEDaSS_ST_EUlSS_E_NS1_11comp_targetILNS1_3genE10ELNS1_11target_archE1200ELNS1_3gpuE4ELNS1_3repE0EEENS1_30default_config_static_selectorELNS0_4arch9wavefront6targetE0EEEvT1_,"axG",@progbits,_ZN7rocprim17ROCPRIM_400000_NS6detail17trampoline_kernelINS0_14default_configENS1_27scan_by_key_config_selectorIllEEZZNS1_16scan_by_key_implILNS1_25lookback_scan_determinismE0ELb0ES3_PKlN6hipcub16HIPCUB_304000_NS21ConstantInputIteratorIllEEPllNSB_3SumENSB_8EqualityElEE10hipError_tPvRmT2_T3_T4_T5_mT6_T7_P12ihipStream_tbENKUlT_T0_E_clISt17integral_constantIbLb1EESW_IbLb0EEEEDaSS_ST_EUlSS_E_NS1_11comp_targetILNS1_3genE10ELNS1_11target_archE1200ELNS1_3gpuE4ELNS1_3repE0EEENS1_30default_config_static_selectorELNS0_4arch9wavefront6targetE0EEEvT1_,comdat
.Lfunc_end122:
	.size	_ZN7rocprim17ROCPRIM_400000_NS6detail17trampoline_kernelINS0_14default_configENS1_27scan_by_key_config_selectorIllEEZZNS1_16scan_by_key_implILNS1_25lookback_scan_determinismE0ELb0ES3_PKlN6hipcub16HIPCUB_304000_NS21ConstantInputIteratorIllEEPllNSB_3SumENSB_8EqualityElEE10hipError_tPvRmT2_T3_T4_T5_mT6_T7_P12ihipStream_tbENKUlT_T0_E_clISt17integral_constantIbLb1EESW_IbLb0EEEEDaSS_ST_EUlSS_E_NS1_11comp_targetILNS1_3genE10ELNS1_11target_archE1200ELNS1_3gpuE4ELNS1_3repE0EEENS1_30default_config_static_selectorELNS0_4arch9wavefront6targetE0EEEvT1_, .Lfunc_end122-_ZN7rocprim17ROCPRIM_400000_NS6detail17trampoline_kernelINS0_14default_configENS1_27scan_by_key_config_selectorIllEEZZNS1_16scan_by_key_implILNS1_25lookback_scan_determinismE0ELb0ES3_PKlN6hipcub16HIPCUB_304000_NS21ConstantInputIteratorIllEEPllNSB_3SumENSB_8EqualityElEE10hipError_tPvRmT2_T3_T4_T5_mT6_T7_P12ihipStream_tbENKUlT_T0_E_clISt17integral_constantIbLb1EESW_IbLb0EEEEDaSS_ST_EUlSS_E_NS1_11comp_targetILNS1_3genE10ELNS1_11target_archE1200ELNS1_3gpuE4ELNS1_3repE0EEENS1_30default_config_static_selectorELNS0_4arch9wavefront6targetE0EEEvT1_
                                        ; -- End function
	.set _ZN7rocprim17ROCPRIM_400000_NS6detail17trampoline_kernelINS0_14default_configENS1_27scan_by_key_config_selectorIllEEZZNS1_16scan_by_key_implILNS1_25lookback_scan_determinismE0ELb0ES3_PKlN6hipcub16HIPCUB_304000_NS21ConstantInputIteratorIllEEPllNSB_3SumENSB_8EqualityElEE10hipError_tPvRmT2_T3_T4_T5_mT6_T7_P12ihipStream_tbENKUlT_T0_E_clISt17integral_constantIbLb1EESW_IbLb0EEEEDaSS_ST_EUlSS_E_NS1_11comp_targetILNS1_3genE10ELNS1_11target_archE1200ELNS1_3gpuE4ELNS1_3repE0EEENS1_30default_config_static_selectorELNS0_4arch9wavefront6targetE0EEEvT1_.num_vgpr, 0
	.set _ZN7rocprim17ROCPRIM_400000_NS6detail17trampoline_kernelINS0_14default_configENS1_27scan_by_key_config_selectorIllEEZZNS1_16scan_by_key_implILNS1_25lookback_scan_determinismE0ELb0ES3_PKlN6hipcub16HIPCUB_304000_NS21ConstantInputIteratorIllEEPllNSB_3SumENSB_8EqualityElEE10hipError_tPvRmT2_T3_T4_T5_mT6_T7_P12ihipStream_tbENKUlT_T0_E_clISt17integral_constantIbLb1EESW_IbLb0EEEEDaSS_ST_EUlSS_E_NS1_11comp_targetILNS1_3genE10ELNS1_11target_archE1200ELNS1_3gpuE4ELNS1_3repE0EEENS1_30default_config_static_selectorELNS0_4arch9wavefront6targetE0EEEvT1_.num_agpr, 0
	.set _ZN7rocprim17ROCPRIM_400000_NS6detail17trampoline_kernelINS0_14default_configENS1_27scan_by_key_config_selectorIllEEZZNS1_16scan_by_key_implILNS1_25lookback_scan_determinismE0ELb0ES3_PKlN6hipcub16HIPCUB_304000_NS21ConstantInputIteratorIllEEPllNSB_3SumENSB_8EqualityElEE10hipError_tPvRmT2_T3_T4_T5_mT6_T7_P12ihipStream_tbENKUlT_T0_E_clISt17integral_constantIbLb1EESW_IbLb0EEEEDaSS_ST_EUlSS_E_NS1_11comp_targetILNS1_3genE10ELNS1_11target_archE1200ELNS1_3gpuE4ELNS1_3repE0EEENS1_30default_config_static_selectorELNS0_4arch9wavefront6targetE0EEEvT1_.numbered_sgpr, 0
	.set _ZN7rocprim17ROCPRIM_400000_NS6detail17trampoline_kernelINS0_14default_configENS1_27scan_by_key_config_selectorIllEEZZNS1_16scan_by_key_implILNS1_25lookback_scan_determinismE0ELb0ES3_PKlN6hipcub16HIPCUB_304000_NS21ConstantInputIteratorIllEEPllNSB_3SumENSB_8EqualityElEE10hipError_tPvRmT2_T3_T4_T5_mT6_T7_P12ihipStream_tbENKUlT_T0_E_clISt17integral_constantIbLb1EESW_IbLb0EEEEDaSS_ST_EUlSS_E_NS1_11comp_targetILNS1_3genE10ELNS1_11target_archE1200ELNS1_3gpuE4ELNS1_3repE0EEENS1_30default_config_static_selectorELNS0_4arch9wavefront6targetE0EEEvT1_.num_named_barrier, 0
	.set _ZN7rocprim17ROCPRIM_400000_NS6detail17trampoline_kernelINS0_14default_configENS1_27scan_by_key_config_selectorIllEEZZNS1_16scan_by_key_implILNS1_25lookback_scan_determinismE0ELb0ES3_PKlN6hipcub16HIPCUB_304000_NS21ConstantInputIteratorIllEEPllNSB_3SumENSB_8EqualityElEE10hipError_tPvRmT2_T3_T4_T5_mT6_T7_P12ihipStream_tbENKUlT_T0_E_clISt17integral_constantIbLb1EESW_IbLb0EEEEDaSS_ST_EUlSS_E_NS1_11comp_targetILNS1_3genE10ELNS1_11target_archE1200ELNS1_3gpuE4ELNS1_3repE0EEENS1_30default_config_static_selectorELNS0_4arch9wavefront6targetE0EEEvT1_.private_seg_size, 0
	.set _ZN7rocprim17ROCPRIM_400000_NS6detail17trampoline_kernelINS0_14default_configENS1_27scan_by_key_config_selectorIllEEZZNS1_16scan_by_key_implILNS1_25lookback_scan_determinismE0ELb0ES3_PKlN6hipcub16HIPCUB_304000_NS21ConstantInputIteratorIllEEPllNSB_3SumENSB_8EqualityElEE10hipError_tPvRmT2_T3_T4_T5_mT6_T7_P12ihipStream_tbENKUlT_T0_E_clISt17integral_constantIbLb1EESW_IbLb0EEEEDaSS_ST_EUlSS_E_NS1_11comp_targetILNS1_3genE10ELNS1_11target_archE1200ELNS1_3gpuE4ELNS1_3repE0EEENS1_30default_config_static_selectorELNS0_4arch9wavefront6targetE0EEEvT1_.uses_vcc, 0
	.set _ZN7rocprim17ROCPRIM_400000_NS6detail17trampoline_kernelINS0_14default_configENS1_27scan_by_key_config_selectorIllEEZZNS1_16scan_by_key_implILNS1_25lookback_scan_determinismE0ELb0ES3_PKlN6hipcub16HIPCUB_304000_NS21ConstantInputIteratorIllEEPllNSB_3SumENSB_8EqualityElEE10hipError_tPvRmT2_T3_T4_T5_mT6_T7_P12ihipStream_tbENKUlT_T0_E_clISt17integral_constantIbLb1EESW_IbLb0EEEEDaSS_ST_EUlSS_E_NS1_11comp_targetILNS1_3genE10ELNS1_11target_archE1200ELNS1_3gpuE4ELNS1_3repE0EEENS1_30default_config_static_selectorELNS0_4arch9wavefront6targetE0EEEvT1_.uses_flat_scratch, 0
	.set _ZN7rocprim17ROCPRIM_400000_NS6detail17trampoline_kernelINS0_14default_configENS1_27scan_by_key_config_selectorIllEEZZNS1_16scan_by_key_implILNS1_25lookback_scan_determinismE0ELb0ES3_PKlN6hipcub16HIPCUB_304000_NS21ConstantInputIteratorIllEEPllNSB_3SumENSB_8EqualityElEE10hipError_tPvRmT2_T3_T4_T5_mT6_T7_P12ihipStream_tbENKUlT_T0_E_clISt17integral_constantIbLb1EESW_IbLb0EEEEDaSS_ST_EUlSS_E_NS1_11comp_targetILNS1_3genE10ELNS1_11target_archE1200ELNS1_3gpuE4ELNS1_3repE0EEENS1_30default_config_static_selectorELNS0_4arch9wavefront6targetE0EEEvT1_.has_dyn_sized_stack, 0
	.set _ZN7rocprim17ROCPRIM_400000_NS6detail17trampoline_kernelINS0_14default_configENS1_27scan_by_key_config_selectorIllEEZZNS1_16scan_by_key_implILNS1_25lookback_scan_determinismE0ELb0ES3_PKlN6hipcub16HIPCUB_304000_NS21ConstantInputIteratorIllEEPllNSB_3SumENSB_8EqualityElEE10hipError_tPvRmT2_T3_T4_T5_mT6_T7_P12ihipStream_tbENKUlT_T0_E_clISt17integral_constantIbLb1EESW_IbLb0EEEEDaSS_ST_EUlSS_E_NS1_11comp_targetILNS1_3genE10ELNS1_11target_archE1200ELNS1_3gpuE4ELNS1_3repE0EEENS1_30default_config_static_selectorELNS0_4arch9wavefront6targetE0EEEvT1_.has_recursion, 0
	.set _ZN7rocprim17ROCPRIM_400000_NS6detail17trampoline_kernelINS0_14default_configENS1_27scan_by_key_config_selectorIllEEZZNS1_16scan_by_key_implILNS1_25lookback_scan_determinismE0ELb0ES3_PKlN6hipcub16HIPCUB_304000_NS21ConstantInputIteratorIllEEPllNSB_3SumENSB_8EqualityElEE10hipError_tPvRmT2_T3_T4_T5_mT6_T7_P12ihipStream_tbENKUlT_T0_E_clISt17integral_constantIbLb1EESW_IbLb0EEEEDaSS_ST_EUlSS_E_NS1_11comp_targetILNS1_3genE10ELNS1_11target_archE1200ELNS1_3gpuE4ELNS1_3repE0EEENS1_30default_config_static_selectorELNS0_4arch9wavefront6targetE0EEEvT1_.has_indirect_call, 0
	.section	.AMDGPU.csdata,"",@progbits
; Kernel info:
; codeLenInByte = 0
; TotalNumSgprs: 0
; NumVgprs: 0
; ScratchSize: 0
; MemoryBound: 0
; FloatMode: 240
; IeeeMode: 1
; LDSByteSize: 0 bytes/workgroup (compile time only)
; SGPRBlocks: 0
; VGPRBlocks: 0
; NumSGPRsForWavesPerEU: 1
; NumVGPRsForWavesPerEU: 1
; Occupancy: 16
; WaveLimiterHint : 0
; COMPUTE_PGM_RSRC2:SCRATCH_EN: 0
; COMPUTE_PGM_RSRC2:USER_SGPR: 6
; COMPUTE_PGM_RSRC2:TRAP_HANDLER: 0
; COMPUTE_PGM_RSRC2:TGID_X_EN: 1
; COMPUTE_PGM_RSRC2:TGID_Y_EN: 0
; COMPUTE_PGM_RSRC2:TGID_Z_EN: 0
; COMPUTE_PGM_RSRC2:TIDIG_COMP_CNT: 0
	.section	.text._ZN7rocprim17ROCPRIM_400000_NS6detail17trampoline_kernelINS0_14default_configENS1_27scan_by_key_config_selectorIllEEZZNS1_16scan_by_key_implILNS1_25lookback_scan_determinismE0ELb0ES3_PKlN6hipcub16HIPCUB_304000_NS21ConstantInputIteratorIllEEPllNSB_3SumENSB_8EqualityElEE10hipError_tPvRmT2_T3_T4_T5_mT6_T7_P12ihipStream_tbENKUlT_T0_E_clISt17integral_constantIbLb1EESW_IbLb0EEEEDaSS_ST_EUlSS_E_NS1_11comp_targetILNS1_3genE9ELNS1_11target_archE1100ELNS1_3gpuE3ELNS1_3repE0EEENS1_30default_config_static_selectorELNS0_4arch9wavefront6targetE0EEEvT1_,"axG",@progbits,_ZN7rocprim17ROCPRIM_400000_NS6detail17trampoline_kernelINS0_14default_configENS1_27scan_by_key_config_selectorIllEEZZNS1_16scan_by_key_implILNS1_25lookback_scan_determinismE0ELb0ES3_PKlN6hipcub16HIPCUB_304000_NS21ConstantInputIteratorIllEEPllNSB_3SumENSB_8EqualityElEE10hipError_tPvRmT2_T3_T4_T5_mT6_T7_P12ihipStream_tbENKUlT_T0_E_clISt17integral_constantIbLb1EESW_IbLb0EEEEDaSS_ST_EUlSS_E_NS1_11comp_targetILNS1_3genE9ELNS1_11target_archE1100ELNS1_3gpuE3ELNS1_3repE0EEENS1_30default_config_static_selectorELNS0_4arch9wavefront6targetE0EEEvT1_,comdat
	.protected	_ZN7rocprim17ROCPRIM_400000_NS6detail17trampoline_kernelINS0_14default_configENS1_27scan_by_key_config_selectorIllEEZZNS1_16scan_by_key_implILNS1_25lookback_scan_determinismE0ELb0ES3_PKlN6hipcub16HIPCUB_304000_NS21ConstantInputIteratorIllEEPllNSB_3SumENSB_8EqualityElEE10hipError_tPvRmT2_T3_T4_T5_mT6_T7_P12ihipStream_tbENKUlT_T0_E_clISt17integral_constantIbLb1EESW_IbLb0EEEEDaSS_ST_EUlSS_E_NS1_11comp_targetILNS1_3genE9ELNS1_11target_archE1100ELNS1_3gpuE3ELNS1_3repE0EEENS1_30default_config_static_selectorELNS0_4arch9wavefront6targetE0EEEvT1_ ; -- Begin function _ZN7rocprim17ROCPRIM_400000_NS6detail17trampoline_kernelINS0_14default_configENS1_27scan_by_key_config_selectorIllEEZZNS1_16scan_by_key_implILNS1_25lookback_scan_determinismE0ELb0ES3_PKlN6hipcub16HIPCUB_304000_NS21ConstantInputIteratorIllEEPllNSB_3SumENSB_8EqualityElEE10hipError_tPvRmT2_T3_T4_T5_mT6_T7_P12ihipStream_tbENKUlT_T0_E_clISt17integral_constantIbLb1EESW_IbLb0EEEEDaSS_ST_EUlSS_E_NS1_11comp_targetILNS1_3genE9ELNS1_11target_archE1100ELNS1_3gpuE3ELNS1_3repE0EEENS1_30default_config_static_selectorELNS0_4arch9wavefront6targetE0EEEvT1_
	.globl	_ZN7rocprim17ROCPRIM_400000_NS6detail17trampoline_kernelINS0_14default_configENS1_27scan_by_key_config_selectorIllEEZZNS1_16scan_by_key_implILNS1_25lookback_scan_determinismE0ELb0ES3_PKlN6hipcub16HIPCUB_304000_NS21ConstantInputIteratorIllEEPllNSB_3SumENSB_8EqualityElEE10hipError_tPvRmT2_T3_T4_T5_mT6_T7_P12ihipStream_tbENKUlT_T0_E_clISt17integral_constantIbLb1EESW_IbLb0EEEEDaSS_ST_EUlSS_E_NS1_11comp_targetILNS1_3genE9ELNS1_11target_archE1100ELNS1_3gpuE3ELNS1_3repE0EEENS1_30default_config_static_selectorELNS0_4arch9wavefront6targetE0EEEvT1_
	.p2align	8
	.type	_ZN7rocprim17ROCPRIM_400000_NS6detail17trampoline_kernelINS0_14default_configENS1_27scan_by_key_config_selectorIllEEZZNS1_16scan_by_key_implILNS1_25lookback_scan_determinismE0ELb0ES3_PKlN6hipcub16HIPCUB_304000_NS21ConstantInputIteratorIllEEPllNSB_3SumENSB_8EqualityElEE10hipError_tPvRmT2_T3_T4_T5_mT6_T7_P12ihipStream_tbENKUlT_T0_E_clISt17integral_constantIbLb1EESW_IbLb0EEEEDaSS_ST_EUlSS_E_NS1_11comp_targetILNS1_3genE9ELNS1_11target_archE1100ELNS1_3gpuE3ELNS1_3repE0EEENS1_30default_config_static_selectorELNS0_4arch9wavefront6targetE0EEEvT1_,@function
_ZN7rocprim17ROCPRIM_400000_NS6detail17trampoline_kernelINS0_14default_configENS1_27scan_by_key_config_selectorIllEEZZNS1_16scan_by_key_implILNS1_25lookback_scan_determinismE0ELb0ES3_PKlN6hipcub16HIPCUB_304000_NS21ConstantInputIteratorIllEEPllNSB_3SumENSB_8EqualityElEE10hipError_tPvRmT2_T3_T4_T5_mT6_T7_P12ihipStream_tbENKUlT_T0_E_clISt17integral_constantIbLb1EESW_IbLb0EEEEDaSS_ST_EUlSS_E_NS1_11comp_targetILNS1_3genE9ELNS1_11target_archE1100ELNS1_3gpuE3ELNS1_3repE0EEENS1_30default_config_static_selectorELNS0_4arch9wavefront6targetE0EEEvT1_: ; @_ZN7rocprim17ROCPRIM_400000_NS6detail17trampoline_kernelINS0_14default_configENS1_27scan_by_key_config_selectorIllEEZZNS1_16scan_by_key_implILNS1_25lookback_scan_determinismE0ELb0ES3_PKlN6hipcub16HIPCUB_304000_NS21ConstantInputIteratorIllEEPllNSB_3SumENSB_8EqualityElEE10hipError_tPvRmT2_T3_T4_T5_mT6_T7_P12ihipStream_tbENKUlT_T0_E_clISt17integral_constantIbLb1EESW_IbLb0EEEEDaSS_ST_EUlSS_E_NS1_11comp_targetILNS1_3genE9ELNS1_11target_archE1100ELNS1_3gpuE3ELNS1_3repE0EEENS1_30default_config_static_selectorELNS0_4arch9wavefront6targetE0EEEvT1_
; %bb.0:
	.section	.rodata,"a",@progbits
	.p2align	6, 0x0
	.amdhsa_kernel _ZN7rocprim17ROCPRIM_400000_NS6detail17trampoline_kernelINS0_14default_configENS1_27scan_by_key_config_selectorIllEEZZNS1_16scan_by_key_implILNS1_25lookback_scan_determinismE0ELb0ES3_PKlN6hipcub16HIPCUB_304000_NS21ConstantInputIteratorIllEEPllNSB_3SumENSB_8EqualityElEE10hipError_tPvRmT2_T3_T4_T5_mT6_T7_P12ihipStream_tbENKUlT_T0_E_clISt17integral_constantIbLb1EESW_IbLb0EEEEDaSS_ST_EUlSS_E_NS1_11comp_targetILNS1_3genE9ELNS1_11target_archE1100ELNS1_3gpuE3ELNS1_3repE0EEENS1_30default_config_static_selectorELNS0_4arch9wavefront6targetE0EEEvT1_
		.amdhsa_group_segment_fixed_size 0
		.amdhsa_private_segment_fixed_size 0
		.amdhsa_kernarg_size 144
		.amdhsa_user_sgpr_count 6
		.amdhsa_user_sgpr_private_segment_buffer 1
		.amdhsa_user_sgpr_dispatch_ptr 0
		.amdhsa_user_sgpr_queue_ptr 0
		.amdhsa_user_sgpr_kernarg_segment_ptr 1
		.amdhsa_user_sgpr_dispatch_id 0
		.amdhsa_user_sgpr_flat_scratch_init 0
		.amdhsa_user_sgpr_private_segment_size 0
		.amdhsa_wavefront_size32 1
		.amdhsa_uses_dynamic_stack 0
		.amdhsa_system_sgpr_private_segment_wavefront_offset 0
		.amdhsa_system_sgpr_workgroup_id_x 1
		.amdhsa_system_sgpr_workgroup_id_y 0
		.amdhsa_system_sgpr_workgroup_id_z 0
		.amdhsa_system_sgpr_workgroup_info 0
		.amdhsa_system_vgpr_workitem_id 0
		.amdhsa_next_free_vgpr 1
		.amdhsa_next_free_sgpr 1
		.amdhsa_reserve_vcc 0
		.amdhsa_reserve_flat_scratch 0
		.amdhsa_float_round_mode_32 0
		.amdhsa_float_round_mode_16_64 0
		.amdhsa_float_denorm_mode_32 3
		.amdhsa_float_denorm_mode_16_64 3
		.amdhsa_dx10_clamp 1
		.amdhsa_ieee_mode 1
		.amdhsa_fp16_overflow 0
		.amdhsa_workgroup_processor_mode 1
		.amdhsa_memory_ordered 1
		.amdhsa_forward_progress 1
		.amdhsa_shared_vgpr_count 0
		.amdhsa_exception_fp_ieee_invalid_op 0
		.amdhsa_exception_fp_denorm_src 0
		.amdhsa_exception_fp_ieee_div_zero 0
		.amdhsa_exception_fp_ieee_overflow 0
		.amdhsa_exception_fp_ieee_underflow 0
		.amdhsa_exception_fp_ieee_inexact 0
		.amdhsa_exception_int_div_zero 0
	.end_amdhsa_kernel
	.section	.text._ZN7rocprim17ROCPRIM_400000_NS6detail17trampoline_kernelINS0_14default_configENS1_27scan_by_key_config_selectorIllEEZZNS1_16scan_by_key_implILNS1_25lookback_scan_determinismE0ELb0ES3_PKlN6hipcub16HIPCUB_304000_NS21ConstantInputIteratorIllEEPllNSB_3SumENSB_8EqualityElEE10hipError_tPvRmT2_T3_T4_T5_mT6_T7_P12ihipStream_tbENKUlT_T0_E_clISt17integral_constantIbLb1EESW_IbLb0EEEEDaSS_ST_EUlSS_E_NS1_11comp_targetILNS1_3genE9ELNS1_11target_archE1100ELNS1_3gpuE3ELNS1_3repE0EEENS1_30default_config_static_selectorELNS0_4arch9wavefront6targetE0EEEvT1_,"axG",@progbits,_ZN7rocprim17ROCPRIM_400000_NS6detail17trampoline_kernelINS0_14default_configENS1_27scan_by_key_config_selectorIllEEZZNS1_16scan_by_key_implILNS1_25lookback_scan_determinismE0ELb0ES3_PKlN6hipcub16HIPCUB_304000_NS21ConstantInputIteratorIllEEPllNSB_3SumENSB_8EqualityElEE10hipError_tPvRmT2_T3_T4_T5_mT6_T7_P12ihipStream_tbENKUlT_T0_E_clISt17integral_constantIbLb1EESW_IbLb0EEEEDaSS_ST_EUlSS_E_NS1_11comp_targetILNS1_3genE9ELNS1_11target_archE1100ELNS1_3gpuE3ELNS1_3repE0EEENS1_30default_config_static_selectorELNS0_4arch9wavefront6targetE0EEEvT1_,comdat
.Lfunc_end123:
	.size	_ZN7rocprim17ROCPRIM_400000_NS6detail17trampoline_kernelINS0_14default_configENS1_27scan_by_key_config_selectorIllEEZZNS1_16scan_by_key_implILNS1_25lookback_scan_determinismE0ELb0ES3_PKlN6hipcub16HIPCUB_304000_NS21ConstantInputIteratorIllEEPllNSB_3SumENSB_8EqualityElEE10hipError_tPvRmT2_T3_T4_T5_mT6_T7_P12ihipStream_tbENKUlT_T0_E_clISt17integral_constantIbLb1EESW_IbLb0EEEEDaSS_ST_EUlSS_E_NS1_11comp_targetILNS1_3genE9ELNS1_11target_archE1100ELNS1_3gpuE3ELNS1_3repE0EEENS1_30default_config_static_selectorELNS0_4arch9wavefront6targetE0EEEvT1_, .Lfunc_end123-_ZN7rocprim17ROCPRIM_400000_NS6detail17trampoline_kernelINS0_14default_configENS1_27scan_by_key_config_selectorIllEEZZNS1_16scan_by_key_implILNS1_25lookback_scan_determinismE0ELb0ES3_PKlN6hipcub16HIPCUB_304000_NS21ConstantInputIteratorIllEEPllNSB_3SumENSB_8EqualityElEE10hipError_tPvRmT2_T3_T4_T5_mT6_T7_P12ihipStream_tbENKUlT_T0_E_clISt17integral_constantIbLb1EESW_IbLb0EEEEDaSS_ST_EUlSS_E_NS1_11comp_targetILNS1_3genE9ELNS1_11target_archE1100ELNS1_3gpuE3ELNS1_3repE0EEENS1_30default_config_static_selectorELNS0_4arch9wavefront6targetE0EEEvT1_
                                        ; -- End function
	.set _ZN7rocprim17ROCPRIM_400000_NS6detail17trampoline_kernelINS0_14default_configENS1_27scan_by_key_config_selectorIllEEZZNS1_16scan_by_key_implILNS1_25lookback_scan_determinismE0ELb0ES3_PKlN6hipcub16HIPCUB_304000_NS21ConstantInputIteratorIllEEPllNSB_3SumENSB_8EqualityElEE10hipError_tPvRmT2_T3_T4_T5_mT6_T7_P12ihipStream_tbENKUlT_T0_E_clISt17integral_constantIbLb1EESW_IbLb0EEEEDaSS_ST_EUlSS_E_NS1_11comp_targetILNS1_3genE9ELNS1_11target_archE1100ELNS1_3gpuE3ELNS1_3repE0EEENS1_30default_config_static_selectorELNS0_4arch9wavefront6targetE0EEEvT1_.num_vgpr, 0
	.set _ZN7rocprim17ROCPRIM_400000_NS6detail17trampoline_kernelINS0_14default_configENS1_27scan_by_key_config_selectorIllEEZZNS1_16scan_by_key_implILNS1_25lookback_scan_determinismE0ELb0ES3_PKlN6hipcub16HIPCUB_304000_NS21ConstantInputIteratorIllEEPllNSB_3SumENSB_8EqualityElEE10hipError_tPvRmT2_T3_T4_T5_mT6_T7_P12ihipStream_tbENKUlT_T0_E_clISt17integral_constantIbLb1EESW_IbLb0EEEEDaSS_ST_EUlSS_E_NS1_11comp_targetILNS1_3genE9ELNS1_11target_archE1100ELNS1_3gpuE3ELNS1_3repE0EEENS1_30default_config_static_selectorELNS0_4arch9wavefront6targetE0EEEvT1_.num_agpr, 0
	.set _ZN7rocprim17ROCPRIM_400000_NS6detail17trampoline_kernelINS0_14default_configENS1_27scan_by_key_config_selectorIllEEZZNS1_16scan_by_key_implILNS1_25lookback_scan_determinismE0ELb0ES3_PKlN6hipcub16HIPCUB_304000_NS21ConstantInputIteratorIllEEPllNSB_3SumENSB_8EqualityElEE10hipError_tPvRmT2_T3_T4_T5_mT6_T7_P12ihipStream_tbENKUlT_T0_E_clISt17integral_constantIbLb1EESW_IbLb0EEEEDaSS_ST_EUlSS_E_NS1_11comp_targetILNS1_3genE9ELNS1_11target_archE1100ELNS1_3gpuE3ELNS1_3repE0EEENS1_30default_config_static_selectorELNS0_4arch9wavefront6targetE0EEEvT1_.numbered_sgpr, 0
	.set _ZN7rocprim17ROCPRIM_400000_NS6detail17trampoline_kernelINS0_14default_configENS1_27scan_by_key_config_selectorIllEEZZNS1_16scan_by_key_implILNS1_25lookback_scan_determinismE0ELb0ES3_PKlN6hipcub16HIPCUB_304000_NS21ConstantInputIteratorIllEEPllNSB_3SumENSB_8EqualityElEE10hipError_tPvRmT2_T3_T4_T5_mT6_T7_P12ihipStream_tbENKUlT_T0_E_clISt17integral_constantIbLb1EESW_IbLb0EEEEDaSS_ST_EUlSS_E_NS1_11comp_targetILNS1_3genE9ELNS1_11target_archE1100ELNS1_3gpuE3ELNS1_3repE0EEENS1_30default_config_static_selectorELNS0_4arch9wavefront6targetE0EEEvT1_.num_named_barrier, 0
	.set _ZN7rocprim17ROCPRIM_400000_NS6detail17trampoline_kernelINS0_14default_configENS1_27scan_by_key_config_selectorIllEEZZNS1_16scan_by_key_implILNS1_25lookback_scan_determinismE0ELb0ES3_PKlN6hipcub16HIPCUB_304000_NS21ConstantInputIteratorIllEEPllNSB_3SumENSB_8EqualityElEE10hipError_tPvRmT2_T3_T4_T5_mT6_T7_P12ihipStream_tbENKUlT_T0_E_clISt17integral_constantIbLb1EESW_IbLb0EEEEDaSS_ST_EUlSS_E_NS1_11comp_targetILNS1_3genE9ELNS1_11target_archE1100ELNS1_3gpuE3ELNS1_3repE0EEENS1_30default_config_static_selectorELNS0_4arch9wavefront6targetE0EEEvT1_.private_seg_size, 0
	.set _ZN7rocprim17ROCPRIM_400000_NS6detail17trampoline_kernelINS0_14default_configENS1_27scan_by_key_config_selectorIllEEZZNS1_16scan_by_key_implILNS1_25lookback_scan_determinismE0ELb0ES3_PKlN6hipcub16HIPCUB_304000_NS21ConstantInputIteratorIllEEPllNSB_3SumENSB_8EqualityElEE10hipError_tPvRmT2_T3_T4_T5_mT6_T7_P12ihipStream_tbENKUlT_T0_E_clISt17integral_constantIbLb1EESW_IbLb0EEEEDaSS_ST_EUlSS_E_NS1_11comp_targetILNS1_3genE9ELNS1_11target_archE1100ELNS1_3gpuE3ELNS1_3repE0EEENS1_30default_config_static_selectorELNS0_4arch9wavefront6targetE0EEEvT1_.uses_vcc, 0
	.set _ZN7rocprim17ROCPRIM_400000_NS6detail17trampoline_kernelINS0_14default_configENS1_27scan_by_key_config_selectorIllEEZZNS1_16scan_by_key_implILNS1_25lookback_scan_determinismE0ELb0ES3_PKlN6hipcub16HIPCUB_304000_NS21ConstantInputIteratorIllEEPllNSB_3SumENSB_8EqualityElEE10hipError_tPvRmT2_T3_T4_T5_mT6_T7_P12ihipStream_tbENKUlT_T0_E_clISt17integral_constantIbLb1EESW_IbLb0EEEEDaSS_ST_EUlSS_E_NS1_11comp_targetILNS1_3genE9ELNS1_11target_archE1100ELNS1_3gpuE3ELNS1_3repE0EEENS1_30default_config_static_selectorELNS0_4arch9wavefront6targetE0EEEvT1_.uses_flat_scratch, 0
	.set _ZN7rocprim17ROCPRIM_400000_NS6detail17trampoline_kernelINS0_14default_configENS1_27scan_by_key_config_selectorIllEEZZNS1_16scan_by_key_implILNS1_25lookback_scan_determinismE0ELb0ES3_PKlN6hipcub16HIPCUB_304000_NS21ConstantInputIteratorIllEEPllNSB_3SumENSB_8EqualityElEE10hipError_tPvRmT2_T3_T4_T5_mT6_T7_P12ihipStream_tbENKUlT_T0_E_clISt17integral_constantIbLb1EESW_IbLb0EEEEDaSS_ST_EUlSS_E_NS1_11comp_targetILNS1_3genE9ELNS1_11target_archE1100ELNS1_3gpuE3ELNS1_3repE0EEENS1_30default_config_static_selectorELNS0_4arch9wavefront6targetE0EEEvT1_.has_dyn_sized_stack, 0
	.set _ZN7rocprim17ROCPRIM_400000_NS6detail17trampoline_kernelINS0_14default_configENS1_27scan_by_key_config_selectorIllEEZZNS1_16scan_by_key_implILNS1_25lookback_scan_determinismE0ELb0ES3_PKlN6hipcub16HIPCUB_304000_NS21ConstantInputIteratorIllEEPllNSB_3SumENSB_8EqualityElEE10hipError_tPvRmT2_T3_T4_T5_mT6_T7_P12ihipStream_tbENKUlT_T0_E_clISt17integral_constantIbLb1EESW_IbLb0EEEEDaSS_ST_EUlSS_E_NS1_11comp_targetILNS1_3genE9ELNS1_11target_archE1100ELNS1_3gpuE3ELNS1_3repE0EEENS1_30default_config_static_selectorELNS0_4arch9wavefront6targetE0EEEvT1_.has_recursion, 0
	.set _ZN7rocprim17ROCPRIM_400000_NS6detail17trampoline_kernelINS0_14default_configENS1_27scan_by_key_config_selectorIllEEZZNS1_16scan_by_key_implILNS1_25lookback_scan_determinismE0ELb0ES3_PKlN6hipcub16HIPCUB_304000_NS21ConstantInputIteratorIllEEPllNSB_3SumENSB_8EqualityElEE10hipError_tPvRmT2_T3_T4_T5_mT6_T7_P12ihipStream_tbENKUlT_T0_E_clISt17integral_constantIbLb1EESW_IbLb0EEEEDaSS_ST_EUlSS_E_NS1_11comp_targetILNS1_3genE9ELNS1_11target_archE1100ELNS1_3gpuE3ELNS1_3repE0EEENS1_30default_config_static_selectorELNS0_4arch9wavefront6targetE0EEEvT1_.has_indirect_call, 0
	.section	.AMDGPU.csdata,"",@progbits
; Kernel info:
; codeLenInByte = 0
; TotalNumSgprs: 0
; NumVgprs: 0
; ScratchSize: 0
; MemoryBound: 0
; FloatMode: 240
; IeeeMode: 1
; LDSByteSize: 0 bytes/workgroup (compile time only)
; SGPRBlocks: 0
; VGPRBlocks: 0
; NumSGPRsForWavesPerEU: 1
; NumVGPRsForWavesPerEU: 1
; Occupancy: 16
; WaveLimiterHint : 0
; COMPUTE_PGM_RSRC2:SCRATCH_EN: 0
; COMPUTE_PGM_RSRC2:USER_SGPR: 6
; COMPUTE_PGM_RSRC2:TRAP_HANDLER: 0
; COMPUTE_PGM_RSRC2:TGID_X_EN: 1
; COMPUTE_PGM_RSRC2:TGID_Y_EN: 0
; COMPUTE_PGM_RSRC2:TGID_Z_EN: 0
; COMPUTE_PGM_RSRC2:TIDIG_COMP_CNT: 0
	.section	.text._ZN7rocprim17ROCPRIM_400000_NS6detail17trampoline_kernelINS0_14default_configENS1_27scan_by_key_config_selectorIllEEZZNS1_16scan_by_key_implILNS1_25lookback_scan_determinismE0ELb0ES3_PKlN6hipcub16HIPCUB_304000_NS21ConstantInputIteratorIllEEPllNSB_3SumENSB_8EqualityElEE10hipError_tPvRmT2_T3_T4_T5_mT6_T7_P12ihipStream_tbENKUlT_T0_E_clISt17integral_constantIbLb1EESW_IbLb0EEEEDaSS_ST_EUlSS_E_NS1_11comp_targetILNS1_3genE8ELNS1_11target_archE1030ELNS1_3gpuE2ELNS1_3repE0EEENS1_30default_config_static_selectorELNS0_4arch9wavefront6targetE0EEEvT1_,"axG",@progbits,_ZN7rocprim17ROCPRIM_400000_NS6detail17trampoline_kernelINS0_14default_configENS1_27scan_by_key_config_selectorIllEEZZNS1_16scan_by_key_implILNS1_25lookback_scan_determinismE0ELb0ES3_PKlN6hipcub16HIPCUB_304000_NS21ConstantInputIteratorIllEEPllNSB_3SumENSB_8EqualityElEE10hipError_tPvRmT2_T3_T4_T5_mT6_T7_P12ihipStream_tbENKUlT_T0_E_clISt17integral_constantIbLb1EESW_IbLb0EEEEDaSS_ST_EUlSS_E_NS1_11comp_targetILNS1_3genE8ELNS1_11target_archE1030ELNS1_3gpuE2ELNS1_3repE0EEENS1_30default_config_static_selectorELNS0_4arch9wavefront6targetE0EEEvT1_,comdat
	.protected	_ZN7rocprim17ROCPRIM_400000_NS6detail17trampoline_kernelINS0_14default_configENS1_27scan_by_key_config_selectorIllEEZZNS1_16scan_by_key_implILNS1_25lookback_scan_determinismE0ELb0ES3_PKlN6hipcub16HIPCUB_304000_NS21ConstantInputIteratorIllEEPllNSB_3SumENSB_8EqualityElEE10hipError_tPvRmT2_T3_T4_T5_mT6_T7_P12ihipStream_tbENKUlT_T0_E_clISt17integral_constantIbLb1EESW_IbLb0EEEEDaSS_ST_EUlSS_E_NS1_11comp_targetILNS1_3genE8ELNS1_11target_archE1030ELNS1_3gpuE2ELNS1_3repE0EEENS1_30default_config_static_selectorELNS0_4arch9wavefront6targetE0EEEvT1_ ; -- Begin function _ZN7rocprim17ROCPRIM_400000_NS6detail17trampoline_kernelINS0_14default_configENS1_27scan_by_key_config_selectorIllEEZZNS1_16scan_by_key_implILNS1_25lookback_scan_determinismE0ELb0ES3_PKlN6hipcub16HIPCUB_304000_NS21ConstantInputIteratorIllEEPllNSB_3SumENSB_8EqualityElEE10hipError_tPvRmT2_T3_T4_T5_mT6_T7_P12ihipStream_tbENKUlT_T0_E_clISt17integral_constantIbLb1EESW_IbLb0EEEEDaSS_ST_EUlSS_E_NS1_11comp_targetILNS1_3genE8ELNS1_11target_archE1030ELNS1_3gpuE2ELNS1_3repE0EEENS1_30default_config_static_selectorELNS0_4arch9wavefront6targetE0EEEvT1_
	.globl	_ZN7rocprim17ROCPRIM_400000_NS6detail17trampoline_kernelINS0_14default_configENS1_27scan_by_key_config_selectorIllEEZZNS1_16scan_by_key_implILNS1_25lookback_scan_determinismE0ELb0ES3_PKlN6hipcub16HIPCUB_304000_NS21ConstantInputIteratorIllEEPllNSB_3SumENSB_8EqualityElEE10hipError_tPvRmT2_T3_T4_T5_mT6_T7_P12ihipStream_tbENKUlT_T0_E_clISt17integral_constantIbLb1EESW_IbLb0EEEEDaSS_ST_EUlSS_E_NS1_11comp_targetILNS1_3genE8ELNS1_11target_archE1030ELNS1_3gpuE2ELNS1_3repE0EEENS1_30default_config_static_selectorELNS0_4arch9wavefront6targetE0EEEvT1_
	.p2align	8
	.type	_ZN7rocprim17ROCPRIM_400000_NS6detail17trampoline_kernelINS0_14default_configENS1_27scan_by_key_config_selectorIllEEZZNS1_16scan_by_key_implILNS1_25lookback_scan_determinismE0ELb0ES3_PKlN6hipcub16HIPCUB_304000_NS21ConstantInputIteratorIllEEPllNSB_3SumENSB_8EqualityElEE10hipError_tPvRmT2_T3_T4_T5_mT6_T7_P12ihipStream_tbENKUlT_T0_E_clISt17integral_constantIbLb1EESW_IbLb0EEEEDaSS_ST_EUlSS_E_NS1_11comp_targetILNS1_3genE8ELNS1_11target_archE1030ELNS1_3gpuE2ELNS1_3repE0EEENS1_30default_config_static_selectorELNS0_4arch9wavefront6targetE0EEEvT1_,@function
_ZN7rocprim17ROCPRIM_400000_NS6detail17trampoline_kernelINS0_14default_configENS1_27scan_by_key_config_selectorIllEEZZNS1_16scan_by_key_implILNS1_25lookback_scan_determinismE0ELb0ES3_PKlN6hipcub16HIPCUB_304000_NS21ConstantInputIteratorIllEEPllNSB_3SumENSB_8EqualityElEE10hipError_tPvRmT2_T3_T4_T5_mT6_T7_P12ihipStream_tbENKUlT_T0_E_clISt17integral_constantIbLb1EESW_IbLb0EEEEDaSS_ST_EUlSS_E_NS1_11comp_targetILNS1_3genE8ELNS1_11target_archE1030ELNS1_3gpuE2ELNS1_3repE0EEENS1_30default_config_static_selectorELNS0_4arch9wavefront6targetE0EEEvT1_: ; @_ZN7rocprim17ROCPRIM_400000_NS6detail17trampoline_kernelINS0_14default_configENS1_27scan_by_key_config_selectorIllEEZZNS1_16scan_by_key_implILNS1_25lookback_scan_determinismE0ELb0ES3_PKlN6hipcub16HIPCUB_304000_NS21ConstantInputIteratorIllEEPllNSB_3SumENSB_8EqualityElEE10hipError_tPvRmT2_T3_T4_T5_mT6_T7_P12ihipStream_tbENKUlT_T0_E_clISt17integral_constantIbLb1EESW_IbLb0EEEEDaSS_ST_EUlSS_E_NS1_11comp_targetILNS1_3genE8ELNS1_11target_archE1030ELNS1_3gpuE2ELNS1_3repE0EEENS1_30default_config_static_selectorELNS0_4arch9wavefront6targetE0EEEvT1_
; %bb.0:
	s_endpgm
	.section	.rodata,"a",@progbits
	.p2align	6, 0x0
	.amdhsa_kernel _ZN7rocprim17ROCPRIM_400000_NS6detail17trampoline_kernelINS0_14default_configENS1_27scan_by_key_config_selectorIllEEZZNS1_16scan_by_key_implILNS1_25lookback_scan_determinismE0ELb0ES3_PKlN6hipcub16HIPCUB_304000_NS21ConstantInputIteratorIllEEPllNSB_3SumENSB_8EqualityElEE10hipError_tPvRmT2_T3_T4_T5_mT6_T7_P12ihipStream_tbENKUlT_T0_E_clISt17integral_constantIbLb1EESW_IbLb0EEEEDaSS_ST_EUlSS_E_NS1_11comp_targetILNS1_3genE8ELNS1_11target_archE1030ELNS1_3gpuE2ELNS1_3repE0EEENS1_30default_config_static_selectorELNS0_4arch9wavefront6targetE0EEEvT1_
		.amdhsa_group_segment_fixed_size 0
		.amdhsa_private_segment_fixed_size 0
		.amdhsa_kernarg_size 144
		.amdhsa_user_sgpr_count 6
		.amdhsa_user_sgpr_private_segment_buffer 1
		.amdhsa_user_sgpr_dispatch_ptr 0
		.amdhsa_user_sgpr_queue_ptr 0
		.amdhsa_user_sgpr_kernarg_segment_ptr 1
		.amdhsa_user_sgpr_dispatch_id 0
		.amdhsa_user_sgpr_flat_scratch_init 0
		.amdhsa_user_sgpr_private_segment_size 0
		.amdhsa_wavefront_size32 1
		.amdhsa_uses_dynamic_stack 0
		.amdhsa_system_sgpr_private_segment_wavefront_offset 0
		.amdhsa_system_sgpr_workgroup_id_x 1
		.amdhsa_system_sgpr_workgroup_id_y 0
		.amdhsa_system_sgpr_workgroup_id_z 0
		.amdhsa_system_sgpr_workgroup_info 0
		.amdhsa_system_vgpr_workitem_id 0
		.amdhsa_next_free_vgpr 1
		.amdhsa_next_free_sgpr 1
		.amdhsa_reserve_vcc 0
		.amdhsa_reserve_flat_scratch 0
		.amdhsa_float_round_mode_32 0
		.amdhsa_float_round_mode_16_64 0
		.amdhsa_float_denorm_mode_32 3
		.amdhsa_float_denorm_mode_16_64 3
		.amdhsa_dx10_clamp 1
		.amdhsa_ieee_mode 1
		.amdhsa_fp16_overflow 0
		.amdhsa_workgroup_processor_mode 1
		.amdhsa_memory_ordered 1
		.amdhsa_forward_progress 1
		.amdhsa_shared_vgpr_count 0
		.amdhsa_exception_fp_ieee_invalid_op 0
		.amdhsa_exception_fp_denorm_src 0
		.amdhsa_exception_fp_ieee_div_zero 0
		.amdhsa_exception_fp_ieee_overflow 0
		.amdhsa_exception_fp_ieee_underflow 0
		.amdhsa_exception_fp_ieee_inexact 0
		.amdhsa_exception_int_div_zero 0
	.end_amdhsa_kernel
	.section	.text._ZN7rocprim17ROCPRIM_400000_NS6detail17trampoline_kernelINS0_14default_configENS1_27scan_by_key_config_selectorIllEEZZNS1_16scan_by_key_implILNS1_25lookback_scan_determinismE0ELb0ES3_PKlN6hipcub16HIPCUB_304000_NS21ConstantInputIteratorIllEEPllNSB_3SumENSB_8EqualityElEE10hipError_tPvRmT2_T3_T4_T5_mT6_T7_P12ihipStream_tbENKUlT_T0_E_clISt17integral_constantIbLb1EESW_IbLb0EEEEDaSS_ST_EUlSS_E_NS1_11comp_targetILNS1_3genE8ELNS1_11target_archE1030ELNS1_3gpuE2ELNS1_3repE0EEENS1_30default_config_static_selectorELNS0_4arch9wavefront6targetE0EEEvT1_,"axG",@progbits,_ZN7rocprim17ROCPRIM_400000_NS6detail17trampoline_kernelINS0_14default_configENS1_27scan_by_key_config_selectorIllEEZZNS1_16scan_by_key_implILNS1_25lookback_scan_determinismE0ELb0ES3_PKlN6hipcub16HIPCUB_304000_NS21ConstantInputIteratorIllEEPllNSB_3SumENSB_8EqualityElEE10hipError_tPvRmT2_T3_T4_T5_mT6_T7_P12ihipStream_tbENKUlT_T0_E_clISt17integral_constantIbLb1EESW_IbLb0EEEEDaSS_ST_EUlSS_E_NS1_11comp_targetILNS1_3genE8ELNS1_11target_archE1030ELNS1_3gpuE2ELNS1_3repE0EEENS1_30default_config_static_selectorELNS0_4arch9wavefront6targetE0EEEvT1_,comdat
.Lfunc_end124:
	.size	_ZN7rocprim17ROCPRIM_400000_NS6detail17trampoline_kernelINS0_14default_configENS1_27scan_by_key_config_selectorIllEEZZNS1_16scan_by_key_implILNS1_25lookback_scan_determinismE0ELb0ES3_PKlN6hipcub16HIPCUB_304000_NS21ConstantInputIteratorIllEEPllNSB_3SumENSB_8EqualityElEE10hipError_tPvRmT2_T3_T4_T5_mT6_T7_P12ihipStream_tbENKUlT_T0_E_clISt17integral_constantIbLb1EESW_IbLb0EEEEDaSS_ST_EUlSS_E_NS1_11comp_targetILNS1_3genE8ELNS1_11target_archE1030ELNS1_3gpuE2ELNS1_3repE0EEENS1_30default_config_static_selectorELNS0_4arch9wavefront6targetE0EEEvT1_, .Lfunc_end124-_ZN7rocprim17ROCPRIM_400000_NS6detail17trampoline_kernelINS0_14default_configENS1_27scan_by_key_config_selectorIllEEZZNS1_16scan_by_key_implILNS1_25lookback_scan_determinismE0ELb0ES3_PKlN6hipcub16HIPCUB_304000_NS21ConstantInputIteratorIllEEPllNSB_3SumENSB_8EqualityElEE10hipError_tPvRmT2_T3_T4_T5_mT6_T7_P12ihipStream_tbENKUlT_T0_E_clISt17integral_constantIbLb1EESW_IbLb0EEEEDaSS_ST_EUlSS_E_NS1_11comp_targetILNS1_3genE8ELNS1_11target_archE1030ELNS1_3gpuE2ELNS1_3repE0EEENS1_30default_config_static_selectorELNS0_4arch9wavefront6targetE0EEEvT1_
                                        ; -- End function
	.set _ZN7rocprim17ROCPRIM_400000_NS6detail17trampoline_kernelINS0_14default_configENS1_27scan_by_key_config_selectorIllEEZZNS1_16scan_by_key_implILNS1_25lookback_scan_determinismE0ELb0ES3_PKlN6hipcub16HIPCUB_304000_NS21ConstantInputIteratorIllEEPllNSB_3SumENSB_8EqualityElEE10hipError_tPvRmT2_T3_T4_T5_mT6_T7_P12ihipStream_tbENKUlT_T0_E_clISt17integral_constantIbLb1EESW_IbLb0EEEEDaSS_ST_EUlSS_E_NS1_11comp_targetILNS1_3genE8ELNS1_11target_archE1030ELNS1_3gpuE2ELNS1_3repE0EEENS1_30default_config_static_selectorELNS0_4arch9wavefront6targetE0EEEvT1_.num_vgpr, 0
	.set _ZN7rocprim17ROCPRIM_400000_NS6detail17trampoline_kernelINS0_14default_configENS1_27scan_by_key_config_selectorIllEEZZNS1_16scan_by_key_implILNS1_25lookback_scan_determinismE0ELb0ES3_PKlN6hipcub16HIPCUB_304000_NS21ConstantInputIteratorIllEEPllNSB_3SumENSB_8EqualityElEE10hipError_tPvRmT2_T3_T4_T5_mT6_T7_P12ihipStream_tbENKUlT_T0_E_clISt17integral_constantIbLb1EESW_IbLb0EEEEDaSS_ST_EUlSS_E_NS1_11comp_targetILNS1_3genE8ELNS1_11target_archE1030ELNS1_3gpuE2ELNS1_3repE0EEENS1_30default_config_static_selectorELNS0_4arch9wavefront6targetE0EEEvT1_.num_agpr, 0
	.set _ZN7rocprim17ROCPRIM_400000_NS6detail17trampoline_kernelINS0_14default_configENS1_27scan_by_key_config_selectorIllEEZZNS1_16scan_by_key_implILNS1_25lookback_scan_determinismE0ELb0ES3_PKlN6hipcub16HIPCUB_304000_NS21ConstantInputIteratorIllEEPllNSB_3SumENSB_8EqualityElEE10hipError_tPvRmT2_T3_T4_T5_mT6_T7_P12ihipStream_tbENKUlT_T0_E_clISt17integral_constantIbLb1EESW_IbLb0EEEEDaSS_ST_EUlSS_E_NS1_11comp_targetILNS1_3genE8ELNS1_11target_archE1030ELNS1_3gpuE2ELNS1_3repE0EEENS1_30default_config_static_selectorELNS0_4arch9wavefront6targetE0EEEvT1_.numbered_sgpr, 0
	.set _ZN7rocprim17ROCPRIM_400000_NS6detail17trampoline_kernelINS0_14default_configENS1_27scan_by_key_config_selectorIllEEZZNS1_16scan_by_key_implILNS1_25lookback_scan_determinismE0ELb0ES3_PKlN6hipcub16HIPCUB_304000_NS21ConstantInputIteratorIllEEPllNSB_3SumENSB_8EqualityElEE10hipError_tPvRmT2_T3_T4_T5_mT6_T7_P12ihipStream_tbENKUlT_T0_E_clISt17integral_constantIbLb1EESW_IbLb0EEEEDaSS_ST_EUlSS_E_NS1_11comp_targetILNS1_3genE8ELNS1_11target_archE1030ELNS1_3gpuE2ELNS1_3repE0EEENS1_30default_config_static_selectorELNS0_4arch9wavefront6targetE0EEEvT1_.num_named_barrier, 0
	.set _ZN7rocprim17ROCPRIM_400000_NS6detail17trampoline_kernelINS0_14default_configENS1_27scan_by_key_config_selectorIllEEZZNS1_16scan_by_key_implILNS1_25lookback_scan_determinismE0ELb0ES3_PKlN6hipcub16HIPCUB_304000_NS21ConstantInputIteratorIllEEPllNSB_3SumENSB_8EqualityElEE10hipError_tPvRmT2_T3_T4_T5_mT6_T7_P12ihipStream_tbENKUlT_T0_E_clISt17integral_constantIbLb1EESW_IbLb0EEEEDaSS_ST_EUlSS_E_NS1_11comp_targetILNS1_3genE8ELNS1_11target_archE1030ELNS1_3gpuE2ELNS1_3repE0EEENS1_30default_config_static_selectorELNS0_4arch9wavefront6targetE0EEEvT1_.private_seg_size, 0
	.set _ZN7rocprim17ROCPRIM_400000_NS6detail17trampoline_kernelINS0_14default_configENS1_27scan_by_key_config_selectorIllEEZZNS1_16scan_by_key_implILNS1_25lookback_scan_determinismE0ELb0ES3_PKlN6hipcub16HIPCUB_304000_NS21ConstantInputIteratorIllEEPllNSB_3SumENSB_8EqualityElEE10hipError_tPvRmT2_T3_T4_T5_mT6_T7_P12ihipStream_tbENKUlT_T0_E_clISt17integral_constantIbLb1EESW_IbLb0EEEEDaSS_ST_EUlSS_E_NS1_11comp_targetILNS1_3genE8ELNS1_11target_archE1030ELNS1_3gpuE2ELNS1_3repE0EEENS1_30default_config_static_selectorELNS0_4arch9wavefront6targetE0EEEvT1_.uses_vcc, 0
	.set _ZN7rocprim17ROCPRIM_400000_NS6detail17trampoline_kernelINS0_14default_configENS1_27scan_by_key_config_selectorIllEEZZNS1_16scan_by_key_implILNS1_25lookback_scan_determinismE0ELb0ES3_PKlN6hipcub16HIPCUB_304000_NS21ConstantInputIteratorIllEEPllNSB_3SumENSB_8EqualityElEE10hipError_tPvRmT2_T3_T4_T5_mT6_T7_P12ihipStream_tbENKUlT_T0_E_clISt17integral_constantIbLb1EESW_IbLb0EEEEDaSS_ST_EUlSS_E_NS1_11comp_targetILNS1_3genE8ELNS1_11target_archE1030ELNS1_3gpuE2ELNS1_3repE0EEENS1_30default_config_static_selectorELNS0_4arch9wavefront6targetE0EEEvT1_.uses_flat_scratch, 0
	.set _ZN7rocprim17ROCPRIM_400000_NS6detail17trampoline_kernelINS0_14default_configENS1_27scan_by_key_config_selectorIllEEZZNS1_16scan_by_key_implILNS1_25lookback_scan_determinismE0ELb0ES3_PKlN6hipcub16HIPCUB_304000_NS21ConstantInputIteratorIllEEPllNSB_3SumENSB_8EqualityElEE10hipError_tPvRmT2_T3_T4_T5_mT6_T7_P12ihipStream_tbENKUlT_T0_E_clISt17integral_constantIbLb1EESW_IbLb0EEEEDaSS_ST_EUlSS_E_NS1_11comp_targetILNS1_3genE8ELNS1_11target_archE1030ELNS1_3gpuE2ELNS1_3repE0EEENS1_30default_config_static_selectorELNS0_4arch9wavefront6targetE0EEEvT1_.has_dyn_sized_stack, 0
	.set _ZN7rocprim17ROCPRIM_400000_NS6detail17trampoline_kernelINS0_14default_configENS1_27scan_by_key_config_selectorIllEEZZNS1_16scan_by_key_implILNS1_25lookback_scan_determinismE0ELb0ES3_PKlN6hipcub16HIPCUB_304000_NS21ConstantInputIteratorIllEEPllNSB_3SumENSB_8EqualityElEE10hipError_tPvRmT2_T3_T4_T5_mT6_T7_P12ihipStream_tbENKUlT_T0_E_clISt17integral_constantIbLb1EESW_IbLb0EEEEDaSS_ST_EUlSS_E_NS1_11comp_targetILNS1_3genE8ELNS1_11target_archE1030ELNS1_3gpuE2ELNS1_3repE0EEENS1_30default_config_static_selectorELNS0_4arch9wavefront6targetE0EEEvT1_.has_recursion, 0
	.set _ZN7rocprim17ROCPRIM_400000_NS6detail17trampoline_kernelINS0_14default_configENS1_27scan_by_key_config_selectorIllEEZZNS1_16scan_by_key_implILNS1_25lookback_scan_determinismE0ELb0ES3_PKlN6hipcub16HIPCUB_304000_NS21ConstantInputIteratorIllEEPllNSB_3SumENSB_8EqualityElEE10hipError_tPvRmT2_T3_T4_T5_mT6_T7_P12ihipStream_tbENKUlT_T0_E_clISt17integral_constantIbLb1EESW_IbLb0EEEEDaSS_ST_EUlSS_E_NS1_11comp_targetILNS1_3genE8ELNS1_11target_archE1030ELNS1_3gpuE2ELNS1_3repE0EEENS1_30default_config_static_selectorELNS0_4arch9wavefront6targetE0EEEvT1_.has_indirect_call, 0
	.section	.AMDGPU.csdata,"",@progbits
; Kernel info:
; codeLenInByte = 4
; TotalNumSgprs: 0
; NumVgprs: 0
; ScratchSize: 0
; MemoryBound: 0
; FloatMode: 240
; IeeeMode: 1
; LDSByteSize: 0 bytes/workgroup (compile time only)
; SGPRBlocks: 0
; VGPRBlocks: 0
; NumSGPRsForWavesPerEU: 1
; NumVGPRsForWavesPerEU: 1
; Occupancy: 16
; WaveLimiterHint : 0
; COMPUTE_PGM_RSRC2:SCRATCH_EN: 0
; COMPUTE_PGM_RSRC2:USER_SGPR: 6
; COMPUTE_PGM_RSRC2:TRAP_HANDLER: 0
; COMPUTE_PGM_RSRC2:TGID_X_EN: 1
; COMPUTE_PGM_RSRC2:TGID_Y_EN: 0
; COMPUTE_PGM_RSRC2:TGID_Z_EN: 0
; COMPUTE_PGM_RSRC2:TIDIG_COMP_CNT: 0
	.section	.text._ZN7rocprim17ROCPRIM_400000_NS6detail30init_device_scan_by_key_kernelINS1_19lookback_scan_stateINS0_5tupleIJlbEEELb0ELb0EEEPKljNS1_16block_id_wrapperIjLb1EEEEEvT_jjPNSB_10value_typeET0_PNSt15iterator_traitsISE_E10value_typeEmT1_T2_,"axG",@progbits,_ZN7rocprim17ROCPRIM_400000_NS6detail30init_device_scan_by_key_kernelINS1_19lookback_scan_stateINS0_5tupleIJlbEEELb0ELb0EEEPKljNS1_16block_id_wrapperIjLb1EEEEEvT_jjPNSB_10value_typeET0_PNSt15iterator_traitsISE_E10value_typeEmT1_T2_,comdat
	.protected	_ZN7rocprim17ROCPRIM_400000_NS6detail30init_device_scan_by_key_kernelINS1_19lookback_scan_stateINS0_5tupleIJlbEEELb0ELb0EEEPKljNS1_16block_id_wrapperIjLb1EEEEEvT_jjPNSB_10value_typeET0_PNSt15iterator_traitsISE_E10value_typeEmT1_T2_ ; -- Begin function _ZN7rocprim17ROCPRIM_400000_NS6detail30init_device_scan_by_key_kernelINS1_19lookback_scan_stateINS0_5tupleIJlbEEELb0ELb0EEEPKljNS1_16block_id_wrapperIjLb1EEEEEvT_jjPNSB_10value_typeET0_PNSt15iterator_traitsISE_E10value_typeEmT1_T2_
	.globl	_ZN7rocprim17ROCPRIM_400000_NS6detail30init_device_scan_by_key_kernelINS1_19lookback_scan_stateINS0_5tupleIJlbEEELb0ELb0EEEPKljNS1_16block_id_wrapperIjLb1EEEEEvT_jjPNSB_10value_typeET0_PNSt15iterator_traitsISE_E10value_typeEmT1_T2_
	.p2align	8
	.type	_ZN7rocprim17ROCPRIM_400000_NS6detail30init_device_scan_by_key_kernelINS1_19lookback_scan_stateINS0_5tupleIJlbEEELb0ELb0EEEPKljNS1_16block_id_wrapperIjLb1EEEEEvT_jjPNSB_10value_typeET0_PNSt15iterator_traitsISE_E10value_typeEmT1_T2_,@function
_ZN7rocprim17ROCPRIM_400000_NS6detail30init_device_scan_by_key_kernelINS1_19lookback_scan_stateINS0_5tupleIJlbEEELb0ELb0EEEPKljNS1_16block_id_wrapperIjLb1EEEEEvT_jjPNSB_10value_typeET0_PNSt15iterator_traitsISE_E10value_typeEmT1_T2_: ; @_ZN7rocprim17ROCPRIM_400000_NS6detail30init_device_scan_by_key_kernelINS1_19lookback_scan_stateINS0_5tupleIJlbEEELb0ELb0EEEPKljNS1_16block_id_wrapperIjLb1EEEEEvT_jjPNSB_10value_typeET0_PNSt15iterator_traitsISE_E10value_typeEmT1_T2_
; %bb.0:
	s_clause 0x2
	s_load_dword s0, s[4:5], 0x5c
	s_load_dwordx8 s[8:15], s[4:5], 0x10
	s_load_dword s18, s[4:5], 0x50
	s_waitcnt lgkmcnt(0)
	s_and_b32 s19, s0, 0xffff
	s_cmp_eq_u64 s[12:13], 0
	v_mad_u64_u32 v[0:1], null, s6, s19, v[0:1]
	s_cbranch_scc1 .LBB125_6
; %bb.1:
	s_cmp_lt_u32 s11, s10
	s_mov_b32 s7, 0
	s_cselect_b32 s0, s11, 0
	s_mov_b32 s20, exec_lo
	v_cmpx_eq_u32_e64 s0, v0
	s_cbranch_execz .LBB125_5
; %bb.2:
	s_add_i32 s6, s11, 32
	s_load_dwordx4 s[0:3], s[4:5], 0x0
	v_mov_b32_e32 v1, s6
	s_add_u32 s16, s8, s6
	s_addc_u32 s17, s9, 0
	global_load_ubyte v2, v1, s[8:9] glc dlc
	v_mov_b32_e32 v1, 0
	s_waitcnt vmcnt(0)
	v_cmp_ne_u32_sdwa s21, v2, v1 src0_sel:WORD_0 src1_sel:DWORD
	v_readfirstlane_b32 s11, v2
	s_and_b32 vcc_lo, exec_lo, s21
	s_cbranch_vccnz .LBB125_4
.LBB125_3:                              ; =>This Inner Loop Header: Depth=1
	global_load_ubyte v2, v1, s[16:17] glc dlc
	s_waitcnt vmcnt(0)
	v_cmp_eq_u32_sdwa s21, v2, v1 src0_sel:WORD_0 src1_sel:DWORD
	v_readfirstlane_b32 s11, v2
	s_and_b32 vcc_lo, exec_lo, s21
	s_cbranch_vccnz .LBB125_3
.LBB125_4:
	s_and_b32 s11, 0xffff, s11
	v_mov_b32_e32 v3, 0
	s_cmp_eq_u32 s11, 1
	s_waitcnt lgkmcnt(0)
	buffer_gl1_inv
	buffer_gl0_inv
	s_cselect_b32 s3, s1, s3
	s_cselect_b32 s2, s0, s2
	s_lshl_b64 s[0:1], s[6:7], 4
	s_add_u32 s0, s2, s0
	s_addc_u32 s1, s3, s1
	s_clause 0x1
	global_load_dwordx2 v[1:2], v3, s[0:1]
	global_load_ubyte v4, v3, s[0:1] offset:8
	s_waitcnt vmcnt(1)
	global_store_dwordx2 v3, v[1:2], s[12:13]
	s_waitcnt vmcnt(0)
	global_store_byte v3, v4, s[12:13] offset:8
.LBB125_5:
	s_or_b32 exec_lo, exec_lo, s20
.LBB125_6:
	s_mov_b32 s0, exec_lo
	v_cmpx_eq_u32_e32 0, v0
	s_cbranch_execz .LBB125_8
; %bb.7:
	s_load_dwordx2 s[2:3], s[4:5], 0x48
	v_mov_b32_e32 v1, 0
	s_waitcnt lgkmcnt(0)
	global_store_dword v1, v1, s[2:3]
.LBB125_8:
	s_or_b32 exec_lo, exec_lo, s0
	s_mov_b32 s0, exec_lo
	v_cmpx_gt_u32_e64 s10, v0
	s_cbranch_execz .LBB125_10
; %bb.9:
	v_add_nc_u32_e32 v1, 32, v0
	v_mov_b32_e32 v2, 0
	global_store_byte v1, v2, s[8:9]
.LBB125_10:
	s_or_b32 exec_lo, exec_lo, s0
	v_mov_b32_e32 v1, 0
	s_mov_b32 s0, exec_lo
	v_cmpx_gt_u32_e32 32, v0
	s_cbranch_execz .LBB125_12
; %bb.11:
	v_add_co_u32 v2, s1, s8, v0
	v_add_co_ci_u32_e64 v3, null, s9, 0, s1
	v_mov_b32_e32 v4, 0xff
	global_store_byte v[2:3], v4, off
.LBB125_12:
	s_or_b32 exec_lo, exec_lo, s0
	s_load_dwordx2 s[2:3], s[4:5], 0x38
	s_mov_b32 s0, exec_lo
	s_waitcnt lgkmcnt(0)
	v_cmpx_gt_u64_e64 s[2:3], v[0:1]
	s_cbranch_execz .LBB125_15
; %bb.13:
	s_clause 0x1
	s_load_dword s8, s[4:5], 0x40
	s_load_dwordx2 s[6:7], s[4:5], 0x30
	s_mov_b32 s1, 0
	v_lshlrev_b64 v[4:5], 3, v[0:1]
	s_mul_i32 s4, s18, s19
	s_waitcnt lgkmcnt(0)
	v_mad_u64_u32 v[2:3], null, s8, v0, 0
	s_add_i32 s0, s8, -1
	s_mul_hi_u32 s9, s8, s4
	s_lshl_b64 s[10:11], s[0:1], 3
	s_mul_i32 s8, s8, s4
	s_add_u32 s0, s14, s10
	s_addc_u32 s5, s15, s11
	v_lshlrev_b64 v[2:3], 3, v[2:3]
	v_add_co_u32 v2, vcc_lo, s0, v2
	v_add_co_ci_u32_e64 v3, null, s5, v3, vcc_lo
	v_add_co_u32 v4, vcc_lo, s6, v4
	v_add_co_ci_u32_e64 v5, null, s7, v5, vcc_lo
	s_mov_b32 s5, s1
	s_lshl_b64 s[6:7], s[8:9], 3
	s_lshl_b64 s[8:9], s[4:5], 3
	.p2align	6
.LBB125_14:                             ; =>This Inner Loop Header: Depth=1
	global_load_dwordx2 v[6:7], v[2:3], off
	v_add_co_u32 v0, vcc_lo, v0, s4
	v_add_co_ci_u32_e64 v1, null, 0, v1, vcc_lo
	v_add_co_u32 v2, vcc_lo, v2, s6
	v_add_co_ci_u32_e64 v3, null, s7, v3, vcc_lo
	v_cmp_le_u64_e32 vcc_lo, s[2:3], v[0:1]
	s_or_b32 s1, vcc_lo, s1
	s_waitcnt vmcnt(0)
	global_store_dwordx2 v[4:5], v[6:7], off
	v_add_co_u32 v4, s0, v4, s8
	v_add_co_ci_u32_e64 v5, null, s9, v5, s0
	s_andn2_b32 exec_lo, exec_lo, s1
	s_cbranch_execnz .LBB125_14
.LBB125_15:
	s_endpgm
	.section	.rodata,"a",@progbits
	.p2align	6, 0x0
	.amdhsa_kernel _ZN7rocprim17ROCPRIM_400000_NS6detail30init_device_scan_by_key_kernelINS1_19lookback_scan_stateINS0_5tupleIJlbEEELb0ELb0EEEPKljNS1_16block_id_wrapperIjLb1EEEEEvT_jjPNSB_10value_typeET0_PNSt15iterator_traitsISE_E10value_typeEmT1_T2_
		.amdhsa_group_segment_fixed_size 0
		.amdhsa_private_segment_fixed_size 0
		.amdhsa_kernarg_size 336
		.amdhsa_user_sgpr_count 6
		.amdhsa_user_sgpr_private_segment_buffer 1
		.amdhsa_user_sgpr_dispatch_ptr 0
		.amdhsa_user_sgpr_queue_ptr 0
		.amdhsa_user_sgpr_kernarg_segment_ptr 1
		.amdhsa_user_sgpr_dispatch_id 0
		.amdhsa_user_sgpr_flat_scratch_init 0
		.amdhsa_user_sgpr_private_segment_size 0
		.amdhsa_wavefront_size32 1
		.amdhsa_uses_dynamic_stack 0
		.amdhsa_system_sgpr_private_segment_wavefront_offset 0
		.amdhsa_system_sgpr_workgroup_id_x 1
		.amdhsa_system_sgpr_workgroup_id_y 0
		.amdhsa_system_sgpr_workgroup_id_z 0
		.amdhsa_system_sgpr_workgroup_info 0
		.amdhsa_system_vgpr_workitem_id 0
		.amdhsa_next_free_vgpr 8
		.amdhsa_next_free_sgpr 22
		.amdhsa_reserve_vcc 1
		.amdhsa_reserve_flat_scratch 0
		.amdhsa_float_round_mode_32 0
		.amdhsa_float_round_mode_16_64 0
		.amdhsa_float_denorm_mode_32 3
		.amdhsa_float_denorm_mode_16_64 3
		.amdhsa_dx10_clamp 1
		.amdhsa_ieee_mode 1
		.amdhsa_fp16_overflow 0
		.amdhsa_workgroup_processor_mode 1
		.amdhsa_memory_ordered 1
		.amdhsa_forward_progress 1
		.amdhsa_shared_vgpr_count 0
		.amdhsa_exception_fp_ieee_invalid_op 0
		.amdhsa_exception_fp_denorm_src 0
		.amdhsa_exception_fp_ieee_div_zero 0
		.amdhsa_exception_fp_ieee_overflow 0
		.amdhsa_exception_fp_ieee_underflow 0
		.amdhsa_exception_fp_ieee_inexact 0
		.amdhsa_exception_int_div_zero 0
	.end_amdhsa_kernel
	.section	.text._ZN7rocprim17ROCPRIM_400000_NS6detail30init_device_scan_by_key_kernelINS1_19lookback_scan_stateINS0_5tupleIJlbEEELb0ELb0EEEPKljNS1_16block_id_wrapperIjLb1EEEEEvT_jjPNSB_10value_typeET0_PNSt15iterator_traitsISE_E10value_typeEmT1_T2_,"axG",@progbits,_ZN7rocprim17ROCPRIM_400000_NS6detail30init_device_scan_by_key_kernelINS1_19lookback_scan_stateINS0_5tupleIJlbEEELb0ELb0EEEPKljNS1_16block_id_wrapperIjLb1EEEEEvT_jjPNSB_10value_typeET0_PNSt15iterator_traitsISE_E10value_typeEmT1_T2_,comdat
.Lfunc_end125:
	.size	_ZN7rocprim17ROCPRIM_400000_NS6detail30init_device_scan_by_key_kernelINS1_19lookback_scan_stateINS0_5tupleIJlbEEELb0ELb0EEEPKljNS1_16block_id_wrapperIjLb1EEEEEvT_jjPNSB_10value_typeET0_PNSt15iterator_traitsISE_E10value_typeEmT1_T2_, .Lfunc_end125-_ZN7rocprim17ROCPRIM_400000_NS6detail30init_device_scan_by_key_kernelINS1_19lookback_scan_stateINS0_5tupleIJlbEEELb0ELb0EEEPKljNS1_16block_id_wrapperIjLb1EEEEEvT_jjPNSB_10value_typeET0_PNSt15iterator_traitsISE_E10value_typeEmT1_T2_
                                        ; -- End function
	.set _ZN7rocprim17ROCPRIM_400000_NS6detail30init_device_scan_by_key_kernelINS1_19lookback_scan_stateINS0_5tupleIJlbEEELb0ELb0EEEPKljNS1_16block_id_wrapperIjLb1EEEEEvT_jjPNSB_10value_typeET0_PNSt15iterator_traitsISE_E10value_typeEmT1_T2_.num_vgpr, 8
	.set _ZN7rocprim17ROCPRIM_400000_NS6detail30init_device_scan_by_key_kernelINS1_19lookback_scan_stateINS0_5tupleIJlbEEELb0ELb0EEEPKljNS1_16block_id_wrapperIjLb1EEEEEvT_jjPNSB_10value_typeET0_PNSt15iterator_traitsISE_E10value_typeEmT1_T2_.num_agpr, 0
	.set _ZN7rocprim17ROCPRIM_400000_NS6detail30init_device_scan_by_key_kernelINS1_19lookback_scan_stateINS0_5tupleIJlbEEELb0ELb0EEEPKljNS1_16block_id_wrapperIjLb1EEEEEvT_jjPNSB_10value_typeET0_PNSt15iterator_traitsISE_E10value_typeEmT1_T2_.numbered_sgpr, 22
	.set _ZN7rocprim17ROCPRIM_400000_NS6detail30init_device_scan_by_key_kernelINS1_19lookback_scan_stateINS0_5tupleIJlbEEELb0ELb0EEEPKljNS1_16block_id_wrapperIjLb1EEEEEvT_jjPNSB_10value_typeET0_PNSt15iterator_traitsISE_E10value_typeEmT1_T2_.num_named_barrier, 0
	.set _ZN7rocprim17ROCPRIM_400000_NS6detail30init_device_scan_by_key_kernelINS1_19lookback_scan_stateINS0_5tupleIJlbEEELb0ELb0EEEPKljNS1_16block_id_wrapperIjLb1EEEEEvT_jjPNSB_10value_typeET0_PNSt15iterator_traitsISE_E10value_typeEmT1_T2_.private_seg_size, 0
	.set _ZN7rocprim17ROCPRIM_400000_NS6detail30init_device_scan_by_key_kernelINS1_19lookback_scan_stateINS0_5tupleIJlbEEELb0ELb0EEEPKljNS1_16block_id_wrapperIjLb1EEEEEvT_jjPNSB_10value_typeET0_PNSt15iterator_traitsISE_E10value_typeEmT1_T2_.uses_vcc, 1
	.set _ZN7rocprim17ROCPRIM_400000_NS6detail30init_device_scan_by_key_kernelINS1_19lookback_scan_stateINS0_5tupleIJlbEEELb0ELb0EEEPKljNS1_16block_id_wrapperIjLb1EEEEEvT_jjPNSB_10value_typeET0_PNSt15iterator_traitsISE_E10value_typeEmT1_T2_.uses_flat_scratch, 0
	.set _ZN7rocprim17ROCPRIM_400000_NS6detail30init_device_scan_by_key_kernelINS1_19lookback_scan_stateINS0_5tupleIJlbEEELb0ELb0EEEPKljNS1_16block_id_wrapperIjLb1EEEEEvT_jjPNSB_10value_typeET0_PNSt15iterator_traitsISE_E10value_typeEmT1_T2_.has_dyn_sized_stack, 0
	.set _ZN7rocprim17ROCPRIM_400000_NS6detail30init_device_scan_by_key_kernelINS1_19lookback_scan_stateINS0_5tupleIJlbEEELb0ELb0EEEPKljNS1_16block_id_wrapperIjLb1EEEEEvT_jjPNSB_10value_typeET0_PNSt15iterator_traitsISE_E10value_typeEmT1_T2_.has_recursion, 0
	.set _ZN7rocprim17ROCPRIM_400000_NS6detail30init_device_scan_by_key_kernelINS1_19lookback_scan_stateINS0_5tupleIJlbEEELb0ELb0EEEPKljNS1_16block_id_wrapperIjLb1EEEEEvT_jjPNSB_10value_typeET0_PNSt15iterator_traitsISE_E10value_typeEmT1_T2_.has_indirect_call, 0
	.section	.AMDGPU.csdata,"",@progbits
; Kernel info:
; codeLenInByte = 664
; TotalNumSgprs: 24
; NumVgprs: 8
; ScratchSize: 0
; MemoryBound: 0
; FloatMode: 240
; IeeeMode: 1
; LDSByteSize: 0 bytes/workgroup (compile time only)
; SGPRBlocks: 0
; VGPRBlocks: 0
; NumSGPRsForWavesPerEU: 24
; NumVGPRsForWavesPerEU: 8
; Occupancy: 16
; WaveLimiterHint : 0
; COMPUTE_PGM_RSRC2:SCRATCH_EN: 0
; COMPUTE_PGM_RSRC2:USER_SGPR: 6
; COMPUTE_PGM_RSRC2:TRAP_HANDLER: 0
; COMPUTE_PGM_RSRC2:TGID_X_EN: 1
; COMPUTE_PGM_RSRC2:TGID_Y_EN: 0
; COMPUTE_PGM_RSRC2:TGID_Z_EN: 0
; COMPUTE_PGM_RSRC2:TIDIG_COMP_CNT: 0
	.section	.text._ZN7rocprim17ROCPRIM_400000_NS6detail30init_device_scan_by_key_kernelINS1_19lookback_scan_stateINS0_5tupleIJlbEEELb0ELb0EEENS1_16block_id_wrapperIjLb1EEEEEvT_jjPNS9_10value_typeET0_,"axG",@progbits,_ZN7rocprim17ROCPRIM_400000_NS6detail30init_device_scan_by_key_kernelINS1_19lookback_scan_stateINS0_5tupleIJlbEEELb0ELb0EEENS1_16block_id_wrapperIjLb1EEEEEvT_jjPNS9_10value_typeET0_,comdat
	.protected	_ZN7rocprim17ROCPRIM_400000_NS6detail30init_device_scan_by_key_kernelINS1_19lookback_scan_stateINS0_5tupleIJlbEEELb0ELb0EEENS1_16block_id_wrapperIjLb1EEEEEvT_jjPNS9_10value_typeET0_ ; -- Begin function _ZN7rocprim17ROCPRIM_400000_NS6detail30init_device_scan_by_key_kernelINS1_19lookback_scan_stateINS0_5tupleIJlbEEELb0ELb0EEENS1_16block_id_wrapperIjLb1EEEEEvT_jjPNS9_10value_typeET0_
	.globl	_ZN7rocprim17ROCPRIM_400000_NS6detail30init_device_scan_by_key_kernelINS1_19lookback_scan_stateINS0_5tupleIJlbEEELb0ELb0EEENS1_16block_id_wrapperIjLb1EEEEEvT_jjPNS9_10value_typeET0_
	.p2align	8
	.type	_ZN7rocprim17ROCPRIM_400000_NS6detail30init_device_scan_by_key_kernelINS1_19lookback_scan_stateINS0_5tupleIJlbEEELb0ELb0EEENS1_16block_id_wrapperIjLb1EEEEEvT_jjPNS9_10value_typeET0_,@function
_ZN7rocprim17ROCPRIM_400000_NS6detail30init_device_scan_by_key_kernelINS1_19lookback_scan_stateINS0_5tupleIJlbEEELb0ELb0EEENS1_16block_id_wrapperIjLb1EEEEEvT_jjPNS9_10value_typeET0_: ; @_ZN7rocprim17ROCPRIM_400000_NS6detail30init_device_scan_by_key_kernelINS1_19lookback_scan_stateINS0_5tupleIJlbEEELb0ELb0EEENS1_16block_id_wrapperIjLb1EEEEEvT_jjPNS9_10value_typeET0_
; %bb.0:
	s_clause 0x1
	s_load_dword s0, s[4:5], 0x3c
	s_load_dwordx8 s[8:15], s[4:5], 0x10
	s_waitcnt lgkmcnt(0)
	s_and_b32 s0, s0, 0xffff
	s_cmp_eq_u64 s[12:13], 0
	v_mad_u64_u32 v[0:1], null, s6, s0, v[0:1]
	s_cbranch_scc1 .LBB126_6
; %bb.1:
	s_cmp_lt_u32 s11, s10
	s_mov_b32 s7, 0
	s_cselect_b32 s0, s11, 0
	s_mov_b32 s16, exec_lo
	v_cmpx_eq_u32_e64 s0, v0
	s_cbranch_execz .LBB126_5
; %bb.2:
	s_add_i32 s6, s11, 32
	s_load_dwordx4 s[0:3], s[4:5], 0x0
	v_mov_b32_e32 v1, s6
	s_add_u32 s4, s8, s6
	s_addc_u32 s5, s9, 0
	global_load_ubyte v2, v1, s[8:9] glc dlc
	v_mov_b32_e32 v1, 0
	s_waitcnt vmcnt(0)
	v_cmp_ne_u32_sdwa s17, v2, v1 src0_sel:WORD_0 src1_sel:DWORD
	v_readfirstlane_b32 s11, v2
	s_and_b32 vcc_lo, exec_lo, s17
	s_cbranch_vccnz .LBB126_4
.LBB126_3:                              ; =>This Inner Loop Header: Depth=1
	global_load_ubyte v2, v1, s[4:5] glc dlc
	s_waitcnt vmcnt(0)
	v_cmp_eq_u32_sdwa s17, v2, v1 src0_sel:WORD_0 src1_sel:DWORD
	v_readfirstlane_b32 s11, v2
	s_and_b32 vcc_lo, exec_lo, s17
	s_cbranch_vccnz .LBB126_3
.LBB126_4:
	s_and_b32 s4, 0xffff, s11
	v_mov_b32_e32 v3, 0
	s_cmp_eq_u32 s4, 1
	s_waitcnt lgkmcnt(0)
	buffer_gl1_inv
	buffer_gl0_inv
	s_cselect_b32 s3, s1, s3
	s_cselect_b32 s2, s0, s2
	s_lshl_b64 s[0:1], s[6:7], 4
	s_add_u32 s0, s2, s0
	s_addc_u32 s1, s3, s1
	s_clause 0x1
	global_load_dwordx2 v[1:2], v3, s[0:1]
	global_load_ubyte v4, v3, s[0:1] offset:8
	s_waitcnt vmcnt(1)
	global_store_dwordx2 v3, v[1:2], s[12:13]
	s_waitcnt vmcnt(0)
	global_store_byte v3, v4, s[12:13] offset:8
.LBB126_5:
	s_or_b32 exec_lo, exec_lo, s16
.LBB126_6:
	s_mov_b32 s0, exec_lo
	v_cmpx_eq_u32_e32 0, v0
	s_cbranch_execz .LBB126_8
; %bb.7:
	v_mov_b32_e32 v1, 0
	global_store_dword v1, v1, s[14:15]
.LBB126_8:
	s_or_b32 exec_lo, exec_lo, s0
	s_mov_b32 s0, exec_lo
	v_cmpx_gt_u32_e64 s10, v0
	s_cbranch_execz .LBB126_10
; %bb.9:
	v_add_nc_u32_e32 v1, 32, v0
	v_mov_b32_e32 v2, 0
	global_store_byte v1, v2, s[8:9]
.LBB126_10:
	s_or_b32 exec_lo, exec_lo, s0
	s_mov_b32 s0, exec_lo
	v_cmpx_gt_u32_e32 32, v0
	s_cbranch_execz .LBB126_12
; %bb.11:
	v_mov_b32_e32 v1, 0xff
	global_store_byte v0, v1, s[8:9]
.LBB126_12:
	s_endpgm
	.section	.rodata,"a",@progbits
	.p2align	6, 0x0
	.amdhsa_kernel _ZN7rocprim17ROCPRIM_400000_NS6detail30init_device_scan_by_key_kernelINS1_19lookback_scan_stateINS0_5tupleIJlbEEELb0ELb0EEENS1_16block_id_wrapperIjLb1EEEEEvT_jjPNS9_10value_typeET0_
		.amdhsa_group_segment_fixed_size 0
		.amdhsa_private_segment_fixed_size 0
		.amdhsa_kernarg_size 304
		.amdhsa_user_sgpr_count 6
		.amdhsa_user_sgpr_private_segment_buffer 1
		.amdhsa_user_sgpr_dispatch_ptr 0
		.amdhsa_user_sgpr_queue_ptr 0
		.amdhsa_user_sgpr_kernarg_segment_ptr 1
		.amdhsa_user_sgpr_dispatch_id 0
		.amdhsa_user_sgpr_flat_scratch_init 0
		.amdhsa_user_sgpr_private_segment_size 0
		.amdhsa_wavefront_size32 1
		.amdhsa_uses_dynamic_stack 0
		.amdhsa_system_sgpr_private_segment_wavefront_offset 0
		.amdhsa_system_sgpr_workgroup_id_x 1
		.amdhsa_system_sgpr_workgroup_id_y 0
		.amdhsa_system_sgpr_workgroup_id_z 0
		.amdhsa_system_sgpr_workgroup_info 0
		.amdhsa_system_vgpr_workitem_id 0
		.amdhsa_next_free_vgpr 5
		.amdhsa_next_free_sgpr 18
		.amdhsa_reserve_vcc 1
		.amdhsa_reserve_flat_scratch 0
		.amdhsa_float_round_mode_32 0
		.amdhsa_float_round_mode_16_64 0
		.amdhsa_float_denorm_mode_32 3
		.amdhsa_float_denorm_mode_16_64 3
		.amdhsa_dx10_clamp 1
		.amdhsa_ieee_mode 1
		.amdhsa_fp16_overflow 0
		.amdhsa_workgroup_processor_mode 1
		.amdhsa_memory_ordered 1
		.amdhsa_forward_progress 1
		.amdhsa_shared_vgpr_count 0
		.amdhsa_exception_fp_ieee_invalid_op 0
		.amdhsa_exception_fp_denorm_src 0
		.amdhsa_exception_fp_ieee_div_zero 0
		.amdhsa_exception_fp_ieee_overflow 0
		.amdhsa_exception_fp_ieee_underflow 0
		.amdhsa_exception_fp_ieee_inexact 0
		.amdhsa_exception_int_div_zero 0
	.end_amdhsa_kernel
	.section	.text._ZN7rocprim17ROCPRIM_400000_NS6detail30init_device_scan_by_key_kernelINS1_19lookback_scan_stateINS0_5tupleIJlbEEELb0ELb0EEENS1_16block_id_wrapperIjLb1EEEEEvT_jjPNS9_10value_typeET0_,"axG",@progbits,_ZN7rocprim17ROCPRIM_400000_NS6detail30init_device_scan_by_key_kernelINS1_19lookback_scan_stateINS0_5tupleIJlbEEELb0ELb0EEENS1_16block_id_wrapperIjLb1EEEEEvT_jjPNS9_10value_typeET0_,comdat
.Lfunc_end126:
	.size	_ZN7rocprim17ROCPRIM_400000_NS6detail30init_device_scan_by_key_kernelINS1_19lookback_scan_stateINS0_5tupleIJlbEEELb0ELb0EEENS1_16block_id_wrapperIjLb1EEEEEvT_jjPNS9_10value_typeET0_, .Lfunc_end126-_ZN7rocprim17ROCPRIM_400000_NS6detail30init_device_scan_by_key_kernelINS1_19lookback_scan_stateINS0_5tupleIJlbEEELb0ELb0EEENS1_16block_id_wrapperIjLb1EEEEEvT_jjPNS9_10value_typeET0_
                                        ; -- End function
	.set _ZN7rocprim17ROCPRIM_400000_NS6detail30init_device_scan_by_key_kernelINS1_19lookback_scan_stateINS0_5tupleIJlbEEELb0ELb0EEENS1_16block_id_wrapperIjLb1EEEEEvT_jjPNS9_10value_typeET0_.num_vgpr, 5
	.set _ZN7rocprim17ROCPRIM_400000_NS6detail30init_device_scan_by_key_kernelINS1_19lookback_scan_stateINS0_5tupleIJlbEEELb0ELb0EEENS1_16block_id_wrapperIjLb1EEEEEvT_jjPNS9_10value_typeET0_.num_agpr, 0
	.set _ZN7rocprim17ROCPRIM_400000_NS6detail30init_device_scan_by_key_kernelINS1_19lookback_scan_stateINS0_5tupleIJlbEEELb0ELb0EEENS1_16block_id_wrapperIjLb1EEEEEvT_jjPNS9_10value_typeET0_.numbered_sgpr, 18
	.set _ZN7rocprim17ROCPRIM_400000_NS6detail30init_device_scan_by_key_kernelINS1_19lookback_scan_stateINS0_5tupleIJlbEEELb0ELb0EEENS1_16block_id_wrapperIjLb1EEEEEvT_jjPNS9_10value_typeET0_.num_named_barrier, 0
	.set _ZN7rocprim17ROCPRIM_400000_NS6detail30init_device_scan_by_key_kernelINS1_19lookback_scan_stateINS0_5tupleIJlbEEELb0ELb0EEENS1_16block_id_wrapperIjLb1EEEEEvT_jjPNS9_10value_typeET0_.private_seg_size, 0
	.set _ZN7rocprim17ROCPRIM_400000_NS6detail30init_device_scan_by_key_kernelINS1_19lookback_scan_stateINS0_5tupleIJlbEEELb0ELb0EEENS1_16block_id_wrapperIjLb1EEEEEvT_jjPNS9_10value_typeET0_.uses_vcc, 1
	.set _ZN7rocprim17ROCPRIM_400000_NS6detail30init_device_scan_by_key_kernelINS1_19lookback_scan_stateINS0_5tupleIJlbEEELb0ELb0EEENS1_16block_id_wrapperIjLb1EEEEEvT_jjPNS9_10value_typeET0_.uses_flat_scratch, 0
	.set _ZN7rocprim17ROCPRIM_400000_NS6detail30init_device_scan_by_key_kernelINS1_19lookback_scan_stateINS0_5tupleIJlbEEELb0ELb0EEENS1_16block_id_wrapperIjLb1EEEEEvT_jjPNS9_10value_typeET0_.has_dyn_sized_stack, 0
	.set _ZN7rocprim17ROCPRIM_400000_NS6detail30init_device_scan_by_key_kernelINS1_19lookback_scan_stateINS0_5tupleIJlbEEELb0ELb0EEENS1_16block_id_wrapperIjLb1EEEEEvT_jjPNS9_10value_typeET0_.has_recursion, 0
	.set _ZN7rocprim17ROCPRIM_400000_NS6detail30init_device_scan_by_key_kernelINS1_19lookback_scan_stateINS0_5tupleIJlbEEELb0ELb0EEENS1_16block_id_wrapperIjLb1EEEEEvT_jjPNS9_10value_typeET0_.has_indirect_call, 0
	.section	.AMDGPU.csdata,"",@progbits
; Kernel info:
; codeLenInByte = 368
; TotalNumSgprs: 20
; NumVgprs: 5
; ScratchSize: 0
; MemoryBound: 0
; FloatMode: 240
; IeeeMode: 1
; LDSByteSize: 0 bytes/workgroup (compile time only)
; SGPRBlocks: 0
; VGPRBlocks: 0
; NumSGPRsForWavesPerEU: 20
; NumVGPRsForWavesPerEU: 5
; Occupancy: 16
; WaveLimiterHint : 0
; COMPUTE_PGM_RSRC2:SCRATCH_EN: 0
; COMPUTE_PGM_RSRC2:USER_SGPR: 6
; COMPUTE_PGM_RSRC2:TRAP_HANDLER: 0
; COMPUTE_PGM_RSRC2:TGID_X_EN: 1
; COMPUTE_PGM_RSRC2:TGID_Y_EN: 0
; COMPUTE_PGM_RSRC2:TGID_Z_EN: 0
; COMPUTE_PGM_RSRC2:TIDIG_COMP_CNT: 0
	.section	.text._ZN7rocprim17ROCPRIM_400000_NS6detail17trampoline_kernelINS0_14default_configENS1_27scan_by_key_config_selectorIllEEZZNS1_16scan_by_key_implILNS1_25lookback_scan_determinismE0ELb0ES3_PKlN6hipcub16HIPCUB_304000_NS21ConstantInputIteratorIllEEPllNSB_3SumENSB_8EqualityElEE10hipError_tPvRmT2_T3_T4_T5_mT6_T7_P12ihipStream_tbENKUlT_T0_E_clISt17integral_constantIbLb0EESW_IbLb1EEEEDaSS_ST_EUlSS_E_NS1_11comp_targetILNS1_3genE0ELNS1_11target_archE4294967295ELNS1_3gpuE0ELNS1_3repE0EEENS1_30default_config_static_selectorELNS0_4arch9wavefront6targetE0EEEvT1_,"axG",@progbits,_ZN7rocprim17ROCPRIM_400000_NS6detail17trampoline_kernelINS0_14default_configENS1_27scan_by_key_config_selectorIllEEZZNS1_16scan_by_key_implILNS1_25lookback_scan_determinismE0ELb0ES3_PKlN6hipcub16HIPCUB_304000_NS21ConstantInputIteratorIllEEPllNSB_3SumENSB_8EqualityElEE10hipError_tPvRmT2_T3_T4_T5_mT6_T7_P12ihipStream_tbENKUlT_T0_E_clISt17integral_constantIbLb0EESW_IbLb1EEEEDaSS_ST_EUlSS_E_NS1_11comp_targetILNS1_3genE0ELNS1_11target_archE4294967295ELNS1_3gpuE0ELNS1_3repE0EEENS1_30default_config_static_selectorELNS0_4arch9wavefront6targetE0EEEvT1_,comdat
	.protected	_ZN7rocprim17ROCPRIM_400000_NS6detail17trampoline_kernelINS0_14default_configENS1_27scan_by_key_config_selectorIllEEZZNS1_16scan_by_key_implILNS1_25lookback_scan_determinismE0ELb0ES3_PKlN6hipcub16HIPCUB_304000_NS21ConstantInputIteratorIllEEPllNSB_3SumENSB_8EqualityElEE10hipError_tPvRmT2_T3_T4_T5_mT6_T7_P12ihipStream_tbENKUlT_T0_E_clISt17integral_constantIbLb0EESW_IbLb1EEEEDaSS_ST_EUlSS_E_NS1_11comp_targetILNS1_3genE0ELNS1_11target_archE4294967295ELNS1_3gpuE0ELNS1_3repE0EEENS1_30default_config_static_selectorELNS0_4arch9wavefront6targetE0EEEvT1_ ; -- Begin function _ZN7rocprim17ROCPRIM_400000_NS6detail17trampoline_kernelINS0_14default_configENS1_27scan_by_key_config_selectorIllEEZZNS1_16scan_by_key_implILNS1_25lookback_scan_determinismE0ELb0ES3_PKlN6hipcub16HIPCUB_304000_NS21ConstantInputIteratorIllEEPllNSB_3SumENSB_8EqualityElEE10hipError_tPvRmT2_T3_T4_T5_mT6_T7_P12ihipStream_tbENKUlT_T0_E_clISt17integral_constantIbLb0EESW_IbLb1EEEEDaSS_ST_EUlSS_E_NS1_11comp_targetILNS1_3genE0ELNS1_11target_archE4294967295ELNS1_3gpuE0ELNS1_3repE0EEENS1_30default_config_static_selectorELNS0_4arch9wavefront6targetE0EEEvT1_
	.globl	_ZN7rocprim17ROCPRIM_400000_NS6detail17trampoline_kernelINS0_14default_configENS1_27scan_by_key_config_selectorIllEEZZNS1_16scan_by_key_implILNS1_25lookback_scan_determinismE0ELb0ES3_PKlN6hipcub16HIPCUB_304000_NS21ConstantInputIteratorIllEEPllNSB_3SumENSB_8EqualityElEE10hipError_tPvRmT2_T3_T4_T5_mT6_T7_P12ihipStream_tbENKUlT_T0_E_clISt17integral_constantIbLb0EESW_IbLb1EEEEDaSS_ST_EUlSS_E_NS1_11comp_targetILNS1_3genE0ELNS1_11target_archE4294967295ELNS1_3gpuE0ELNS1_3repE0EEENS1_30default_config_static_selectorELNS0_4arch9wavefront6targetE0EEEvT1_
	.p2align	8
	.type	_ZN7rocprim17ROCPRIM_400000_NS6detail17trampoline_kernelINS0_14default_configENS1_27scan_by_key_config_selectorIllEEZZNS1_16scan_by_key_implILNS1_25lookback_scan_determinismE0ELb0ES3_PKlN6hipcub16HIPCUB_304000_NS21ConstantInputIteratorIllEEPllNSB_3SumENSB_8EqualityElEE10hipError_tPvRmT2_T3_T4_T5_mT6_T7_P12ihipStream_tbENKUlT_T0_E_clISt17integral_constantIbLb0EESW_IbLb1EEEEDaSS_ST_EUlSS_E_NS1_11comp_targetILNS1_3genE0ELNS1_11target_archE4294967295ELNS1_3gpuE0ELNS1_3repE0EEENS1_30default_config_static_selectorELNS0_4arch9wavefront6targetE0EEEvT1_,@function
_ZN7rocprim17ROCPRIM_400000_NS6detail17trampoline_kernelINS0_14default_configENS1_27scan_by_key_config_selectorIllEEZZNS1_16scan_by_key_implILNS1_25lookback_scan_determinismE0ELb0ES3_PKlN6hipcub16HIPCUB_304000_NS21ConstantInputIteratorIllEEPllNSB_3SumENSB_8EqualityElEE10hipError_tPvRmT2_T3_T4_T5_mT6_T7_P12ihipStream_tbENKUlT_T0_E_clISt17integral_constantIbLb0EESW_IbLb1EEEEDaSS_ST_EUlSS_E_NS1_11comp_targetILNS1_3genE0ELNS1_11target_archE4294967295ELNS1_3gpuE0ELNS1_3repE0EEENS1_30default_config_static_selectorELNS0_4arch9wavefront6targetE0EEEvT1_: ; @_ZN7rocprim17ROCPRIM_400000_NS6detail17trampoline_kernelINS0_14default_configENS1_27scan_by_key_config_selectorIllEEZZNS1_16scan_by_key_implILNS1_25lookback_scan_determinismE0ELb0ES3_PKlN6hipcub16HIPCUB_304000_NS21ConstantInputIteratorIllEEPllNSB_3SumENSB_8EqualityElEE10hipError_tPvRmT2_T3_T4_T5_mT6_T7_P12ihipStream_tbENKUlT_T0_E_clISt17integral_constantIbLb0EESW_IbLb1EEEEDaSS_ST_EUlSS_E_NS1_11comp_targetILNS1_3genE0ELNS1_11target_archE4294967295ELNS1_3gpuE0ELNS1_3repE0EEENS1_30default_config_static_selectorELNS0_4arch9wavefront6targetE0EEEvT1_
; %bb.0:
	.section	.rodata,"a",@progbits
	.p2align	6, 0x0
	.amdhsa_kernel _ZN7rocprim17ROCPRIM_400000_NS6detail17trampoline_kernelINS0_14default_configENS1_27scan_by_key_config_selectorIllEEZZNS1_16scan_by_key_implILNS1_25lookback_scan_determinismE0ELb0ES3_PKlN6hipcub16HIPCUB_304000_NS21ConstantInputIteratorIllEEPllNSB_3SumENSB_8EqualityElEE10hipError_tPvRmT2_T3_T4_T5_mT6_T7_P12ihipStream_tbENKUlT_T0_E_clISt17integral_constantIbLb0EESW_IbLb1EEEEDaSS_ST_EUlSS_E_NS1_11comp_targetILNS1_3genE0ELNS1_11target_archE4294967295ELNS1_3gpuE0ELNS1_3repE0EEENS1_30default_config_static_selectorELNS0_4arch9wavefront6targetE0EEEvT1_
		.amdhsa_group_segment_fixed_size 0
		.amdhsa_private_segment_fixed_size 0
		.amdhsa_kernarg_size 144
		.amdhsa_user_sgpr_count 6
		.amdhsa_user_sgpr_private_segment_buffer 1
		.amdhsa_user_sgpr_dispatch_ptr 0
		.amdhsa_user_sgpr_queue_ptr 0
		.amdhsa_user_sgpr_kernarg_segment_ptr 1
		.amdhsa_user_sgpr_dispatch_id 0
		.amdhsa_user_sgpr_flat_scratch_init 0
		.amdhsa_user_sgpr_private_segment_size 0
		.amdhsa_wavefront_size32 1
		.amdhsa_uses_dynamic_stack 0
		.amdhsa_system_sgpr_private_segment_wavefront_offset 0
		.amdhsa_system_sgpr_workgroup_id_x 1
		.amdhsa_system_sgpr_workgroup_id_y 0
		.amdhsa_system_sgpr_workgroup_id_z 0
		.amdhsa_system_sgpr_workgroup_info 0
		.amdhsa_system_vgpr_workitem_id 0
		.amdhsa_next_free_vgpr 1
		.amdhsa_next_free_sgpr 1
		.amdhsa_reserve_vcc 0
		.amdhsa_reserve_flat_scratch 0
		.amdhsa_float_round_mode_32 0
		.amdhsa_float_round_mode_16_64 0
		.amdhsa_float_denorm_mode_32 3
		.amdhsa_float_denorm_mode_16_64 3
		.amdhsa_dx10_clamp 1
		.amdhsa_ieee_mode 1
		.amdhsa_fp16_overflow 0
		.amdhsa_workgroup_processor_mode 1
		.amdhsa_memory_ordered 1
		.amdhsa_forward_progress 1
		.amdhsa_shared_vgpr_count 0
		.amdhsa_exception_fp_ieee_invalid_op 0
		.amdhsa_exception_fp_denorm_src 0
		.amdhsa_exception_fp_ieee_div_zero 0
		.amdhsa_exception_fp_ieee_overflow 0
		.amdhsa_exception_fp_ieee_underflow 0
		.amdhsa_exception_fp_ieee_inexact 0
		.amdhsa_exception_int_div_zero 0
	.end_amdhsa_kernel
	.section	.text._ZN7rocprim17ROCPRIM_400000_NS6detail17trampoline_kernelINS0_14default_configENS1_27scan_by_key_config_selectorIllEEZZNS1_16scan_by_key_implILNS1_25lookback_scan_determinismE0ELb0ES3_PKlN6hipcub16HIPCUB_304000_NS21ConstantInputIteratorIllEEPllNSB_3SumENSB_8EqualityElEE10hipError_tPvRmT2_T3_T4_T5_mT6_T7_P12ihipStream_tbENKUlT_T0_E_clISt17integral_constantIbLb0EESW_IbLb1EEEEDaSS_ST_EUlSS_E_NS1_11comp_targetILNS1_3genE0ELNS1_11target_archE4294967295ELNS1_3gpuE0ELNS1_3repE0EEENS1_30default_config_static_selectorELNS0_4arch9wavefront6targetE0EEEvT1_,"axG",@progbits,_ZN7rocprim17ROCPRIM_400000_NS6detail17trampoline_kernelINS0_14default_configENS1_27scan_by_key_config_selectorIllEEZZNS1_16scan_by_key_implILNS1_25lookback_scan_determinismE0ELb0ES3_PKlN6hipcub16HIPCUB_304000_NS21ConstantInputIteratorIllEEPllNSB_3SumENSB_8EqualityElEE10hipError_tPvRmT2_T3_T4_T5_mT6_T7_P12ihipStream_tbENKUlT_T0_E_clISt17integral_constantIbLb0EESW_IbLb1EEEEDaSS_ST_EUlSS_E_NS1_11comp_targetILNS1_3genE0ELNS1_11target_archE4294967295ELNS1_3gpuE0ELNS1_3repE0EEENS1_30default_config_static_selectorELNS0_4arch9wavefront6targetE0EEEvT1_,comdat
.Lfunc_end127:
	.size	_ZN7rocprim17ROCPRIM_400000_NS6detail17trampoline_kernelINS0_14default_configENS1_27scan_by_key_config_selectorIllEEZZNS1_16scan_by_key_implILNS1_25lookback_scan_determinismE0ELb0ES3_PKlN6hipcub16HIPCUB_304000_NS21ConstantInputIteratorIllEEPllNSB_3SumENSB_8EqualityElEE10hipError_tPvRmT2_T3_T4_T5_mT6_T7_P12ihipStream_tbENKUlT_T0_E_clISt17integral_constantIbLb0EESW_IbLb1EEEEDaSS_ST_EUlSS_E_NS1_11comp_targetILNS1_3genE0ELNS1_11target_archE4294967295ELNS1_3gpuE0ELNS1_3repE0EEENS1_30default_config_static_selectorELNS0_4arch9wavefront6targetE0EEEvT1_, .Lfunc_end127-_ZN7rocprim17ROCPRIM_400000_NS6detail17trampoline_kernelINS0_14default_configENS1_27scan_by_key_config_selectorIllEEZZNS1_16scan_by_key_implILNS1_25lookback_scan_determinismE0ELb0ES3_PKlN6hipcub16HIPCUB_304000_NS21ConstantInputIteratorIllEEPllNSB_3SumENSB_8EqualityElEE10hipError_tPvRmT2_T3_T4_T5_mT6_T7_P12ihipStream_tbENKUlT_T0_E_clISt17integral_constantIbLb0EESW_IbLb1EEEEDaSS_ST_EUlSS_E_NS1_11comp_targetILNS1_3genE0ELNS1_11target_archE4294967295ELNS1_3gpuE0ELNS1_3repE0EEENS1_30default_config_static_selectorELNS0_4arch9wavefront6targetE0EEEvT1_
                                        ; -- End function
	.set _ZN7rocprim17ROCPRIM_400000_NS6detail17trampoline_kernelINS0_14default_configENS1_27scan_by_key_config_selectorIllEEZZNS1_16scan_by_key_implILNS1_25lookback_scan_determinismE0ELb0ES3_PKlN6hipcub16HIPCUB_304000_NS21ConstantInputIteratorIllEEPllNSB_3SumENSB_8EqualityElEE10hipError_tPvRmT2_T3_T4_T5_mT6_T7_P12ihipStream_tbENKUlT_T0_E_clISt17integral_constantIbLb0EESW_IbLb1EEEEDaSS_ST_EUlSS_E_NS1_11comp_targetILNS1_3genE0ELNS1_11target_archE4294967295ELNS1_3gpuE0ELNS1_3repE0EEENS1_30default_config_static_selectorELNS0_4arch9wavefront6targetE0EEEvT1_.num_vgpr, 0
	.set _ZN7rocprim17ROCPRIM_400000_NS6detail17trampoline_kernelINS0_14default_configENS1_27scan_by_key_config_selectorIllEEZZNS1_16scan_by_key_implILNS1_25lookback_scan_determinismE0ELb0ES3_PKlN6hipcub16HIPCUB_304000_NS21ConstantInputIteratorIllEEPllNSB_3SumENSB_8EqualityElEE10hipError_tPvRmT2_T3_T4_T5_mT6_T7_P12ihipStream_tbENKUlT_T0_E_clISt17integral_constantIbLb0EESW_IbLb1EEEEDaSS_ST_EUlSS_E_NS1_11comp_targetILNS1_3genE0ELNS1_11target_archE4294967295ELNS1_3gpuE0ELNS1_3repE0EEENS1_30default_config_static_selectorELNS0_4arch9wavefront6targetE0EEEvT1_.num_agpr, 0
	.set _ZN7rocprim17ROCPRIM_400000_NS6detail17trampoline_kernelINS0_14default_configENS1_27scan_by_key_config_selectorIllEEZZNS1_16scan_by_key_implILNS1_25lookback_scan_determinismE0ELb0ES3_PKlN6hipcub16HIPCUB_304000_NS21ConstantInputIteratorIllEEPllNSB_3SumENSB_8EqualityElEE10hipError_tPvRmT2_T3_T4_T5_mT6_T7_P12ihipStream_tbENKUlT_T0_E_clISt17integral_constantIbLb0EESW_IbLb1EEEEDaSS_ST_EUlSS_E_NS1_11comp_targetILNS1_3genE0ELNS1_11target_archE4294967295ELNS1_3gpuE0ELNS1_3repE0EEENS1_30default_config_static_selectorELNS0_4arch9wavefront6targetE0EEEvT1_.numbered_sgpr, 0
	.set _ZN7rocprim17ROCPRIM_400000_NS6detail17trampoline_kernelINS0_14default_configENS1_27scan_by_key_config_selectorIllEEZZNS1_16scan_by_key_implILNS1_25lookback_scan_determinismE0ELb0ES3_PKlN6hipcub16HIPCUB_304000_NS21ConstantInputIteratorIllEEPllNSB_3SumENSB_8EqualityElEE10hipError_tPvRmT2_T3_T4_T5_mT6_T7_P12ihipStream_tbENKUlT_T0_E_clISt17integral_constantIbLb0EESW_IbLb1EEEEDaSS_ST_EUlSS_E_NS1_11comp_targetILNS1_3genE0ELNS1_11target_archE4294967295ELNS1_3gpuE0ELNS1_3repE0EEENS1_30default_config_static_selectorELNS0_4arch9wavefront6targetE0EEEvT1_.num_named_barrier, 0
	.set _ZN7rocprim17ROCPRIM_400000_NS6detail17trampoline_kernelINS0_14default_configENS1_27scan_by_key_config_selectorIllEEZZNS1_16scan_by_key_implILNS1_25lookback_scan_determinismE0ELb0ES3_PKlN6hipcub16HIPCUB_304000_NS21ConstantInputIteratorIllEEPllNSB_3SumENSB_8EqualityElEE10hipError_tPvRmT2_T3_T4_T5_mT6_T7_P12ihipStream_tbENKUlT_T0_E_clISt17integral_constantIbLb0EESW_IbLb1EEEEDaSS_ST_EUlSS_E_NS1_11comp_targetILNS1_3genE0ELNS1_11target_archE4294967295ELNS1_3gpuE0ELNS1_3repE0EEENS1_30default_config_static_selectorELNS0_4arch9wavefront6targetE0EEEvT1_.private_seg_size, 0
	.set _ZN7rocprim17ROCPRIM_400000_NS6detail17trampoline_kernelINS0_14default_configENS1_27scan_by_key_config_selectorIllEEZZNS1_16scan_by_key_implILNS1_25lookback_scan_determinismE0ELb0ES3_PKlN6hipcub16HIPCUB_304000_NS21ConstantInputIteratorIllEEPllNSB_3SumENSB_8EqualityElEE10hipError_tPvRmT2_T3_T4_T5_mT6_T7_P12ihipStream_tbENKUlT_T0_E_clISt17integral_constantIbLb0EESW_IbLb1EEEEDaSS_ST_EUlSS_E_NS1_11comp_targetILNS1_3genE0ELNS1_11target_archE4294967295ELNS1_3gpuE0ELNS1_3repE0EEENS1_30default_config_static_selectorELNS0_4arch9wavefront6targetE0EEEvT1_.uses_vcc, 0
	.set _ZN7rocprim17ROCPRIM_400000_NS6detail17trampoline_kernelINS0_14default_configENS1_27scan_by_key_config_selectorIllEEZZNS1_16scan_by_key_implILNS1_25lookback_scan_determinismE0ELb0ES3_PKlN6hipcub16HIPCUB_304000_NS21ConstantInputIteratorIllEEPllNSB_3SumENSB_8EqualityElEE10hipError_tPvRmT2_T3_T4_T5_mT6_T7_P12ihipStream_tbENKUlT_T0_E_clISt17integral_constantIbLb0EESW_IbLb1EEEEDaSS_ST_EUlSS_E_NS1_11comp_targetILNS1_3genE0ELNS1_11target_archE4294967295ELNS1_3gpuE0ELNS1_3repE0EEENS1_30default_config_static_selectorELNS0_4arch9wavefront6targetE0EEEvT1_.uses_flat_scratch, 0
	.set _ZN7rocprim17ROCPRIM_400000_NS6detail17trampoline_kernelINS0_14default_configENS1_27scan_by_key_config_selectorIllEEZZNS1_16scan_by_key_implILNS1_25lookback_scan_determinismE0ELb0ES3_PKlN6hipcub16HIPCUB_304000_NS21ConstantInputIteratorIllEEPllNSB_3SumENSB_8EqualityElEE10hipError_tPvRmT2_T3_T4_T5_mT6_T7_P12ihipStream_tbENKUlT_T0_E_clISt17integral_constantIbLb0EESW_IbLb1EEEEDaSS_ST_EUlSS_E_NS1_11comp_targetILNS1_3genE0ELNS1_11target_archE4294967295ELNS1_3gpuE0ELNS1_3repE0EEENS1_30default_config_static_selectorELNS0_4arch9wavefront6targetE0EEEvT1_.has_dyn_sized_stack, 0
	.set _ZN7rocprim17ROCPRIM_400000_NS6detail17trampoline_kernelINS0_14default_configENS1_27scan_by_key_config_selectorIllEEZZNS1_16scan_by_key_implILNS1_25lookback_scan_determinismE0ELb0ES3_PKlN6hipcub16HIPCUB_304000_NS21ConstantInputIteratorIllEEPllNSB_3SumENSB_8EqualityElEE10hipError_tPvRmT2_T3_T4_T5_mT6_T7_P12ihipStream_tbENKUlT_T0_E_clISt17integral_constantIbLb0EESW_IbLb1EEEEDaSS_ST_EUlSS_E_NS1_11comp_targetILNS1_3genE0ELNS1_11target_archE4294967295ELNS1_3gpuE0ELNS1_3repE0EEENS1_30default_config_static_selectorELNS0_4arch9wavefront6targetE0EEEvT1_.has_recursion, 0
	.set _ZN7rocprim17ROCPRIM_400000_NS6detail17trampoline_kernelINS0_14default_configENS1_27scan_by_key_config_selectorIllEEZZNS1_16scan_by_key_implILNS1_25lookback_scan_determinismE0ELb0ES3_PKlN6hipcub16HIPCUB_304000_NS21ConstantInputIteratorIllEEPllNSB_3SumENSB_8EqualityElEE10hipError_tPvRmT2_T3_T4_T5_mT6_T7_P12ihipStream_tbENKUlT_T0_E_clISt17integral_constantIbLb0EESW_IbLb1EEEEDaSS_ST_EUlSS_E_NS1_11comp_targetILNS1_3genE0ELNS1_11target_archE4294967295ELNS1_3gpuE0ELNS1_3repE0EEENS1_30default_config_static_selectorELNS0_4arch9wavefront6targetE0EEEvT1_.has_indirect_call, 0
	.section	.AMDGPU.csdata,"",@progbits
; Kernel info:
; codeLenInByte = 0
; TotalNumSgprs: 0
; NumVgprs: 0
; ScratchSize: 0
; MemoryBound: 0
; FloatMode: 240
; IeeeMode: 1
; LDSByteSize: 0 bytes/workgroup (compile time only)
; SGPRBlocks: 0
; VGPRBlocks: 0
; NumSGPRsForWavesPerEU: 1
; NumVGPRsForWavesPerEU: 1
; Occupancy: 16
; WaveLimiterHint : 0
; COMPUTE_PGM_RSRC2:SCRATCH_EN: 0
; COMPUTE_PGM_RSRC2:USER_SGPR: 6
; COMPUTE_PGM_RSRC2:TRAP_HANDLER: 0
; COMPUTE_PGM_RSRC2:TGID_X_EN: 1
; COMPUTE_PGM_RSRC2:TGID_Y_EN: 0
; COMPUTE_PGM_RSRC2:TGID_Z_EN: 0
; COMPUTE_PGM_RSRC2:TIDIG_COMP_CNT: 0
	.section	.text._ZN7rocprim17ROCPRIM_400000_NS6detail17trampoline_kernelINS0_14default_configENS1_27scan_by_key_config_selectorIllEEZZNS1_16scan_by_key_implILNS1_25lookback_scan_determinismE0ELb0ES3_PKlN6hipcub16HIPCUB_304000_NS21ConstantInputIteratorIllEEPllNSB_3SumENSB_8EqualityElEE10hipError_tPvRmT2_T3_T4_T5_mT6_T7_P12ihipStream_tbENKUlT_T0_E_clISt17integral_constantIbLb0EESW_IbLb1EEEEDaSS_ST_EUlSS_E_NS1_11comp_targetILNS1_3genE10ELNS1_11target_archE1201ELNS1_3gpuE5ELNS1_3repE0EEENS1_30default_config_static_selectorELNS0_4arch9wavefront6targetE0EEEvT1_,"axG",@progbits,_ZN7rocprim17ROCPRIM_400000_NS6detail17trampoline_kernelINS0_14default_configENS1_27scan_by_key_config_selectorIllEEZZNS1_16scan_by_key_implILNS1_25lookback_scan_determinismE0ELb0ES3_PKlN6hipcub16HIPCUB_304000_NS21ConstantInputIteratorIllEEPllNSB_3SumENSB_8EqualityElEE10hipError_tPvRmT2_T3_T4_T5_mT6_T7_P12ihipStream_tbENKUlT_T0_E_clISt17integral_constantIbLb0EESW_IbLb1EEEEDaSS_ST_EUlSS_E_NS1_11comp_targetILNS1_3genE10ELNS1_11target_archE1201ELNS1_3gpuE5ELNS1_3repE0EEENS1_30default_config_static_selectorELNS0_4arch9wavefront6targetE0EEEvT1_,comdat
	.protected	_ZN7rocprim17ROCPRIM_400000_NS6detail17trampoline_kernelINS0_14default_configENS1_27scan_by_key_config_selectorIllEEZZNS1_16scan_by_key_implILNS1_25lookback_scan_determinismE0ELb0ES3_PKlN6hipcub16HIPCUB_304000_NS21ConstantInputIteratorIllEEPllNSB_3SumENSB_8EqualityElEE10hipError_tPvRmT2_T3_T4_T5_mT6_T7_P12ihipStream_tbENKUlT_T0_E_clISt17integral_constantIbLb0EESW_IbLb1EEEEDaSS_ST_EUlSS_E_NS1_11comp_targetILNS1_3genE10ELNS1_11target_archE1201ELNS1_3gpuE5ELNS1_3repE0EEENS1_30default_config_static_selectorELNS0_4arch9wavefront6targetE0EEEvT1_ ; -- Begin function _ZN7rocprim17ROCPRIM_400000_NS6detail17trampoline_kernelINS0_14default_configENS1_27scan_by_key_config_selectorIllEEZZNS1_16scan_by_key_implILNS1_25lookback_scan_determinismE0ELb0ES3_PKlN6hipcub16HIPCUB_304000_NS21ConstantInputIteratorIllEEPllNSB_3SumENSB_8EqualityElEE10hipError_tPvRmT2_T3_T4_T5_mT6_T7_P12ihipStream_tbENKUlT_T0_E_clISt17integral_constantIbLb0EESW_IbLb1EEEEDaSS_ST_EUlSS_E_NS1_11comp_targetILNS1_3genE10ELNS1_11target_archE1201ELNS1_3gpuE5ELNS1_3repE0EEENS1_30default_config_static_selectorELNS0_4arch9wavefront6targetE0EEEvT1_
	.globl	_ZN7rocprim17ROCPRIM_400000_NS6detail17trampoline_kernelINS0_14default_configENS1_27scan_by_key_config_selectorIllEEZZNS1_16scan_by_key_implILNS1_25lookback_scan_determinismE0ELb0ES3_PKlN6hipcub16HIPCUB_304000_NS21ConstantInputIteratorIllEEPllNSB_3SumENSB_8EqualityElEE10hipError_tPvRmT2_T3_T4_T5_mT6_T7_P12ihipStream_tbENKUlT_T0_E_clISt17integral_constantIbLb0EESW_IbLb1EEEEDaSS_ST_EUlSS_E_NS1_11comp_targetILNS1_3genE10ELNS1_11target_archE1201ELNS1_3gpuE5ELNS1_3repE0EEENS1_30default_config_static_selectorELNS0_4arch9wavefront6targetE0EEEvT1_
	.p2align	8
	.type	_ZN7rocprim17ROCPRIM_400000_NS6detail17trampoline_kernelINS0_14default_configENS1_27scan_by_key_config_selectorIllEEZZNS1_16scan_by_key_implILNS1_25lookback_scan_determinismE0ELb0ES3_PKlN6hipcub16HIPCUB_304000_NS21ConstantInputIteratorIllEEPllNSB_3SumENSB_8EqualityElEE10hipError_tPvRmT2_T3_T4_T5_mT6_T7_P12ihipStream_tbENKUlT_T0_E_clISt17integral_constantIbLb0EESW_IbLb1EEEEDaSS_ST_EUlSS_E_NS1_11comp_targetILNS1_3genE10ELNS1_11target_archE1201ELNS1_3gpuE5ELNS1_3repE0EEENS1_30default_config_static_selectorELNS0_4arch9wavefront6targetE0EEEvT1_,@function
_ZN7rocprim17ROCPRIM_400000_NS6detail17trampoline_kernelINS0_14default_configENS1_27scan_by_key_config_selectorIllEEZZNS1_16scan_by_key_implILNS1_25lookback_scan_determinismE0ELb0ES3_PKlN6hipcub16HIPCUB_304000_NS21ConstantInputIteratorIllEEPllNSB_3SumENSB_8EqualityElEE10hipError_tPvRmT2_T3_T4_T5_mT6_T7_P12ihipStream_tbENKUlT_T0_E_clISt17integral_constantIbLb0EESW_IbLb1EEEEDaSS_ST_EUlSS_E_NS1_11comp_targetILNS1_3genE10ELNS1_11target_archE1201ELNS1_3gpuE5ELNS1_3repE0EEENS1_30default_config_static_selectorELNS0_4arch9wavefront6targetE0EEEvT1_: ; @_ZN7rocprim17ROCPRIM_400000_NS6detail17trampoline_kernelINS0_14default_configENS1_27scan_by_key_config_selectorIllEEZZNS1_16scan_by_key_implILNS1_25lookback_scan_determinismE0ELb0ES3_PKlN6hipcub16HIPCUB_304000_NS21ConstantInputIteratorIllEEPllNSB_3SumENSB_8EqualityElEE10hipError_tPvRmT2_T3_T4_T5_mT6_T7_P12ihipStream_tbENKUlT_T0_E_clISt17integral_constantIbLb0EESW_IbLb1EEEEDaSS_ST_EUlSS_E_NS1_11comp_targetILNS1_3genE10ELNS1_11target_archE1201ELNS1_3gpuE5ELNS1_3repE0EEENS1_30default_config_static_selectorELNS0_4arch9wavefront6targetE0EEEvT1_
; %bb.0:
	.section	.rodata,"a",@progbits
	.p2align	6, 0x0
	.amdhsa_kernel _ZN7rocprim17ROCPRIM_400000_NS6detail17trampoline_kernelINS0_14default_configENS1_27scan_by_key_config_selectorIllEEZZNS1_16scan_by_key_implILNS1_25lookback_scan_determinismE0ELb0ES3_PKlN6hipcub16HIPCUB_304000_NS21ConstantInputIteratorIllEEPllNSB_3SumENSB_8EqualityElEE10hipError_tPvRmT2_T3_T4_T5_mT6_T7_P12ihipStream_tbENKUlT_T0_E_clISt17integral_constantIbLb0EESW_IbLb1EEEEDaSS_ST_EUlSS_E_NS1_11comp_targetILNS1_3genE10ELNS1_11target_archE1201ELNS1_3gpuE5ELNS1_3repE0EEENS1_30default_config_static_selectorELNS0_4arch9wavefront6targetE0EEEvT1_
		.amdhsa_group_segment_fixed_size 0
		.amdhsa_private_segment_fixed_size 0
		.amdhsa_kernarg_size 144
		.amdhsa_user_sgpr_count 6
		.amdhsa_user_sgpr_private_segment_buffer 1
		.amdhsa_user_sgpr_dispatch_ptr 0
		.amdhsa_user_sgpr_queue_ptr 0
		.amdhsa_user_sgpr_kernarg_segment_ptr 1
		.amdhsa_user_sgpr_dispatch_id 0
		.amdhsa_user_sgpr_flat_scratch_init 0
		.amdhsa_user_sgpr_private_segment_size 0
		.amdhsa_wavefront_size32 1
		.amdhsa_uses_dynamic_stack 0
		.amdhsa_system_sgpr_private_segment_wavefront_offset 0
		.amdhsa_system_sgpr_workgroup_id_x 1
		.amdhsa_system_sgpr_workgroup_id_y 0
		.amdhsa_system_sgpr_workgroup_id_z 0
		.amdhsa_system_sgpr_workgroup_info 0
		.amdhsa_system_vgpr_workitem_id 0
		.amdhsa_next_free_vgpr 1
		.amdhsa_next_free_sgpr 1
		.amdhsa_reserve_vcc 0
		.amdhsa_reserve_flat_scratch 0
		.amdhsa_float_round_mode_32 0
		.amdhsa_float_round_mode_16_64 0
		.amdhsa_float_denorm_mode_32 3
		.amdhsa_float_denorm_mode_16_64 3
		.amdhsa_dx10_clamp 1
		.amdhsa_ieee_mode 1
		.amdhsa_fp16_overflow 0
		.amdhsa_workgroup_processor_mode 1
		.amdhsa_memory_ordered 1
		.amdhsa_forward_progress 1
		.amdhsa_shared_vgpr_count 0
		.amdhsa_exception_fp_ieee_invalid_op 0
		.amdhsa_exception_fp_denorm_src 0
		.amdhsa_exception_fp_ieee_div_zero 0
		.amdhsa_exception_fp_ieee_overflow 0
		.amdhsa_exception_fp_ieee_underflow 0
		.amdhsa_exception_fp_ieee_inexact 0
		.amdhsa_exception_int_div_zero 0
	.end_amdhsa_kernel
	.section	.text._ZN7rocprim17ROCPRIM_400000_NS6detail17trampoline_kernelINS0_14default_configENS1_27scan_by_key_config_selectorIllEEZZNS1_16scan_by_key_implILNS1_25lookback_scan_determinismE0ELb0ES3_PKlN6hipcub16HIPCUB_304000_NS21ConstantInputIteratorIllEEPllNSB_3SumENSB_8EqualityElEE10hipError_tPvRmT2_T3_T4_T5_mT6_T7_P12ihipStream_tbENKUlT_T0_E_clISt17integral_constantIbLb0EESW_IbLb1EEEEDaSS_ST_EUlSS_E_NS1_11comp_targetILNS1_3genE10ELNS1_11target_archE1201ELNS1_3gpuE5ELNS1_3repE0EEENS1_30default_config_static_selectorELNS0_4arch9wavefront6targetE0EEEvT1_,"axG",@progbits,_ZN7rocprim17ROCPRIM_400000_NS6detail17trampoline_kernelINS0_14default_configENS1_27scan_by_key_config_selectorIllEEZZNS1_16scan_by_key_implILNS1_25lookback_scan_determinismE0ELb0ES3_PKlN6hipcub16HIPCUB_304000_NS21ConstantInputIteratorIllEEPllNSB_3SumENSB_8EqualityElEE10hipError_tPvRmT2_T3_T4_T5_mT6_T7_P12ihipStream_tbENKUlT_T0_E_clISt17integral_constantIbLb0EESW_IbLb1EEEEDaSS_ST_EUlSS_E_NS1_11comp_targetILNS1_3genE10ELNS1_11target_archE1201ELNS1_3gpuE5ELNS1_3repE0EEENS1_30default_config_static_selectorELNS0_4arch9wavefront6targetE0EEEvT1_,comdat
.Lfunc_end128:
	.size	_ZN7rocprim17ROCPRIM_400000_NS6detail17trampoline_kernelINS0_14default_configENS1_27scan_by_key_config_selectorIllEEZZNS1_16scan_by_key_implILNS1_25lookback_scan_determinismE0ELb0ES3_PKlN6hipcub16HIPCUB_304000_NS21ConstantInputIteratorIllEEPllNSB_3SumENSB_8EqualityElEE10hipError_tPvRmT2_T3_T4_T5_mT6_T7_P12ihipStream_tbENKUlT_T0_E_clISt17integral_constantIbLb0EESW_IbLb1EEEEDaSS_ST_EUlSS_E_NS1_11comp_targetILNS1_3genE10ELNS1_11target_archE1201ELNS1_3gpuE5ELNS1_3repE0EEENS1_30default_config_static_selectorELNS0_4arch9wavefront6targetE0EEEvT1_, .Lfunc_end128-_ZN7rocprim17ROCPRIM_400000_NS6detail17trampoline_kernelINS0_14default_configENS1_27scan_by_key_config_selectorIllEEZZNS1_16scan_by_key_implILNS1_25lookback_scan_determinismE0ELb0ES3_PKlN6hipcub16HIPCUB_304000_NS21ConstantInputIteratorIllEEPllNSB_3SumENSB_8EqualityElEE10hipError_tPvRmT2_T3_T4_T5_mT6_T7_P12ihipStream_tbENKUlT_T0_E_clISt17integral_constantIbLb0EESW_IbLb1EEEEDaSS_ST_EUlSS_E_NS1_11comp_targetILNS1_3genE10ELNS1_11target_archE1201ELNS1_3gpuE5ELNS1_3repE0EEENS1_30default_config_static_selectorELNS0_4arch9wavefront6targetE0EEEvT1_
                                        ; -- End function
	.set _ZN7rocprim17ROCPRIM_400000_NS6detail17trampoline_kernelINS0_14default_configENS1_27scan_by_key_config_selectorIllEEZZNS1_16scan_by_key_implILNS1_25lookback_scan_determinismE0ELb0ES3_PKlN6hipcub16HIPCUB_304000_NS21ConstantInputIteratorIllEEPllNSB_3SumENSB_8EqualityElEE10hipError_tPvRmT2_T3_T4_T5_mT6_T7_P12ihipStream_tbENKUlT_T0_E_clISt17integral_constantIbLb0EESW_IbLb1EEEEDaSS_ST_EUlSS_E_NS1_11comp_targetILNS1_3genE10ELNS1_11target_archE1201ELNS1_3gpuE5ELNS1_3repE0EEENS1_30default_config_static_selectorELNS0_4arch9wavefront6targetE0EEEvT1_.num_vgpr, 0
	.set _ZN7rocprim17ROCPRIM_400000_NS6detail17trampoline_kernelINS0_14default_configENS1_27scan_by_key_config_selectorIllEEZZNS1_16scan_by_key_implILNS1_25lookback_scan_determinismE0ELb0ES3_PKlN6hipcub16HIPCUB_304000_NS21ConstantInputIteratorIllEEPllNSB_3SumENSB_8EqualityElEE10hipError_tPvRmT2_T3_T4_T5_mT6_T7_P12ihipStream_tbENKUlT_T0_E_clISt17integral_constantIbLb0EESW_IbLb1EEEEDaSS_ST_EUlSS_E_NS1_11comp_targetILNS1_3genE10ELNS1_11target_archE1201ELNS1_3gpuE5ELNS1_3repE0EEENS1_30default_config_static_selectorELNS0_4arch9wavefront6targetE0EEEvT1_.num_agpr, 0
	.set _ZN7rocprim17ROCPRIM_400000_NS6detail17trampoline_kernelINS0_14default_configENS1_27scan_by_key_config_selectorIllEEZZNS1_16scan_by_key_implILNS1_25lookback_scan_determinismE0ELb0ES3_PKlN6hipcub16HIPCUB_304000_NS21ConstantInputIteratorIllEEPllNSB_3SumENSB_8EqualityElEE10hipError_tPvRmT2_T3_T4_T5_mT6_T7_P12ihipStream_tbENKUlT_T0_E_clISt17integral_constantIbLb0EESW_IbLb1EEEEDaSS_ST_EUlSS_E_NS1_11comp_targetILNS1_3genE10ELNS1_11target_archE1201ELNS1_3gpuE5ELNS1_3repE0EEENS1_30default_config_static_selectorELNS0_4arch9wavefront6targetE0EEEvT1_.numbered_sgpr, 0
	.set _ZN7rocprim17ROCPRIM_400000_NS6detail17trampoline_kernelINS0_14default_configENS1_27scan_by_key_config_selectorIllEEZZNS1_16scan_by_key_implILNS1_25lookback_scan_determinismE0ELb0ES3_PKlN6hipcub16HIPCUB_304000_NS21ConstantInputIteratorIllEEPllNSB_3SumENSB_8EqualityElEE10hipError_tPvRmT2_T3_T4_T5_mT6_T7_P12ihipStream_tbENKUlT_T0_E_clISt17integral_constantIbLb0EESW_IbLb1EEEEDaSS_ST_EUlSS_E_NS1_11comp_targetILNS1_3genE10ELNS1_11target_archE1201ELNS1_3gpuE5ELNS1_3repE0EEENS1_30default_config_static_selectorELNS0_4arch9wavefront6targetE0EEEvT1_.num_named_barrier, 0
	.set _ZN7rocprim17ROCPRIM_400000_NS6detail17trampoline_kernelINS0_14default_configENS1_27scan_by_key_config_selectorIllEEZZNS1_16scan_by_key_implILNS1_25lookback_scan_determinismE0ELb0ES3_PKlN6hipcub16HIPCUB_304000_NS21ConstantInputIteratorIllEEPllNSB_3SumENSB_8EqualityElEE10hipError_tPvRmT2_T3_T4_T5_mT6_T7_P12ihipStream_tbENKUlT_T0_E_clISt17integral_constantIbLb0EESW_IbLb1EEEEDaSS_ST_EUlSS_E_NS1_11comp_targetILNS1_3genE10ELNS1_11target_archE1201ELNS1_3gpuE5ELNS1_3repE0EEENS1_30default_config_static_selectorELNS0_4arch9wavefront6targetE0EEEvT1_.private_seg_size, 0
	.set _ZN7rocprim17ROCPRIM_400000_NS6detail17trampoline_kernelINS0_14default_configENS1_27scan_by_key_config_selectorIllEEZZNS1_16scan_by_key_implILNS1_25lookback_scan_determinismE0ELb0ES3_PKlN6hipcub16HIPCUB_304000_NS21ConstantInputIteratorIllEEPllNSB_3SumENSB_8EqualityElEE10hipError_tPvRmT2_T3_T4_T5_mT6_T7_P12ihipStream_tbENKUlT_T0_E_clISt17integral_constantIbLb0EESW_IbLb1EEEEDaSS_ST_EUlSS_E_NS1_11comp_targetILNS1_3genE10ELNS1_11target_archE1201ELNS1_3gpuE5ELNS1_3repE0EEENS1_30default_config_static_selectorELNS0_4arch9wavefront6targetE0EEEvT1_.uses_vcc, 0
	.set _ZN7rocprim17ROCPRIM_400000_NS6detail17trampoline_kernelINS0_14default_configENS1_27scan_by_key_config_selectorIllEEZZNS1_16scan_by_key_implILNS1_25lookback_scan_determinismE0ELb0ES3_PKlN6hipcub16HIPCUB_304000_NS21ConstantInputIteratorIllEEPllNSB_3SumENSB_8EqualityElEE10hipError_tPvRmT2_T3_T4_T5_mT6_T7_P12ihipStream_tbENKUlT_T0_E_clISt17integral_constantIbLb0EESW_IbLb1EEEEDaSS_ST_EUlSS_E_NS1_11comp_targetILNS1_3genE10ELNS1_11target_archE1201ELNS1_3gpuE5ELNS1_3repE0EEENS1_30default_config_static_selectorELNS0_4arch9wavefront6targetE0EEEvT1_.uses_flat_scratch, 0
	.set _ZN7rocprim17ROCPRIM_400000_NS6detail17trampoline_kernelINS0_14default_configENS1_27scan_by_key_config_selectorIllEEZZNS1_16scan_by_key_implILNS1_25lookback_scan_determinismE0ELb0ES3_PKlN6hipcub16HIPCUB_304000_NS21ConstantInputIteratorIllEEPllNSB_3SumENSB_8EqualityElEE10hipError_tPvRmT2_T3_T4_T5_mT6_T7_P12ihipStream_tbENKUlT_T0_E_clISt17integral_constantIbLb0EESW_IbLb1EEEEDaSS_ST_EUlSS_E_NS1_11comp_targetILNS1_3genE10ELNS1_11target_archE1201ELNS1_3gpuE5ELNS1_3repE0EEENS1_30default_config_static_selectorELNS0_4arch9wavefront6targetE0EEEvT1_.has_dyn_sized_stack, 0
	.set _ZN7rocprim17ROCPRIM_400000_NS6detail17trampoline_kernelINS0_14default_configENS1_27scan_by_key_config_selectorIllEEZZNS1_16scan_by_key_implILNS1_25lookback_scan_determinismE0ELb0ES3_PKlN6hipcub16HIPCUB_304000_NS21ConstantInputIteratorIllEEPllNSB_3SumENSB_8EqualityElEE10hipError_tPvRmT2_T3_T4_T5_mT6_T7_P12ihipStream_tbENKUlT_T0_E_clISt17integral_constantIbLb0EESW_IbLb1EEEEDaSS_ST_EUlSS_E_NS1_11comp_targetILNS1_3genE10ELNS1_11target_archE1201ELNS1_3gpuE5ELNS1_3repE0EEENS1_30default_config_static_selectorELNS0_4arch9wavefront6targetE0EEEvT1_.has_recursion, 0
	.set _ZN7rocprim17ROCPRIM_400000_NS6detail17trampoline_kernelINS0_14default_configENS1_27scan_by_key_config_selectorIllEEZZNS1_16scan_by_key_implILNS1_25lookback_scan_determinismE0ELb0ES3_PKlN6hipcub16HIPCUB_304000_NS21ConstantInputIteratorIllEEPllNSB_3SumENSB_8EqualityElEE10hipError_tPvRmT2_T3_T4_T5_mT6_T7_P12ihipStream_tbENKUlT_T0_E_clISt17integral_constantIbLb0EESW_IbLb1EEEEDaSS_ST_EUlSS_E_NS1_11comp_targetILNS1_3genE10ELNS1_11target_archE1201ELNS1_3gpuE5ELNS1_3repE0EEENS1_30default_config_static_selectorELNS0_4arch9wavefront6targetE0EEEvT1_.has_indirect_call, 0
	.section	.AMDGPU.csdata,"",@progbits
; Kernel info:
; codeLenInByte = 0
; TotalNumSgprs: 0
; NumVgprs: 0
; ScratchSize: 0
; MemoryBound: 0
; FloatMode: 240
; IeeeMode: 1
; LDSByteSize: 0 bytes/workgroup (compile time only)
; SGPRBlocks: 0
; VGPRBlocks: 0
; NumSGPRsForWavesPerEU: 1
; NumVGPRsForWavesPerEU: 1
; Occupancy: 16
; WaveLimiterHint : 0
; COMPUTE_PGM_RSRC2:SCRATCH_EN: 0
; COMPUTE_PGM_RSRC2:USER_SGPR: 6
; COMPUTE_PGM_RSRC2:TRAP_HANDLER: 0
; COMPUTE_PGM_RSRC2:TGID_X_EN: 1
; COMPUTE_PGM_RSRC2:TGID_Y_EN: 0
; COMPUTE_PGM_RSRC2:TGID_Z_EN: 0
; COMPUTE_PGM_RSRC2:TIDIG_COMP_CNT: 0
	.section	.text._ZN7rocprim17ROCPRIM_400000_NS6detail17trampoline_kernelINS0_14default_configENS1_27scan_by_key_config_selectorIllEEZZNS1_16scan_by_key_implILNS1_25lookback_scan_determinismE0ELb0ES3_PKlN6hipcub16HIPCUB_304000_NS21ConstantInputIteratorIllEEPllNSB_3SumENSB_8EqualityElEE10hipError_tPvRmT2_T3_T4_T5_mT6_T7_P12ihipStream_tbENKUlT_T0_E_clISt17integral_constantIbLb0EESW_IbLb1EEEEDaSS_ST_EUlSS_E_NS1_11comp_targetILNS1_3genE5ELNS1_11target_archE942ELNS1_3gpuE9ELNS1_3repE0EEENS1_30default_config_static_selectorELNS0_4arch9wavefront6targetE0EEEvT1_,"axG",@progbits,_ZN7rocprim17ROCPRIM_400000_NS6detail17trampoline_kernelINS0_14default_configENS1_27scan_by_key_config_selectorIllEEZZNS1_16scan_by_key_implILNS1_25lookback_scan_determinismE0ELb0ES3_PKlN6hipcub16HIPCUB_304000_NS21ConstantInputIteratorIllEEPllNSB_3SumENSB_8EqualityElEE10hipError_tPvRmT2_T3_T4_T5_mT6_T7_P12ihipStream_tbENKUlT_T0_E_clISt17integral_constantIbLb0EESW_IbLb1EEEEDaSS_ST_EUlSS_E_NS1_11comp_targetILNS1_3genE5ELNS1_11target_archE942ELNS1_3gpuE9ELNS1_3repE0EEENS1_30default_config_static_selectorELNS0_4arch9wavefront6targetE0EEEvT1_,comdat
	.protected	_ZN7rocprim17ROCPRIM_400000_NS6detail17trampoline_kernelINS0_14default_configENS1_27scan_by_key_config_selectorIllEEZZNS1_16scan_by_key_implILNS1_25lookback_scan_determinismE0ELb0ES3_PKlN6hipcub16HIPCUB_304000_NS21ConstantInputIteratorIllEEPllNSB_3SumENSB_8EqualityElEE10hipError_tPvRmT2_T3_T4_T5_mT6_T7_P12ihipStream_tbENKUlT_T0_E_clISt17integral_constantIbLb0EESW_IbLb1EEEEDaSS_ST_EUlSS_E_NS1_11comp_targetILNS1_3genE5ELNS1_11target_archE942ELNS1_3gpuE9ELNS1_3repE0EEENS1_30default_config_static_selectorELNS0_4arch9wavefront6targetE0EEEvT1_ ; -- Begin function _ZN7rocprim17ROCPRIM_400000_NS6detail17trampoline_kernelINS0_14default_configENS1_27scan_by_key_config_selectorIllEEZZNS1_16scan_by_key_implILNS1_25lookback_scan_determinismE0ELb0ES3_PKlN6hipcub16HIPCUB_304000_NS21ConstantInputIteratorIllEEPllNSB_3SumENSB_8EqualityElEE10hipError_tPvRmT2_T3_T4_T5_mT6_T7_P12ihipStream_tbENKUlT_T0_E_clISt17integral_constantIbLb0EESW_IbLb1EEEEDaSS_ST_EUlSS_E_NS1_11comp_targetILNS1_3genE5ELNS1_11target_archE942ELNS1_3gpuE9ELNS1_3repE0EEENS1_30default_config_static_selectorELNS0_4arch9wavefront6targetE0EEEvT1_
	.globl	_ZN7rocprim17ROCPRIM_400000_NS6detail17trampoline_kernelINS0_14default_configENS1_27scan_by_key_config_selectorIllEEZZNS1_16scan_by_key_implILNS1_25lookback_scan_determinismE0ELb0ES3_PKlN6hipcub16HIPCUB_304000_NS21ConstantInputIteratorIllEEPllNSB_3SumENSB_8EqualityElEE10hipError_tPvRmT2_T3_T4_T5_mT6_T7_P12ihipStream_tbENKUlT_T0_E_clISt17integral_constantIbLb0EESW_IbLb1EEEEDaSS_ST_EUlSS_E_NS1_11comp_targetILNS1_3genE5ELNS1_11target_archE942ELNS1_3gpuE9ELNS1_3repE0EEENS1_30default_config_static_selectorELNS0_4arch9wavefront6targetE0EEEvT1_
	.p2align	8
	.type	_ZN7rocprim17ROCPRIM_400000_NS6detail17trampoline_kernelINS0_14default_configENS1_27scan_by_key_config_selectorIllEEZZNS1_16scan_by_key_implILNS1_25lookback_scan_determinismE0ELb0ES3_PKlN6hipcub16HIPCUB_304000_NS21ConstantInputIteratorIllEEPllNSB_3SumENSB_8EqualityElEE10hipError_tPvRmT2_T3_T4_T5_mT6_T7_P12ihipStream_tbENKUlT_T0_E_clISt17integral_constantIbLb0EESW_IbLb1EEEEDaSS_ST_EUlSS_E_NS1_11comp_targetILNS1_3genE5ELNS1_11target_archE942ELNS1_3gpuE9ELNS1_3repE0EEENS1_30default_config_static_selectorELNS0_4arch9wavefront6targetE0EEEvT1_,@function
_ZN7rocprim17ROCPRIM_400000_NS6detail17trampoline_kernelINS0_14default_configENS1_27scan_by_key_config_selectorIllEEZZNS1_16scan_by_key_implILNS1_25lookback_scan_determinismE0ELb0ES3_PKlN6hipcub16HIPCUB_304000_NS21ConstantInputIteratorIllEEPllNSB_3SumENSB_8EqualityElEE10hipError_tPvRmT2_T3_T4_T5_mT6_T7_P12ihipStream_tbENKUlT_T0_E_clISt17integral_constantIbLb0EESW_IbLb1EEEEDaSS_ST_EUlSS_E_NS1_11comp_targetILNS1_3genE5ELNS1_11target_archE942ELNS1_3gpuE9ELNS1_3repE0EEENS1_30default_config_static_selectorELNS0_4arch9wavefront6targetE0EEEvT1_: ; @_ZN7rocprim17ROCPRIM_400000_NS6detail17trampoline_kernelINS0_14default_configENS1_27scan_by_key_config_selectorIllEEZZNS1_16scan_by_key_implILNS1_25lookback_scan_determinismE0ELb0ES3_PKlN6hipcub16HIPCUB_304000_NS21ConstantInputIteratorIllEEPllNSB_3SumENSB_8EqualityElEE10hipError_tPvRmT2_T3_T4_T5_mT6_T7_P12ihipStream_tbENKUlT_T0_E_clISt17integral_constantIbLb0EESW_IbLb1EEEEDaSS_ST_EUlSS_E_NS1_11comp_targetILNS1_3genE5ELNS1_11target_archE942ELNS1_3gpuE9ELNS1_3repE0EEENS1_30default_config_static_selectorELNS0_4arch9wavefront6targetE0EEEvT1_
; %bb.0:
	.section	.rodata,"a",@progbits
	.p2align	6, 0x0
	.amdhsa_kernel _ZN7rocprim17ROCPRIM_400000_NS6detail17trampoline_kernelINS0_14default_configENS1_27scan_by_key_config_selectorIllEEZZNS1_16scan_by_key_implILNS1_25lookback_scan_determinismE0ELb0ES3_PKlN6hipcub16HIPCUB_304000_NS21ConstantInputIteratorIllEEPllNSB_3SumENSB_8EqualityElEE10hipError_tPvRmT2_T3_T4_T5_mT6_T7_P12ihipStream_tbENKUlT_T0_E_clISt17integral_constantIbLb0EESW_IbLb1EEEEDaSS_ST_EUlSS_E_NS1_11comp_targetILNS1_3genE5ELNS1_11target_archE942ELNS1_3gpuE9ELNS1_3repE0EEENS1_30default_config_static_selectorELNS0_4arch9wavefront6targetE0EEEvT1_
		.amdhsa_group_segment_fixed_size 0
		.amdhsa_private_segment_fixed_size 0
		.amdhsa_kernarg_size 144
		.amdhsa_user_sgpr_count 6
		.amdhsa_user_sgpr_private_segment_buffer 1
		.amdhsa_user_sgpr_dispatch_ptr 0
		.amdhsa_user_sgpr_queue_ptr 0
		.amdhsa_user_sgpr_kernarg_segment_ptr 1
		.amdhsa_user_sgpr_dispatch_id 0
		.amdhsa_user_sgpr_flat_scratch_init 0
		.amdhsa_user_sgpr_private_segment_size 0
		.amdhsa_wavefront_size32 1
		.amdhsa_uses_dynamic_stack 0
		.amdhsa_system_sgpr_private_segment_wavefront_offset 0
		.amdhsa_system_sgpr_workgroup_id_x 1
		.amdhsa_system_sgpr_workgroup_id_y 0
		.amdhsa_system_sgpr_workgroup_id_z 0
		.amdhsa_system_sgpr_workgroup_info 0
		.amdhsa_system_vgpr_workitem_id 0
		.amdhsa_next_free_vgpr 1
		.amdhsa_next_free_sgpr 1
		.amdhsa_reserve_vcc 0
		.amdhsa_reserve_flat_scratch 0
		.amdhsa_float_round_mode_32 0
		.amdhsa_float_round_mode_16_64 0
		.amdhsa_float_denorm_mode_32 3
		.amdhsa_float_denorm_mode_16_64 3
		.amdhsa_dx10_clamp 1
		.amdhsa_ieee_mode 1
		.amdhsa_fp16_overflow 0
		.amdhsa_workgroup_processor_mode 1
		.amdhsa_memory_ordered 1
		.amdhsa_forward_progress 1
		.amdhsa_shared_vgpr_count 0
		.amdhsa_exception_fp_ieee_invalid_op 0
		.amdhsa_exception_fp_denorm_src 0
		.amdhsa_exception_fp_ieee_div_zero 0
		.amdhsa_exception_fp_ieee_overflow 0
		.amdhsa_exception_fp_ieee_underflow 0
		.amdhsa_exception_fp_ieee_inexact 0
		.amdhsa_exception_int_div_zero 0
	.end_amdhsa_kernel
	.section	.text._ZN7rocprim17ROCPRIM_400000_NS6detail17trampoline_kernelINS0_14default_configENS1_27scan_by_key_config_selectorIllEEZZNS1_16scan_by_key_implILNS1_25lookback_scan_determinismE0ELb0ES3_PKlN6hipcub16HIPCUB_304000_NS21ConstantInputIteratorIllEEPllNSB_3SumENSB_8EqualityElEE10hipError_tPvRmT2_T3_T4_T5_mT6_T7_P12ihipStream_tbENKUlT_T0_E_clISt17integral_constantIbLb0EESW_IbLb1EEEEDaSS_ST_EUlSS_E_NS1_11comp_targetILNS1_3genE5ELNS1_11target_archE942ELNS1_3gpuE9ELNS1_3repE0EEENS1_30default_config_static_selectorELNS0_4arch9wavefront6targetE0EEEvT1_,"axG",@progbits,_ZN7rocprim17ROCPRIM_400000_NS6detail17trampoline_kernelINS0_14default_configENS1_27scan_by_key_config_selectorIllEEZZNS1_16scan_by_key_implILNS1_25lookback_scan_determinismE0ELb0ES3_PKlN6hipcub16HIPCUB_304000_NS21ConstantInputIteratorIllEEPllNSB_3SumENSB_8EqualityElEE10hipError_tPvRmT2_T3_T4_T5_mT6_T7_P12ihipStream_tbENKUlT_T0_E_clISt17integral_constantIbLb0EESW_IbLb1EEEEDaSS_ST_EUlSS_E_NS1_11comp_targetILNS1_3genE5ELNS1_11target_archE942ELNS1_3gpuE9ELNS1_3repE0EEENS1_30default_config_static_selectorELNS0_4arch9wavefront6targetE0EEEvT1_,comdat
.Lfunc_end129:
	.size	_ZN7rocprim17ROCPRIM_400000_NS6detail17trampoline_kernelINS0_14default_configENS1_27scan_by_key_config_selectorIllEEZZNS1_16scan_by_key_implILNS1_25lookback_scan_determinismE0ELb0ES3_PKlN6hipcub16HIPCUB_304000_NS21ConstantInputIteratorIllEEPllNSB_3SumENSB_8EqualityElEE10hipError_tPvRmT2_T3_T4_T5_mT6_T7_P12ihipStream_tbENKUlT_T0_E_clISt17integral_constantIbLb0EESW_IbLb1EEEEDaSS_ST_EUlSS_E_NS1_11comp_targetILNS1_3genE5ELNS1_11target_archE942ELNS1_3gpuE9ELNS1_3repE0EEENS1_30default_config_static_selectorELNS0_4arch9wavefront6targetE0EEEvT1_, .Lfunc_end129-_ZN7rocprim17ROCPRIM_400000_NS6detail17trampoline_kernelINS0_14default_configENS1_27scan_by_key_config_selectorIllEEZZNS1_16scan_by_key_implILNS1_25lookback_scan_determinismE0ELb0ES3_PKlN6hipcub16HIPCUB_304000_NS21ConstantInputIteratorIllEEPllNSB_3SumENSB_8EqualityElEE10hipError_tPvRmT2_T3_T4_T5_mT6_T7_P12ihipStream_tbENKUlT_T0_E_clISt17integral_constantIbLb0EESW_IbLb1EEEEDaSS_ST_EUlSS_E_NS1_11comp_targetILNS1_3genE5ELNS1_11target_archE942ELNS1_3gpuE9ELNS1_3repE0EEENS1_30default_config_static_selectorELNS0_4arch9wavefront6targetE0EEEvT1_
                                        ; -- End function
	.set _ZN7rocprim17ROCPRIM_400000_NS6detail17trampoline_kernelINS0_14default_configENS1_27scan_by_key_config_selectorIllEEZZNS1_16scan_by_key_implILNS1_25lookback_scan_determinismE0ELb0ES3_PKlN6hipcub16HIPCUB_304000_NS21ConstantInputIteratorIllEEPllNSB_3SumENSB_8EqualityElEE10hipError_tPvRmT2_T3_T4_T5_mT6_T7_P12ihipStream_tbENKUlT_T0_E_clISt17integral_constantIbLb0EESW_IbLb1EEEEDaSS_ST_EUlSS_E_NS1_11comp_targetILNS1_3genE5ELNS1_11target_archE942ELNS1_3gpuE9ELNS1_3repE0EEENS1_30default_config_static_selectorELNS0_4arch9wavefront6targetE0EEEvT1_.num_vgpr, 0
	.set _ZN7rocprim17ROCPRIM_400000_NS6detail17trampoline_kernelINS0_14default_configENS1_27scan_by_key_config_selectorIllEEZZNS1_16scan_by_key_implILNS1_25lookback_scan_determinismE0ELb0ES3_PKlN6hipcub16HIPCUB_304000_NS21ConstantInputIteratorIllEEPllNSB_3SumENSB_8EqualityElEE10hipError_tPvRmT2_T3_T4_T5_mT6_T7_P12ihipStream_tbENKUlT_T0_E_clISt17integral_constantIbLb0EESW_IbLb1EEEEDaSS_ST_EUlSS_E_NS1_11comp_targetILNS1_3genE5ELNS1_11target_archE942ELNS1_3gpuE9ELNS1_3repE0EEENS1_30default_config_static_selectorELNS0_4arch9wavefront6targetE0EEEvT1_.num_agpr, 0
	.set _ZN7rocprim17ROCPRIM_400000_NS6detail17trampoline_kernelINS0_14default_configENS1_27scan_by_key_config_selectorIllEEZZNS1_16scan_by_key_implILNS1_25lookback_scan_determinismE0ELb0ES3_PKlN6hipcub16HIPCUB_304000_NS21ConstantInputIteratorIllEEPllNSB_3SumENSB_8EqualityElEE10hipError_tPvRmT2_T3_T4_T5_mT6_T7_P12ihipStream_tbENKUlT_T0_E_clISt17integral_constantIbLb0EESW_IbLb1EEEEDaSS_ST_EUlSS_E_NS1_11comp_targetILNS1_3genE5ELNS1_11target_archE942ELNS1_3gpuE9ELNS1_3repE0EEENS1_30default_config_static_selectorELNS0_4arch9wavefront6targetE0EEEvT1_.numbered_sgpr, 0
	.set _ZN7rocprim17ROCPRIM_400000_NS6detail17trampoline_kernelINS0_14default_configENS1_27scan_by_key_config_selectorIllEEZZNS1_16scan_by_key_implILNS1_25lookback_scan_determinismE0ELb0ES3_PKlN6hipcub16HIPCUB_304000_NS21ConstantInputIteratorIllEEPllNSB_3SumENSB_8EqualityElEE10hipError_tPvRmT2_T3_T4_T5_mT6_T7_P12ihipStream_tbENKUlT_T0_E_clISt17integral_constantIbLb0EESW_IbLb1EEEEDaSS_ST_EUlSS_E_NS1_11comp_targetILNS1_3genE5ELNS1_11target_archE942ELNS1_3gpuE9ELNS1_3repE0EEENS1_30default_config_static_selectorELNS0_4arch9wavefront6targetE0EEEvT1_.num_named_barrier, 0
	.set _ZN7rocprim17ROCPRIM_400000_NS6detail17trampoline_kernelINS0_14default_configENS1_27scan_by_key_config_selectorIllEEZZNS1_16scan_by_key_implILNS1_25lookback_scan_determinismE0ELb0ES3_PKlN6hipcub16HIPCUB_304000_NS21ConstantInputIteratorIllEEPllNSB_3SumENSB_8EqualityElEE10hipError_tPvRmT2_T3_T4_T5_mT6_T7_P12ihipStream_tbENKUlT_T0_E_clISt17integral_constantIbLb0EESW_IbLb1EEEEDaSS_ST_EUlSS_E_NS1_11comp_targetILNS1_3genE5ELNS1_11target_archE942ELNS1_3gpuE9ELNS1_3repE0EEENS1_30default_config_static_selectorELNS0_4arch9wavefront6targetE0EEEvT1_.private_seg_size, 0
	.set _ZN7rocprim17ROCPRIM_400000_NS6detail17trampoline_kernelINS0_14default_configENS1_27scan_by_key_config_selectorIllEEZZNS1_16scan_by_key_implILNS1_25lookback_scan_determinismE0ELb0ES3_PKlN6hipcub16HIPCUB_304000_NS21ConstantInputIteratorIllEEPllNSB_3SumENSB_8EqualityElEE10hipError_tPvRmT2_T3_T4_T5_mT6_T7_P12ihipStream_tbENKUlT_T0_E_clISt17integral_constantIbLb0EESW_IbLb1EEEEDaSS_ST_EUlSS_E_NS1_11comp_targetILNS1_3genE5ELNS1_11target_archE942ELNS1_3gpuE9ELNS1_3repE0EEENS1_30default_config_static_selectorELNS0_4arch9wavefront6targetE0EEEvT1_.uses_vcc, 0
	.set _ZN7rocprim17ROCPRIM_400000_NS6detail17trampoline_kernelINS0_14default_configENS1_27scan_by_key_config_selectorIllEEZZNS1_16scan_by_key_implILNS1_25lookback_scan_determinismE0ELb0ES3_PKlN6hipcub16HIPCUB_304000_NS21ConstantInputIteratorIllEEPllNSB_3SumENSB_8EqualityElEE10hipError_tPvRmT2_T3_T4_T5_mT6_T7_P12ihipStream_tbENKUlT_T0_E_clISt17integral_constantIbLb0EESW_IbLb1EEEEDaSS_ST_EUlSS_E_NS1_11comp_targetILNS1_3genE5ELNS1_11target_archE942ELNS1_3gpuE9ELNS1_3repE0EEENS1_30default_config_static_selectorELNS0_4arch9wavefront6targetE0EEEvT1_.uses_flat_scratch, 0
	.set _ZN7rocprim17ROCPRIM_400000_NS6detail17trampoline_kernelINS0_14default_configENS1_27scan_by_key_config_selectorIllEEZZNS1_16scan_by_key_implILNS1_25lookback_scan_determinismE0ELb0ES3_PKlN6hipcub16HIPCUB_304000_NS21ConstantInputIteratorIllEEPllNSB_3SumENSB_8EqualityElEE10hipError_tPvRmT2_T3_T4_T5_mT6_T7_P12ihipStream_tbENKUlT_T0_E_clISt17integral_constantIbLb0EESW_IbLb1EEEEDaSS_ST_EUlSS_E_NS1_11comp_targetILNS1_3genE5ELNS1_11target_archE942ELNS1_3gpuE9ELNS1_3repE0EEENS1_30default_config_static_selectorELNS0_4arch9wavefront6targetE0EEEvT1_.has_dyn_sized_stack, 0
	.set _ZN7rocprim17ROCPRIM_400000_NS6detail17trampoline_kernelINS0_14default_configENS1_27scan_by_key_config_selectorIllEEZZNS1_16scan_by_key_implILNS1_25lookback_scan_determinismE0ELb0ES3_PKlN6hipcub16HIPCUB_304000_NS21ConstantInputIteratorIllEEPllNSB_3SumENSB_8EqualityElEE10hipError_tPvRmT2_T3_T4_T5_mT6_T7_P12ihipStream_tbENKUlT_T0_E_clISt17integral_constantIbLb0EESW_IbLb1EEEEDaSS_ST_EUlSS_E_NS1_11comp_targetILNS1_3genE5ELNS1_11target_archE942ELNS1_3gpuE9ELNS1_3repE0EEENS1_30default_config_static_selectorELNS0_4arch9wavefront6targetE0EEEvT1_.has_recursion, 0
	.set _ZN7rocprim17ROCPRIM_400000_NS6detail17trampoline_kernelINS0_14default_configENS1_27scan_by_key_config_selectorIllEEZZNS1_16scan_by_key_implILNS1_25lookback_scan_determinismE0ELb0ES3_PKlN6hipcub16HIPCUB_304000_NS21ConstantInputIteratorIllEEPllNSB_3SumENSB_8EqualityElEE10hipError_tPvRmT2_T3_T4_T5_mT6_T7_P12ihipStream_tbENKUlT_T0_E_clISt17integral_constantIbLb0EESW_IbLb1EEEEDaSS_ST_EUlSS_E_NS1_11comp_targetILNS1_3genE5ELNS1_11target_archE942ELNS1_3gpuE9ELNS1_3repE0EEENS1_30default_config_static_selectorELNS0_4arch9wavefront6targetE0EEEvT1_.has_indirect_call, 0
	.section	.AMDGPU.csdata,"",@progbits
; Kernel info:
; codeLenInByte = 0
; TotalNumSgprs: 0
; NumVgprs: 0
; ScratchSize: 0
; MemoryBound: 0
; FloatMode: 240
; IeeeMode: 1
; LDSByteSize: 0 bytes/workgroup (compile time only)
; SGPRBlocks: 0
; VGPRBlocks: 0
; NumSGPRsForWavesPerEU: 1
; NumVGPRsForWavesPerEU: 1
; Occupancy: 16
; WaveLimiterHint : 0
; COMPUTE_PGM_RSRC2:SCRATCH_EN: 0
; COMPUTE_PGM_RSRC2:USER_SGPR: 6
; COMPUTE_PGM_RSRC2:TRAP_HANDLER: 0
; COMPUTE_PGM_RSRC2:TGID_X_EN: 1
; COMPUTE_PGM_RSRC2:TGID_Y_EN: 0
; COMPUTE_PGM_RSRC2:TGID_Z_EN: 0
; COMPUTE_PGM_RSRC2:TIDIG_COMP_CNT: 0
	.section	.text._ZN7rocprim17ROCPRIM_400000_NS6detail17trampoline_kernelINS0_14default_configENS1_27scan_by_key_config_selectorIllEEZZNS1_16scan_by_key_implILNS1_25lookback_scan_determinismE0ELb0ES3_PKlN6hipcub16HIPCUB_304000_NS21ConstantInputIteratorIllEEPllNSB_3SumENSB_8EqualityElEE10hipError_tPvRmT2_T3_T4_T5_mT6_T7_P12ihipStream_tbENKUlT_T0_E_clISt17integral_constantIbLb0EESW_IbLb1EEEEDaSS_ST_EUlSS_E_NS1_11comp_targetILNS1_3genE4ELNS1_11target_archE910ELNS1_3gpuE8ELNS1_3repE0EEENS1_30default_config_static_selectorELNS0_4arch9wavefront6targetE0EEEvT1_,"axG",@progbits,_ZN7rocprim17ROCPRIM_400000_NS6detail17trampoline_kernelINS0_14default_configENS1_27scan_by_key_config_selectorIllEEZZNS1_16scan_by_key_implILNS1_25lookback_scan_determinismE0ELb0ES3_PKlN6hipcub16HIPCUB_304000_NS21ConstantInputIteratorIllEEPllNSB_3SumENSB_8EqualityElEE10hipError_tPvRmT2_T3_T4_T5_mT6_T7_P12ihipStream_tbENKUlT_T0_E_clISt17integral_constantIbLb0EESW_IbLb1EEEEDaSS_ST_EUlSS_E_NS1_11comp_targetILNS1_3genE4ELNS1_11target_archE910ELNS1_3gpuE8ELNS1_3repE0EEENS1_30default_config_static_selectorELNS0_4arch9wavefront6targetE0EEEvT1_,comdat
	.protected	_ZN7rocprim17ROCPRIM_400000_NS6detail17trampoline_kernelINS0_14default_configENS1_27scan_by_key_config_selectorIllEEZZNS1_16scan_by_key_implILNS1_25lookback_scan_determinismE0ELb0ES3_PKlN6hipcub16HIPCUB_304000_NS21ConstantInputIteratorIllEEPllNSB_3SumENSB_8EqualityElEE10hipError_tPvRmT2_T3_T4_T5_mT6_T7_P12ihipStream_tbENKUlT_T0_E_clISt17integral_constantIbLb0EESW_IbLb1EEEEDaSS_ST_EUlSS_E_NS1_11comp_targetILNS1_3genE4ELNS1_11target_archE910ELNS1_3gpuE8ELNS1_3repE0EEENS1_30default_config_static_selectorELNS0_4arch9wavefront6targetE0EEEvT1_ ; -- Begin function _ZN7rocprim17ROCPRIM_400000_NS6detail17trampoline_kernelINS0_14default_configENS1_27scan_by_key_config_selectorIllEEZZNS1_16scan_by_key_implILNS1_25lookback_scan_determinismE0ELb0ES3_PKlN6hipcub16HIPCUB_304000_NS21ConstantInputIteratorIllEEPllNSB_3SumENSB_8EqualityElEE10hipError_tPvRmT2_T3_T4_T5_mT6_T7_P12ihipStream_tbENKUlT_T0_E_clISt17integral_constantIbLb0EESW_IbLb1EEEEDaSS_ST_EUlSS_E_NS1_11comp_targetILNS1_3genE4ELNS1_11target_archE910ELNS1_3gpuE8ELNS1_3repE0EEENS1_30default_config_static_selectorELNS0_4arch9wavefront6targetE0EEEvT1_
	.globl	_ZN7rocprim17ROCPRIM_400000_NS6detail17trampoline_kernelINS0_14default_configENS1_27scan_by_key_config_selectorIllEEZZNS1_16scan_by_key_implILNS1_25lookback_scan_determinismE0ELb0ES3_PKlN6hipcub16HIPCUB_304000_NS21ConstantInputIteratorIllEEPllNSB_3SumENSB_8EqualityElEE10hipError_tPvRmT2_T3_T4_T5_mT6_T7_P12ihipStream_tbENKUlT_T0_E_clISt17integral_constantIbLb0EESW_IbLb1EEEEDaSS_ST_EUlSS_E_NS1_11comp_targetILNS1_3genE4ELNS1_11target_archE910ELNS1_3gpuE8ELNS1_3repE0EEENS1_30default_config_static_selectorELNS0_4arch9wavefront6targetE0EEEvT1_
	.p2align	8
	.type	_ZN7rocprim17ROCPRIM_400000_NS6detail17trampoline_kernelINS0_14default_configENS1_27scan_by_key_config_selectorIllEEZZNS1_16scan_by_key_implILNS1_25lookback_scan_determinismE0ELb0ES3_PKlN6hipcub16HIPCUB_304000_NS21ConstantInputIteratorIllEEPllNSB_3SumENSB_8EqualityElEE10hipError_tPvRmT2_T3_T4_T5_mT6_T7_P12ihipStream_tbENKUlT_T0_E_clISt17integral_constantIbLb0EESW_IbLb1EEEEDaSS_ST_EUlSS_E_NS1_11comp_targetILNS1_3genE4ELNS1_11target_archE910ELNS1_3gpuE8ELNS1_3repE0EEENS1_30default_config_static_selectorELNS0_4arch9wavefront6targetE0EEEvT1_,@function
_ZN7rocprim17ROCPRIM_400000_NS6detail17trampoline_kernelINS0_14default_configENS1_27scan_by_key_config_selectorIllEEZZNS1_16scan_by_key_implILNS1_25lookback_scan_determinismE0ELb0ES3_PKlN6hipcub16HIPCUB_304000_NS21ConstantInputIteratorIllEEPllNSB_3SumENSB_8EqualityElEE10hipError_tPvRmT2_T3_T4_T5_mT6_T7_P12ihipStream_tbENKUlT_T0_E_clISt17integral_constantIbLb0EESW_IbLb1EEEEDaSS_ST_EUlSS_E_NS1_11comp_targetILNS1_3genE4ELNS1_11target_archE910ELNS1_3gpuE8ELNS1_3repE0EEENS1_30default_config_static_selectorELNS0_4arch9wavefront6targetE0EEEvT1_: ; @_ZN7rocprim17ROCPRIM_400000_NS6detail17trampoline_kernelINS0_14default_configENS1_27scan_by_key_config_selectorIllEEZZNS1_16scan_by_key_implILNS1_25lookback_scan_determinismE0ELb0ES3_PKlN6hipcub16HIPCUB_304000_NS21ConstantInputIteratorIllEEPllNSB_3SumENSB_8EqualityElEE10hipError_tPvRmT2_T3_T4_T5_mT6_T7_P12ihipStream_tbENKUlT_T0_E_clISt17integral_constantIbLb0EESW_IbLb1EEEEDaSS_ST_EUlSS_E_NS1_11comp_targetILNS1_3genE4ELNS1_11target_archE910ELNS1_3gpuE8ELNS1_3repE0EEENS1_30default_config_static_selectorELNS0_4arch9wavefront6targetE0EEEvT1_
; %bb.0:
	.section	.rodata,"a",@progbits
	.p2align	6, 0x0
	.amdhsa_kernel _ZN7rocprim17ROCPRIM_400000_NS6detail17trampoline_kernelINS0_14default_configENS1_27scan_by_key_config_selectorIllEEZZNS1_16scan_by_key_implILNS1_25lookback_scan_determinismE0ELb0ES3_PKlN6hipcub16HIPCUB_304000_NS21ConstantInputIteratorIllEEPllNSB_3SumENSB_8EqualityElEE10hipError_tPvRmT2_T3_T4_T5_mT6_T7_P12ihipStream_tbENKUlT_T0_E_clISt17integral_constantIbLb0EESW_IbLb1EEEEDaSS_ST_EUlSS_E_NS1_11comp_targetILNS1_3genE4ELNS1_11target_archE910ELNS1_3gpuE8ELNS1_3repE0EEENS1_30default_config_static_selectorELNS0_4arch9wavefront6targetE0EEEvT1_
		.amdhsa_group_segment_fixed_size 0
		.amdhsa_private_segment_fixed_size 0
		.amdhsa_kernarg_size 144
		.amdhsa_user_sgpr_count 6
		.amdhsa_user_sgpr_private_segment_buffer 1
		.amdhsa_user_sgpr_dispatch_ptr 0
		.amdhsa_user_sgpr_queue_ptr 0
		.amdhsa_user_sgpr_kernarg_segment_ptr 1
		.amdhsa_user_sgpr_dispatch_id 0
		.amdhsa_user_sgpr_flat_scratch_init 0
		.amdhsa_user_sgpr_private_segment_size 0
		.amdhsa_wavefront_size32 1
		.amdhsa_uses_dynamic_stack 0
		.amdhsa_system_sgpr_private_segment_wavefront_offset 0
		.amdhsa_system_sgpr_workgroup_id_x 1
		.amdhsa_system_sgpr_workgroup_id_y 0
		.amdhsa_system_sgpr_workgroup_id_z 0
		.amdhsa_system_sgpr_workgroup_info 0
		.amdhsa_system_vgpr_workitem_id 0
		.amdhsa_next_free_vgpr 1
		.amdhsa_next_free_sgpr 1
		.amdhsa_reserve_vcc 0
		.amdhsa_reserve_flat_scratch 0
		.amdhsa_float_round_mode_32 0
		.amdhsa_float_round_mode_16_64 0
		.amdhsa_float_denorm_mode_32 3
		.amdhsa_float_denorm_mode_16_64 3
		.amdhsa_dx10_clamp 1
		.amdhsa_ieee_mode 1
		.amdhsa_fp16_overflow 0
		.amdhsa_workgroup_processor_mode 1
		.amdhsa_memory_ordered 1
		.amdhsa_forward_progress 1
		.amdhsa_shared_vgpr_count 0
		.amdhsa_exception_fp_ieee_invalid_op 0
		.amdhsa_exception_fp_denorm_src 0
		.amdhsa_exception_fp_ieee_div_zero 0
		.amdhsa_exception_fp_ieee_overflow 0
		.amdhsa_exception_fp_ieee_underflow 0
		.amdhsa_exception_fp_ieee_inexact 0
		.amdhsa_exception_int_div_zero 0
	.end_amdhsa_kernel
	.section	.text._ZN7rocprim17ROCPRIM_400000_NS6detail17trampoline_kernelINS0_14default_configENS1_27scan_by_key_config_selectorIllEEZZNS1_16scan_by_key_implILNS1_25lookback_scan_determinismE0ELb0ES3_PKlN6hipcub16HIPCUB_304000_NS21ConstantInputIteratorIllEEPllNSB_3SumENSB_8EqualityElEE10hipError_tPvRmT2_T3_T4_T5_mT6_T7_P12ihipStream_tbENKUlT_T0_E_clISt17integral_constantIbLb0EESW_IbLb1EEEEDaSS_ST_EUlSS_E_NS1_11comp_targetILNS1_3genE4ELNS1_11target_archE910ELNS1_3gpuE8ELNS1_3repE0EEENS1_30default_config_static_selectorELNS0_4arch9wavefront6targetE0EEEvT1_,"axG",@progbits,_ZN7rocprim17ROCPRIM_400000_NS6detail17trampoline_kernelINS0_14default_configENS1_27scan_by_key_config_selectorIllEEZZNS1_16scan_by_key_implILNS1_25lookback_scan_determinismE0ELb0ES3_PKlN6hipcub16HIPCUB_304000_NS21ConstantInputIteratorIllEEPllNSB_3SumENSB_8EqualityElEE10hipError_tPvRmT2_T3_T4_T5_mT6_T7_P12ihipStream_tbENKUlT_T0_E_clISt17integral_constantIbLb0EESW_IbLb1EEEEDaSS_ST_EUlSS_E_NS1_11comp_targetILNS1_3genE4ELNS1_11target_archE910ELNS1_3gpuE8ELNS1_3repE0EEENS1_30default_config_static_selectorELNS0_4arch9wavefront6targetE0EEEvT1_,comdat
.Lfunc_end130:
	.size	_ZN7rocprim17ROCPRIM_400000_NS6detail17trampoline_kernelINS0_14default_configENS1_27scan_by_key_config_selectorIllEEZZNS1_16scan_by_key_implILNS1_25lookback_scan_determinismE0ELb0ES3_PKlN6hipcub16HIPCUB_304000_NS21ConstantInputIteratorIllEEPllNSB_3SumENSB_8EqualityElEE10hipError_tPvRmT2_T3_T4_T5_mT6_T7_P12ihipStream_tbENKUlT_T0_E_clISt17integral_constantIbLb0EESW_IbLb1EEEEDaSS_ST_EUlSS_E_NS1_11comp_targetILNS1_3genE4ELNS1_11target_archE910ELNS1_3gpuE8ELNS1_3repE0EEENS1_30default_config_static_selectorELNS0_4arch9wavefront6targetE0EEEvT1_, .Lfunc_end130-_ZN7rocprim17ROCPRIM_400000_NS6detail17trampoline_kernelINS0_14default_configENS1_27scan_by_key_config_selectorIllEEZZNS1_16scan_by_key_implILNS1_25lookback_scan_determinismE0ELb0ES3_PKlN6hipcub16HIPCUB_304000_NS21ConstantInputIteratorIllEEPllNSB_3SumENSB_8EqualityElEE10hipError_tPvRmT2_T3_T4_T5_mT6_T7_P12ihipStream_tbENKUlT_T0_E_clISt17integral_constantIbLb0EESW_IbLb1EEEEDaSS_ST_EUlSS_E_NS1_11comp_targetILNS1_3genE4ELNS1_11target_archE910ELNS1_3gpuE8ELNS1_3repE0EEENS1_30default_config_static_selectorELNS0_4arch9wavefront6targetE0EEEvT1_
                                        ; -- End function
	.set _ZN7rocprim17ROCPRIM_400000_NS6detail17trampoline_kernelINS0_14default_configENS1_27scan_by_key_config_selectorIllEEZZNS1_16scan_by_key_implILNS1_25lookback_scan_determinismE0ELb0ES3_PKlN6hipcub16HIPCUB_304000_NS21ConstantInputIteratorIllEEPllNSB_3SumENSB_8EqualityElEE10hipError_tPvRmT2_T3_T4_T5_mT6_T7_P12ihipStream_tbENKUlT_T0_E_clISt17integral_constantIbLb0EESW_IbLb1EEEEDaSS_ST_EUlSS_E_NS1_11comp_targetILNS1_3genE4ELNS1_11target_archE910ELNS1_3gpuE8ELNS1_3repE0EEENS1_30default_config_static_selectorELNS0_4arch9wavefront6targetE0EEEvT1_.num_vgpr, 0
	.set _ZN7rocprim17ROCPRIM_400000_NS6detail17trampoline_kernelINS0_14default_configENS1_27scan_by_key_config_selectorIllEEZZNS1_16scan_by_key_implILNS1_25lookback_scan_determinismE0ELb0ES3_PKlN6hipcub16HIPCUB_304000_NS21ConstantInputIteratorIllEEPllNSB_3SumENSB_8EqualityElEE10hipError_tPvRmT2_T3_T4_T5_mT6_T7_P12ihipStream_tbENKUlT_T0_E_clISt17integral_constantIbLb0EESW_IbLb1EEEEDaSS_ST_EUlSS_E_NS1_11comp_targetILNS1_3genE4ELNS1_11target_archE910ELNS1_3gpuE8ELNS1_3repE0EEENS1_30default_config_static_selectorELNS0_4arch9wavefront6targetE0EEEvT1_.num_agpr, 0
	.set _ZN7rocprim17ROCPRIM_400000_NS6detail17trampoline_kernelINS0_14default_configENS1_27scan_by_key_config_selectorIllEEZZNS1_16scan_by_key_implILNS1_25lookback_scan_determinismE0ELb0ES3_PKlN6hipcub16HIPCUB_304000_NS21ConstantInputIteratorIllEEPllNSB_3SumENSB_8EqualityElEE10hipError_tPvRmT2_T3_T4_T5_mT6_T7_P12ihipStream_tbENKUlT_T0_E_clISt17integral_constantIbLb0EESW_IbLb1EEEEDaSS_ST_EUlSS_E_NS1_11comp_targetILNS1_3genE4ELNS1_11target_archE910ELNS1_3gpuE8ELNS1_3repE0EEENS1_30default_config_static_selectorELNS0_4arch9wavefront6targetE0EEEvT1_.numbered_sgpr, 0
	.set _ZN7rocprim17ROCPRIM_400000_NS6detail17trampoline_kernelINS0_14default_configENS1_27scan_by_key_config_selectorIllEEZZNS1_16scan_by_key_implILNS1_25lookback_scan_determinismE0ELb0ES3_PKlN6hipcub16HIPCUB_304000_NS21ConstantInputIteratorIllEEPllNSB_3SumENSB_8EqualityElEE10hipError_tPvRmT2_T3_T4_T5_mT6_T7_P12ihipStream_tbENKUlT_T0_E_clISt17integral_constantIbLb0EESW_IbLb1EEEEDaSS_ST_EUlSS_E_NS1_11comp_targetILNS1_3genE4ELNS1_11target_archE910ELNS1_3gpuE8ELNS1_3repE0EEENS1_30default_config_static_selectorELNS0_4arch9wavefront6targetE0EEEvT1_.num_named_barrier, 0
	.set _ZN7rocprim17ROCPRIM_400000_NS6detail17trampoline_kernelINS0_14default_configENS1_27scan_by_key_config_selectorIllEEZZNS1_16scan_by_key_implILNS1_25lookback_scan_determinismE0ELb0ES3_PKlN6hipcub16HIPCUB_304000_NS21ConstantInputIteratorIllEEPllNSB_3SumENSB_8EqualityElEE10hipError_tPvRmT2_T3_T4_T5_mT6_T7_P12ihipStream_tbENKUlT_T0_E_clISt17integral_constantIbLb0EESW_IbLb1EEEEDaSS_ST_EUlSS_E_NS1_11comp_targetILNS1_3genE4ELNS1_11target_archE910ELNS1_3gpuE8ELNS1_3repE0EEENS1_30default_config_static_selectorELNS0_4arch9wavefront6targetE0EEEvT1_.private_seg_size, 0
	.set _ZN7rocprim17ROCPRIM_400000_NS6detail17trampoline_kernelINS0_14default_configENS1_27scan_by_key_config_selectorIllEEZZNS1_16scan_by_key_implILNS1_25lookback_scan_determinismE0ELb0ES3_PKlN6hipcub16HIPCUB_304000_NS21ConstantInputIteratorIllEEPllNSB_3SumENSB_8EqualityElEE10hipError_tPvRmT2_T3_T4_T5_mT6_T7_P12ihipStream_tbENKUlT_T0_E_clISt17integral_constantIbLb0EESW_IbLb1EEEEDaSS_ST_EUlSS_E_NS1_11comp_targetILNS1_3genE4ELNS1_11target_archE910ELNS1_3gpuE8ELNS1_3repE0EEENS1_30default_config_static_selectorELNS0_4arch9wavefront6targetE0EEEvT1_.uses_vcc, 0
	.set _ZN7rocprim17ROCPRIM_400000_NS6detail17trampoline_kernelINS0_14default_configENS1_27scan_by_key_config_selectorIllEEZZNS1_16scan_by_key_implILNS1_25lookback_scan_determinismE0ELb0ES3_PKlN6hipcub16HIPCUB_304000_NS21ConstantInputIteratorIllEEPllNSB_3SumENSB_8EqualityElEE10hipError_tPvRmT2_T3_T4_T5_mT6_T7_P12ihipStream_tbENKUlT_T0_E_clISt17integral_constantIbLb0EESW_IbLb1EEEEDaSS_ST_EUlSS_E_NS1_11comp_targetILNS1_3genE4ELNS1_11target_archE910ELNS1_3gpuE8ELNS1_3repE0EEENS1_30default_config_static_selectorELNS0_4arch9wavefront6targetE0EEEvT1_.uses_flat_scratch, 0
	.set _ZN7rocprim17ROCPRIM_400000_NS6detail17trampoline_kernelINS0_14default_configENS1_27scan_by_key_config_selectorIllEEZZNS1_16scan_by_key_implILNS1_25lookback_scan_determinismE0ELb0ES3_PKlN6hipcub16HIPCUB_304000_NS21ConstantInputIteratorIllEEPllNSB_3SumENSB_8EqualityElEE10hipError_tPvRmT2_T3_T4_T5_mT6_T7_P12ihipStream_tbENKUlT_T0_E_clISt17integral_constantIbLb0EESW_IbLb1EEEEDaSS_ST_EUlSS_E_NS1_11comp_targetILNS1_3genE4ELNS1_11target_archE910ELNS1_3gpuE8ELNS1_3repE0EEENS1_30default_config_static_selectorELNS0_4arch9wavefront6targetE0EEEvT1_.has_dyn_sized_stack, 0
	.set _ZN7rocprim17ROCPRIM_400000_NS6detail17trampoline_kernelINS0_14default_configENS1_27scan_by_key_config_selectorIllEEZZNS1_16scan_by_key_implILNS1_25lookback_scan_determinismE0ELb0ES3_PKlN6hipcub16HIPCUB_304000_NS21ConstantInputIteratorIllEEPllNSB_3SumENSB_8EqualityElEE10hipError_tPvRmT2_T3_T4_T5_mT6_T7_P12ihipStream_tbENKUlT_T0_E_clISt17integral_constantIbLb0EESW_IbLb1EEEEDaSS_ST_EUlSS_E_NS1_11comp_targetILNS1_3genE4ELNS1_11target_archE910ELNS1_3gpuE8ELNS1_3repE0EEENS1_30default_config_static_selectorELNS0_4arch9wavefront6targetE0EEEvT1_.has_recursion, 0
	.set _ZN7rocprim17ROCPRIM_400000_NS6detail17trampoline_kernelINS0_14default_configENS1_27scan_by_key_config_selectorIllEEZZNS1_16scan_by_key_implILNS1_25lookback_scan_determinismE0ELb0ES3_PKlN6hipcub16HIPCUB_304000_NS21ConstantInputIteratorIllEEPllNSB_3SumENSB_8EqualityElEE10hipError_tPvRmT2_T3_T4_T5_mT6_T7_P12ihipStream_tbENKUlT_T0_E_clISt17integral_constantIbLb0EESW_IbLb1EEEEDaSS_ST_EUlSS_E_NS1_11comp_targetILNS1_3genE4ELNS1_11target_archE910ELNS1_3gpuE8ELNS1_3repE0EEENS1_30default_config_static_selectorELNS0_4arch9wavefront6targetE0EEEvT1_.has_indirect_call, 0
	.section	.AMDGPU.csdata,"",@progbits
; Kernel info:
; codeLenInByte = 0
; TotalNumSgprs: 0
; NumVgprs: 0
; ScratchSize: 0
; MemoryBound: 0
; FloatMode: 240
; IeeeMode: 1
; LDSByteSize: 0 bytes/workgroup (compile time only)
; SGPRBlocks: 0
; VGPRBlocks: 0
; NumSGPRsForWavesPerEU: 1
; NumVGPRsForWavesPerEU: 1
; Occupancy: 16
; WaveLimiterHint : 0
; COMPUTE_PGM_RSRC2:SCRATCH_EN: 0
; COMPUTE_PGM_RSRC2:USER_SGPR: 6
; COMPUTE_PGM_RSRC2:TRAP_HANDLER: 0
; COMPUTE_PGM_RSRC2:TGID_X_EN: 1
; COMPUTE_PGM_RSRC2:TGID_Y_EN: 0
; COMPUTE_PGM_RSRC2:TGID_Z_EN: 0
; COMPUTE_PGM_RSRC2:TIDIG_COMP_CNT: 0
	.section	.text._ZN7rocprim17ROCPRIM_400000_NS6detail17trampoline_kernelINS0_14default_configENS1_27scan_by_key_config_selectorIllEEZZNS1_16scan_by_key_implILNS1_25lookback_scan_determinismE0ELb0ES3_PKlN6hipcub16HIPCUB_304000_NS21ConstantInputIteratorIllEEPllNSB_3SumENSB_8EqualityElEE10hipError_tPvRmT2_T3_T4_T5_mT6_T7_P12ihipStream_tbENKUlT_T0_E_clISt17integral_constantIbLb0EESW_IbLb1EEEEDaSS_ST_EUlSS_E_NS1_11comp_targetILNS1_3genE3ELNS1_11target_archE908ELNS1_3gpuE7ELNS1_3repE0EEENS1_30default_config_static_selectorELNS0_4arch9wavefront6targetE0EEEvT1_,"axG",@progbits,_ZN7rocprim17ROCPRIM_400000_NS6detail17trampoline_kernelINS0_14default_configENS1_27scan_by_key_config_selectorIllEEZZNS1_16scan_by_key_implILNS1_25lookback_scan_determinismE0ELb0ES3_PKlN6hipcub16HIPCUB_304000_NS21ConstantInputIteratorIllEEPllNSB_3SumENSB_8EqualityElEE10hipError_tPvRmT2_T3_T4_T5_mT6_T7_P12ihipStream_tbENKUlT_T0_E_clISt17integral_constantIbLb0EESW_IbLb1EEEEDaSS_ST_EUlSS_E_NS1_11comp_targetILNS1_3genE3ELNS1_11target_archE908ELNS1_3gpuE7ELNS1_3repE0EEENS1_30default_config_static_selectorELNS0_4arch9wavefront6targetE0EEEvT1_,comdat
	.protected	_ZN7rocprim17ROCPRIM_400000_NS6detail17trampoline_kernelINS0_14default_configENS1_27scan_by_key_config_selectorIllEEZZNS1_16scan_by_key_implILNS1_25lookback_scan_determinismE0ELb0ES3_PKlN6hipcub16HIPCUB_304000_NS21ConstantInputIteratorIllEEPllNSB_3SumENSB_8EqualityElEE10hipError_tPvRmT2_T3_T4_T5_mT6_T7_P12ihipStream_tbENKUlT_T0_E_clISt17integral_constantIbLb0EESW_IbLb1EEEEDaSS_ST_EUlSS_E_NS1_11comp_targetILNS1_3genE3ELNS1_11target_archE908ELNS1_3gpuE7ELNS1_3repE0EEENS1_30default_config_static_selectorELNS0_4arch9wavefront6targetE0EEEvT1_ ; -- Begin function _ZN7rocprim17ROCPRIM_400000_NS6detail17trampoline_kernelINS0_14default_configENS1_27scan_by_key_config_selectorIllEEZZNS1_16scan_by_key_implILNS1_25lookback_scan_determinismE0ELb0ES3_PKlN6hipcub16HIPCUB_304000_NS21ConstantInputIteratorIllEEPllNSB_3SumENSB_8EqualityElEE10hipError_tPvRmT2_T3_T4_T5_mT6_T7_P12ihipStream_tbENKUlT_T0_E_clISt17integral_constantIbLb0EESW_IbLb1EEEEDaSS_ST_EUlSS_E_NS1_11comp_targetILNS1_3genE3ELNS1_11target_archE908ELNS1_3gpuE7ELNS1_3repE0EEENS1_30default_config_static_selectorELNS0_4arch9wavefront6targetE0EEEvT1_
	.globl	_ZN7rocprim17ROCPRIM_400000_NS6detail17trampoline_kernelINS0_14default_configENS1_27scan_by_key_config_selectorIllEEZZNS1_16scan_by_key_implILNS1_25lookback_scan_determinismE0ELb0ES3_PKlN6hipcub16HIPCUB_304000_NS21ConstantInputIteratorIllEEPllNSB_3SumENSB_8EqualityElEE10hipError_tPvRmT2_T3_T4_T5_mT6_T7_P12ihipStream_tbENKUlT_T0_E_clISt17integral_constantIbLb0EESW_IbLb1EEEEDaSS_ST_EUlSS_E_NS1_11comp_targetILNS1_3genE3ELNS1_11target_archE908ELNS1_3gpuE7ELNS1_3repE0EEENS1_30default_config_static_selectorELNS0_4arch9wavefront6targetE0EEEvT1_
	.p2align	8
	.type	_ZN7rocprim17ROCPRIM_400000_NS6detail17trampoline_kernelINS0_14default_configENS1_27scan_by_key_config_selectorIllEEZZNS1_16scan_by_key_implILNS1_25lookback_scan_determinismE0ELb0ES3_PKlN6hipcub16HIPCUB_304000_NS21ConstantInputIteratorIllEEPllNSB_3SumENSB_8EqualityElEE10hipError_tPvRmT2_T3_T4_T5_mT6_T7_P12ihipStream_tbENKUlT_T0_E_clISt17integral_constantIbLb0EESW_IbLb1EEEEDaSS_ST_EUlSS_E_NS1_11comp_targetILNS1_3genE3ELNS1_11target_archE908ELNS1_3gpuE7ELNS1_3repE0EEENS1_30default_config_static_selectorELNS0_4arch9wavefront6targetE0EEEvT1_,@function
_ZN7rocprim17ROCPRIM_400000_NS6detail17trampoline_kernelINS0_14default_configENS1_27scan_by_key_config_selectorIllEEZZNS1_16scan_by_key_implILNS1_25lookback_scan_determinismE0ELb0ES3_PKlN6hipcub16HIPCUB_304000_NS21ConstantInputIteratorIllEEPllNSB_3SumENSB_8EqualityElEE10hipError_tPvRmT2_T3_T4_T5_mT6_T7_P12ihipStream_tbENKUlT_T0_E_clISt17integral_constantIbLb0EESW_IbLb1EEEEDaSS_ST_EUlSS_E_NS1_11comp_targetILNS1_3genE3ELNS1_11target_archE908ELNS1_3gpuE7ELNS1_3repE0EEENS1_30default_config_static_selectorELNS0_4arch9wavefront6targetE0EEEvT1_: ; @_ZN7rocprim17ROCPRIM_400000_NS6detail17trampoline_kernelINS0_14default_configENS1_27scan_by_key_config_selectorIllEEZZNS1_16scan_by_key_implILNS1_25lookback_scan_determinismE0ELb0ES3_PKlN6hipcub16HIPCUB_304000_NS21ConstantInputIteratorIllEEPllNSB_3SumENSB_8EqualityElEE10hipError_tPvRmT2_T3_T4_T5_mT6_T7_P12ihipStream_tbENKUlT_T0_E_clISt17integral_constantIbLb0EESW_IbLb1EEEEDaSS_ST_EUlSS_E_NS1_11comp_targetILNS1_3genE3ELNS1_11target_archE908ELNS1_3gpuE7ELNS1_3repE0EEENS1_30default_config_static_selectorELNS0_4arch9wavefront6targetE0EEEvT1_
; %bb.0:
	.section	.rodata,"a",@progbits
	.p2align	6, 0x0
	.amdhsa_kernel _ZN7rocprim17ROCPRIM_400000_NS6detail17trampoline_kernelINS0_14default_configENS1_27scan_by_key_config_selectorIllEEZZNS1_16scan_by_key_implILNS1_25lookback_scan_determinismE0ELb0ES3_PKlN6hipcub16HIPCUB_304000_NS21ConstantInputIteratorIllEEPllNSB_3SumENSB_8EqualityElEE10hipError_tPvRmT2_T3_T4_T5_mT6_T7_P12ihipStream_tbENKUlT_T0_E_clISt17integral_constantIbLb0EESW_IbLb1EEEEDaSS_ST_EUlSS_E_NS1_11comp_targetILNS1_3genE3ELNS1_11target_archE908ELNS1_3gpuE7ELNS1_3repE0EEENS1_30default_config_static_selectorELNS0_4arch9wavefront6targetE0EEEvT1_
		.amdhsa_group_segment_fixed_size 0
		.amdhsa_private_segment_fixed_size 0
		.amdhsa_kernarg_size 144
		.amdhsa_user_sgpr_count 6
		.amdhsa_user_sgpr_private_segment_buffer 1
		.amdhsa_user_sgpr_dispatch_ptr 0
		.amdhsa_user_sgpr_queue_ptr 0
		.amdhsa_user_sgpr_kernarg_segment_ptr 1
		.amdhsa_user_sgpr_dispatch_id 0
		.amdhsa_user_sgpr_flat_scratch_init 0
		.amdhsa_user_sgpr_private_segment_size 0
		.amdhsa_wavefront_size32 1
		.amdhsa_uses_dynamic_stack 0
		.amdhsa_system_sgpr_private_segment_wavefront_offset 0
		.amdhsa_system_sgpr_workgroup_id_x 1
		.amdhsa_system_sgpr_workgroup_id_y 0
		.amdhsa_system_sgpr_workgroup_id_z 0
		.amdhsa_system_sgpr_workgroup_info 0
		.amdhsa_system_vgpr_workitem_id 0
		.amdhsa_next_free_vgpr 1
		.amdhsa_next_free_sgpr 1
		.amdhsa_reserve_vcc 0
		.amdhsa_reserve_flat_scratch 0
		.amdhsa_float_round_mode_32 0
		.amdhsa_float_round_mode_16_64 0
		.amdhsa_float_denorm_mode_32 3
		.amdhsa_float_denorm_mode_16_64 3
		.amdhsa_dx10_clamp 1
		.amdhsa_ieee_mode 1
		.amdhsa_fp16_overflow 0
		.amdhsa_workgroup_processor_mode 1
		.amdhsa_memory_ordered 1
		.amdhsa_forward_progress 1
		.amdhsa_shared_vgpr_count 0
		.amdhsa_exception_fp_ieee_invalid_op 0
		.amdhsa_exception_fp_denorm_src 0
		.amdhsa_exception_fp_ieee_div_zero 0
		.amdhsa_exception_fp_ieee_overflow 0
		.amdhsa_exception_fp_ieee_underflow 0
		.amdhsa_exception_fp_ieee_inexact 0
		.amdhsa_exception_int_div_zero 0
	.end_amdhsa_kernel
	.section	.text._ZN7rocprim17ROCPRIM_400000_NS6detail17trampoline_kernelINS0_14default_configENS1_27scan_by_key_config_selectorIllEEZZNS1_16scan_by_key_implILNS1_25lookback_scan_determinismE0ELb0ES3_PKlN6hipcub16HIPCUB_304000_NS21ConstantInputIteratorIllEEPllNSB_3SumENSB_8EqualityElEE10hipError_tPvRmT2_T3_T4_T5_mT6_T7_P12ihipStream_tbENKUlT_T0_E_clISt17integral_constantIbLb0EESW_IbLb1EEEEDaSS_ST_EUlSS_E_NS1_11comp_targetILNS1_3genE3ELNS1_11target_archE908ELNS1_3gpuE7ELNS1_3repE0EEENS1_30default_config_static_selectorELNS0_4arch9wavefront6targetE0EEEvT1_,"axG",@progbits,_ZN7rocprim17ROCPRIM_400000_NS6detail17trampoline_kernelINS0_14default_configENS1_27scan_by_key_config_selectorIllEEZZNS1_16scan_by_key_implILNS1_25lookback_scan_determinismE0ELb0ES3_PKlN6hipcub16HIPCUB_304000_NS21ConstantInputIteratorIllEEPllNSB_3SumENSB_8EqualityElEE10hipError_tPvRmT2_T3_T4_T5_mT6_T7_P12ihipStream_tbENKUlT_T0_E_clISt17integral_constantIbLb0EESW_IbLb1EEEEDaSS_ST_EUlSS_E_NS1_11comp_targetILNS1_3genE3ELNS1_11target_archE908ELNS1_3gpuE7ELNS1_3repE0EEENS1_30default_config_static_selectorELNS0_4arch9wavefront6targetE0EEEvT1_,comdat
.Lfunc_end131:
	.size	_ZN7rocprim17ROCPRIM_400000_NS6detail17trampoline_kernelINS0_14default_configENS1_27scan_by_key_config_selectorIllEEZZNS1_16scan_by_key_implILNS1_25lookback_scan_determinismE0ELb0ES3_PKlN6hipcub16HIPCUB_304000_NS21ConstantInputIteratorIllEEPllNSB_3SumENSB_8EqualityElEE10hipError_tPvRmT2_T3_T4_T5_mT6_T7_P12ihipStream_tbENKUlT_T0_E_clISt17integral_constantIbLb0EESW_IbLb1EEEEDaSS_ST_EUlSS_E_NS1_11comp_targetILNS1_3genE3ELNS1_11target_archE908ELNS1_3gpuE7ELNS1_3repE0EEENS1_30default_config_static_selectorELNS0_4arch9wavefront6targetE0EEEvT1_, .Lfunc_end131-_ZN7rocprim17ROCPRIM_400000_NS6detail17trampoline_kernelINS0_14default_configENS1_27scan_by_key_config_selectorIllEEZZNS1_16scan_by_key_implILNS1_25lookback_scan_determinismE0ELb0ES3_PKlN6hipcub16HIPCUB_304000_NS21ConstantInputIteratorIllEEPllNSB_3SumENSB_8EqualityElEE10hipError_tPvRmT2_T3_T4_T5_mT6_T7_P12ihipStream_tbENKUlT_T0_E_clISt17integral_constantIbLb0EESW_IbLb1EEEEDaSS_ST_EUlSS_E_NS1_11comp_targetILNS1_3genE3ELNS1_11target_archE908ELNS1_3gpuE7ELNS1_3repE0EEENS1_30default_config_static_selectorELNS0_4arch9wavefront6targetE0EEEvT1_
                                        ; -- End function
	.set _ZN7rocprim17ROCPRIM_400000_NS6detail17trampoline_kernelINS0_14default_configENS1_27scan_by_key_config_selectorIllEEZZNS1_16scan_by_key_implILNS1_25lookback_scan_determinismE0ELb0ES3_PKlN6hipcub16HIPCUB_304000_NS21ConstantInputIteratorIllEEPllNSB_3SumENSB_8EqualityElEE10hipError_tPvRmT2_T3_T4_T5_mT6_T7_P12ihipStream_tbENKUlT_T0_E_clISt17integral_constantIbLb0EESW_IbLb1EEEEDaSS_ST_EUlSS_E_NS1_11comp_targetILNS1_3genE3ELNS1_11target_archE908ELNS1_3gpuE7ELNS1_3repE0EEENS1_30default_config_static_selectorELNS0_4arch9wavefront6targetE0EEEvT1_.num_vgpr, 0
	.set _ZN7rocprim17ROCPRIM_400000_NS6detail17trampoline_kernelINS0_14default_configENS1_27scan_by_key_config_selectorIllEEZZNS1_16scan_by_key_implILNS1_25lookback_scan_determinismE0ELb0ES3_PKlN6hipcub16HIPCUB_304000_NS21ConstantInputIteratorIllEEPllNSB_3SumENSB_8EqualityElEE10hipError_tPvRmT2_T3_T4_T5_mT6_T7_P12ihipStream_tbENKUlT_T0_E_clISt17integral_constantIbLb0EESW_IbLb1EEEEDaSS_ST_EUlSS_E_NS1_11comp_targetILNS1_3genE3ELNS1_11target_archE908ELNS1_3gpuE7ELNS1_3repE0EEENS1_30default_config_static_selectorELNS0_4arch9wavefront6targetE0EEEvT1_.num_agpr, 0
	.set _ZN7rocprim17ROCPRIM_400000_NS6detail17trampoline_kernelINS0_14default_configENS1_27scan_by_key_config_selectorIllEEZZNS1_16scan_by_key_implILNS1_25lookback_scan_determinismE0ELb0ES3_PKlN6hipcub16HIPCUB_304000_NS21ConstantInputIteratorIllEEPllNSB_3SumENSB_8EqualityElEE10hipError_tPvRmT2_T3_T4_T5_mT6_T7_P12ihipStream_tbENKUlT_T0_E_clISt17integral_constantIbLb0EESW_IbLb1EEEEDaSS_ST_EUlSS_E_NS1_11comp_targetILNS1_3genE3ELNS1_11target_archE908ELNS1_3gpuE7ELNS1_3repE0EEENS1_30default_config_static_selectorELNS0_4arch9wavefront6targetE0EEEvT1_.numbered_sgpr, 0
	.set _ZN7rocprim17ROCPRIM_400000_NS6detail17trampoline_kernelINS0_14default_configENS1_27scan_by_key_config_selectorIllEEZZNS1_16scan_by_key_implILNS1_25lookback_scan_determinismE0ELb0ES3_PKlN6hipcub16HIPCUB_304000_NS21ConstantInputIteratorIllEEPllNSB_3SumENSB_8EqualityElEE10hipError_tPvRmT2_T3_T4_T5_mT6_T7_P12ihipStream_tbENKUlT_T0_E_clISt17integral_constantIbLb0EESW_IbLb1EEEEDaSS_ST_EUlSS_E_NS1_11comp_targetILNS1_3genE3ELNS1_11target_archE908ELNS1_3gpuE7ELNS1_3repE0EEENS1_30default_config_static_selectorELNS0_4arch9wavefront6targetE0EEEvT1_.num_named_barrier, 0
	.set _ZN7rocprim17ROCPRIM_400000_NS6detail17trampoline_kernelINS0_14default_configENS1_27scan_by_key_config_selectorIllEEZZNS1_16scan_by_key_implILNS1_25lookback_scan_determinismE0ELb0ES3_PKlN6hipcub16HIPCUB_304000_NS21ConstantInputIteratorIllEEPllNSB_3SumENSB_8EqualityElEE10hipError_tPvRmT2_T3_T4_T5_mT6_T7_P12ihipStream_tbENKUlT_T0_E_clISt17integral_constantIbLb0EESW_IbLb1EEEEDaSS_ST_EUlSS_E_NS1_11comp_targetILNS1_3genE3ELNS1_11target_archE908ELNS1_3gpuE7ELNS1_3repE0EEENS1_30default_config_static_selectorELNS0_4arch9wavefront6targetE0EEEvT1_.private_seg_size, 0
	.set _ZN7rocprim17ROCPRIM_400000_NS6detail17trampoline_kernelINS0_14default_configENS1_27scan_by_key_config_selectorIllEEZZNS1_16scan_by_key_implILNS1_25lookback_scan_determinismE0ELb0ES3_PKlN6hipcub16HIPCUB_304000_NS21ConstantInputIteratorIllEEPllNSB_3SumENSB_8EqualityElEE10hipError_tPvRmT2_T3_T4_T5_mT6_T7_P12ihipStream_tbENKUlT_T0_E_clISt17integral_constantIbLb0EESW_IbLb1EEEEDaSS_ST_EUlSS_E_NS1_11comp_targetILNS1_3genE3ELNS1_11target_archE908ELNS1_3gpuE7ELNS1_3repE0EEENS1_30default_config_static_selectorELNS0_4arch9wavefront6targetE0EEEvT1_.uses_vcc, 0
	.set _ZN7rocprim17ROCPRIM_400000_NS6detail17trampoline_kernelINS0_14default_configENS1_27scan_by_key_config_selectorIllEEZZNS1_16scan_by_key_implILNS1_25lookback_scan_determinismE0ELb0ES3_PKlN6hipcub16HIPCUB_304000_NS21ConstantInputIteratorIllEEPllNSB_3SumENSB_8EqualityElEE10hipError_tPvRmT2_T3_T4_T5_mT6_T7_P12ihipStream_tbENKUlT_T0_E_clISt17integral_constantIbLb0EESW_IbLb1EEEEDaSS_ST_EUlSS_E_NS1_11comp_targetILNS1_3genE3ELNS1_11target_archE908ELNS1_3gpuE7ELNS1_3repE0EEENS1_30default_config_static_selectorELNS0_4arch9wavefront6targetE0EEEvT1_.uses_flat_scratch, 0
	.set _ZN7rocprim17ROCPRIM_400000_NS6detail17trampoline_kernelINS0_14default_configENS1_27scan_by_key_config_selectorIllEEZZNS1_16scan_by_key_implILNS1_25lookback_scan_determinismE0ELb0ES3_PKlN6hipcub16HIPCUB_304000_NS21ConstantInputIteratorIllEEPllNSB_3SumENSB_8EqualityElEE10hipError_tPvRmT2_T3_T4_T5_mT6_T7_P12ihipStream_tbENKUlT_T0_E_clISt17integral_constantIbLb0EESW_IbLb1EEEEDaSS_ST_EUlSS_E_NS1_11comp_targetILNS1_3genE3ELNS1_11target_archE908ELNS1_3gpuE7ELNS1_3repE0EEENS1_30default_config_static_selectorELNS0_4arch9wavefront6targetE0EEEvT1_.has_dyn_sized_stack, 0
	.set _ZN7rocprim17ROCPRIM_400000_NS6detail17trampoline_kernelINS0_14default_configENS1_27scan_by_key_config_selectorIllEEZZNS1_16scan_by_key_implILNS1_25lookback_scan_determinismE0ELb0ES3_PKlN6hipcub16HIPCUB_304000_NS21ConstantInputIteratorIllEEPllNSB_3SumENSB_8EqualityElEE10hipError_tPvRmT2_T3_T4_T5_mT6_T7_P12ihipStream_tbENKUlT_T0_E_clISt17integral_constantIbLb0EESW_IbLb1EEEEDaSS_ST_EUlSS_E_NS1_11comp_targetILNS1_3genE3ELNS1_11target_archE908ELNS1_3gpuE7ELNS1_3repE0EEENS1_30default_config_static_selectorELNS0_4arch9wavefront6targetE0EEEvT1_.has_recursion, 0
	.set _ZN7rocprim17ROCPRIM_400000_NS6detail17trampoline_kernelINS0_14default_configENS1_27scan_by_key_config_selectorIllEEZZNS1_16scan_by_key_implILNS1_25lookback_scan_determinismE0ELb0ES3_PKlN6hipcub16HIPCUB_304000_NS21ConstantInputIteratorIllEEPllNSB_3SumENSB_8EqualityElEE10hipError_tPvRmT2_T3_T4_T5_mT6_T7_P12ihipStream_tbENKUlT_T0_E_clISt17integral_constantIbLb0EESW_IbLb1EEEEDaSS_ST_EUlSS_E_NS1_11comp_targetILNS1_3genE3ELNS1_11target_archE908ELNS1_3gpuE7ELNS1_3repE0EEENS1_30default_config_static_selectorELNS0_4arch9wavefront6targetE0EEEvT1_.has_indirect_call, 0
	.section	.AMDGPU.csdata,"",@progbits
; Kernel info:
; codeLenInByte = 0
; TotalNumSgprs: 0
; NumVgprs: 0
; ScratchSize: 0
; MemoryBound: 0
; FloatMode: 240
; IeeeMode: 1
; LDSByteSize: 0 bytes/workgroup (compile time only)
; SGPRBlocks: 0
; VGPRBlocks: 0
; NumSGPRsForWavesPerEU: 1
; NumVGPRsForWavesPerEU: 1
; Occupancy: 16
; WaveLimiterHint : 0
; COMPUTE_PGM_RSRC2:SCRATCH_EN: 0
; COMPUTE_PGM_RSRC2:USER_SGPR: 6
; COMPUTE_PGM_RSRC2:TRAP_HANDLER: 0
; COMPUTE_PGM_RSRC2:TGID_X_EN: 1
; COMPUTE_PGM_RSRC2:TGID_Y_EN: 0
; COMPUTE_PGM_RSRC2:TGID_Z_EN: 0
; COMPUTE_PGM_RSRC2:TIDIG_COMP_CNT: 0
	.section	.text._ZN7rocprim17ROCPRIM_400000_NS6detail17trampoline_kernelINS0_14default_configENS1_27scan_by_key_config_selectorIllEEZZNS1_16scan_by_key_implILNS1_25lookback_scan_determinismE0ELb0ES3_PKlN6hipcub16HIPCUB_304000_NS21ConstantInputIteratorIllEEPllNSB_3SumENSB_8EqualityElEE10hipError_tPvRmT2_T3_T4_T5_mT6_T7_P12ihipStream_tbENKUlT_T0_E_clISt17integral_constantIbLb0EESW_IbLb1EEEEDaSS_ST_EUlSS_E_NS1_11comp_targetILNS1_3genE2ELNS1_11target_archE906ELNS1_3gpuE6ELNS1_3repE0EEENS1_30default_config_static_selectorELNS0_4arch9wavefront6targetE0EEEvT1_,"axG",@progbits,_ZN7rocprim17ROCPRIM_400000_NS6detail17trampoline_kernelINS0_14default_configENS1_27scan_by_key_config_selectorIllEEZZNS1_16scan_by_key_implILNS1_25lookback_scan_determinismE0ELb0ES3_PKlN6hipcub16HIPCUB_304000_NS21ConstantInputIteratorIllEEPllNSB_3SumENSB_8EqualityElEE10hipError_tPvRmT2_T3_T4_T5_mT6_T7_P12ihipStream_tbENKUlT_T0_E_clISt17integral_constantIbLb0EESW_IbLb1EEEEDaSS_ST_EUlSS_E_NS1_11comp_targetILNS1_3genE2ELNS1_11target_archE906ELNS1_3gpuE6ELNS1_3repE0EEENS1_30default_config_static_selectorELNS0_4arch9wavefront6targetE0EEEvT1_,comdat
	.protected	_ZN7rocprim17ROCPRIM_400000_NS6detail17trampoline_kernelINS0_14default_configENS1_27scan_by_key_config_selectorIllEEZZNS1_16scan_by_key_implILNS1_25lookback_scan_determinismE0ELb0ES3_PKlN6hipcub16HIPCUB_304000_NS21ConstantInputIteratorIllEEPllNSB_3SumENSB_8EqualityElEE10hipError_tPvRmT2_T3_T4_T5_mT6_T7_P12ihipStream_tbENKUlT_T0_E_clISt17integral_constantIbLb0EESW_IbLb1EEEEDaSS_ST_EUlSS_E_NS1_11comp_targetILNS1_3genE2ELNS1_11target_archE906ELNS1_3gpuE6ELNS1_3repE0EEENS1_30default_config_static_selectorELNS0_4arch9wavefront6targetE0EEEvT1_ ; -- Begin function _ZN7rocprim17ROCPRIM_400000_NS6detail17trampoline_kernelINS0_14default_configENS1_27scan_by_key_config_selectorIllEEZZNS1_16scan_by_key_implILNS1_25lookback_scan_determinismE0ELb0ES3_PKlN6hipcub16HIPCUB_304000_NS21ConstantInputIteratorIllEEPllNSB_3SumENSB_8EqualityElEE10hipError_tPvRmT2_T3_T4_T5_mT6_T7_P12ihipStream_tbENKUlT_T0_E_clISt17integral_constantIbLb0EESW_IbLb1EEEEDaSS_ST_EUlSS_E_NS1_11comp_targetILNS1_3genE2ELNS1_11target_archE906ELNS1_3gpuE6ELNS1_3repE0EEENS1_30default_config_static_selectorELNS0_4arch9wavefront6targetE0EEEvT1_
	.globl	_ZN7rocprim17ROCPRIM_400000_NS6detail17trampoline_kernelINS0_14default_configENS1_27scan_by_key_config_selectorIllEEZZNS1_16scan_by_key_implILNS1_25lookback_scan_determinismE0ELb0ES3_PKlN6hipcub16HIPCUB_304000_NS21ConstantInputIteratorIllEEPllNSB_3SumENSB_8EqualityElEE10hipError_tPvRmT2_T3_T4_T5_mT6_T7_P12ihipStream_tbENKUlT_T0_E_clISt17integral_constantIbLb0EESW_IbLb1EEEEDaSS_ST_EUlSS_E_NS1_11comp_targetILNS1_3genE2ELNS1_11target_archE906ELNS1_3gpuE6ELNS1_3repE0EEENS1_30default_config_static_selectorELNS0_4arch9wavefront6targetE0EEEvT1_
	.p2align	8
	.type	_ZN7rocprim17ROCPRIM_400000_NS6detail17trampoline_kernelINS0_14default_configENS1_27scan_by_key_config_selectorIllEEZZNS1_16scan_by_key_implILNS1_25lookback_scan_determinismE0ELb0ES3_PKlN6hipcub16HIPCUB_304000_NS21ConstantInputIteratorIllEEPllNSB_3SumENSB_8EqualityElEE10hipError_tPvRmT2_T3_T4_T5_mT6_T7_P12ihipStream_tbENKUlT_T0_E_clISt17integral_constantIbLb0EESW_IbLb1EEEEDaSS_ST_EUlSS_E_NS1_11comp_targetILNS1_3genE2ELNS1_11target_archE906ELNS1_3gpuE6ELNS1_3repE0EEENS1_30default_config_static_selectorELNS0_4arch9wavefront6targetE0EEEvT1_,@function
_ZN7rocprim17ROCPRIM_400000_NS6detail17trampoline_kernelINS0_14default_configENS1_27scan_by_key_config_selectorIllEEZZNS1_16scan_by_key_implILNS1_25lookback_scan_determinismE0ELb0ES3_PKlN6hipcub16HIPCUB_304000_NS21ConstantInputIteratorIllEEPllNSB_3SumENSB_8EqualityElEE10hipError_tPvRmT2_T3_T4_T5_mT6_T7_P12ihipStream_tbENKUlT_T0_E_clISt17integral_constantIbLb0EESW_IbLb1EEEEDaSS_ST_EUlSS_E_NS1_11comp_targetILNS1_3genE2ELNS1_11target_archE906ELNS1_3gpuE6ELNS1_3repE0EEENS1_30default_config_static_selectorELNS0_4arch9wavefront6targetE0EEEvT1_: ; @_ZN7rocprim17ROCPRIM_400000_NS6detail17trampoline_kernelINS0_14default_configENS1_27scan_by_key_config_selectorIllEEZZNS1_16scan_by_key_implILNS1_25lookback_scan_determinismE0ELb0ES3_PKlN6hipcub16HIPCUB_304000_NS21ConstantInputIteratorIllEEPllNSB_3SumENSB_8EqualityElEE10hipError_tPvRmT2_T3_T4_T5_mT6_T7_P12ihipStream_tbENKUlT_T0_E_clISt17integral_constantIbLb0EESW_IbLb1EEEEDaSS_ST_EUlSS_E_NS1_11comp_targetILNS1_3genE2ELNS1_11target_archE906ELNS1_3gpuE6ELNS1_3repE0EEENS1_30default_config_static_selectorELNS0_4arch9wavefront6targetE0EEEvT1_
; %bb.0:
	.section	.rodata,"a",@progbits
	.p2align	6, 0x0
	.amdhsa_kernel _ZN7rocprim17ROCPRIM_400000_NS6detail17trampoline_kernelINS0_14default_configENS1_27scan_by_key_config_selectorIllEEZZNS1_16scan_by_key_implILNS1_25lookback_scan_determinismE0ELb0ES3_PKlN6hipcub16HIPCUB_304000_NS21ConstantInputIteratorIllEEPllNSB_3SumENSB_8EqualityElEE10hipError_tPvRmT2_T3_T4_T5_mT6_T7_P12ihipStream_tbENKUlT_T0_E_clISt17integral_constantIbLb0EESW_IbLb1EEEEDaSS_ST_EUlSS_E_NS1_11comp_targetILNS1_3genE2ELNS1_11target_archE906ELNS1_3gpuE6ELNS1_3repE0EEENS1_30default_config_static_selectorELNS0_4arch9wavefront6targetE0EEEvT1_
		.amdhsa_group_segment_fixed_size 0
		.amdhsa_private_segment_fixed_size 0
		.amdhsa_kernarg_size 144
		.amdhsa_user_sgpr_count 6
		.amdhsa_user_sgpr_private_segment_buffer 1
		.amdhsa_user_sgpr_dispatch_ptr 0
		.amdhsa_user_sgpr_queue_ptr 0
		.amdhsa_user_sgpr_kernarg_segment_ptr 1
		.amdhsa_user_sgpr_dispatch_id 0
		.amdhsa_user_sgpr_flat_scratch_init 0
		.amdhsa_user_sgpr_private_segment_size 0
		.amdhsa_wavefront_size32 1
		.amdhsa_uses_dynamic_stack 0
		.amdhsa_system_sgpr_private_segment_wavefront_offset 0
		.amdhsa_system_sgpr_workgroup_id_x 1
		.amdhsa_system_sgpr_workgroup_id_y 0
		.amdhsa_system_sgpr_workgroup_id_z 0
		.amdhsa_system_sgpr_workgroup_info 0
		.amdhsa_system_vgpr_workitem_id 0
		.amdhsa_next_free_vgpr 1
		.amdhsa_next_free_sgpr 1
		.amdhsa_reserve_vcc 0
		.amdhsa_reserve_flat_scratch 0
		.amdhsa_float_round_mode_32 0
		.amdhsa_float_round_mode_16_64 0
		.amdhsa_float_denorm_mode_32 3
		.amdhsa_float_denorm_mode_16_64 3
		.amdhsa_dx10_clamp 1
		.amdhsa_ieee_mode 1
		.amdhsa_fp16_overflow 0
		.amdhsa_workgroup_processor_mode 1
		.amdhsa_memory_ordered 1
		.amdhsa_forward_progress 1
		.amdhsa_shared_vgpr_count 0
		.amdhsa_exception_fp_ieee_invalid_op 0
		.amdhsa_exception_fp_denorm_src 0
		.amdhsa_exception_fp_ieee_div_zero 0
		.amdhsa_exception_fp_ieee_overflow 0
		.amdhsa_exception_fp_ieee_underflow 0
		.amdhsa_exception_fp_ieee_inexact 0
		.amdhsa_exception_int_div_zero 0
	.end_amdhsa_kernel
	.section	.text._ZN7rocprim17ROCPRIM_400000_NS6detail17trampoline_kernelINS0_14default_configENS1_27scan_by_key_config_selectorIllEEZZNS1_16scan_by_key_implILNS1_25lookback_scan_determinismE0ELb0ES3_PKlN6hipcub16HIPCUB_304000_NS21ConstantInputIteratorIllEEPllNSB_3SumENSB_8EqualityElEE10hipError_tPvRmT2_T3_T4_T5_mT6_T7_P12ihipStream_tbENKUlT_T0_E_clISt17integral_constantIbLb0EESW_IbLb1EEEEDaSS_ST_EUlSS_E_NS1_11comp_targetILNS1_3genE2ELNS1_11target_archE906ELNS1_3gpuE6ELNS1_3repE0EEENS1_30default_config_static_selectorELNS0_4arch9wavefront6targetE0EEEvT1_,"axG",@progbits,_ZN7rocprim17ROCPRIM_400000_NS6detail17trampoline_kernelINS0_14default_configENS1_27scan_by_key_config_selectorIllEEZZNS1_16scan_by_key_implILNS1_25lookback_scan_determinismE0ELb0ES3_PKlN6hipcub16HIPCUB_304000_NS21ConstantInputIteratorIllEEPllNSB_3SumENSB_8EqualityElEE10hipError_tPvRmT2_T3_T4_T5_mT6_T7_P12ihipStream_tbENKUlT_T0_E_clISt17integral_constantIbLb0EESW_IbLb1EEEEDaSS_ST_EUlSS_E_NS1_11comp_targetILNS1_3genE2ELNS1_11target_archE906ELNS1_3gpuE6ELNS1_3repE0EEENS1_30default_config_static_selectorELNS0_4arch9wavefront6targetE0EEEvT1_,comdat
.Lfunc_end132:
	.size	_ZN7rocprim17ROCPRIM_400000_NS6detail17trampoline_kernelINS0_14default_configENS1_27scan_by_key_config_selectorIllEEZZNS1_16scan_by_key_implILNS1_25lookback_scan_determinismE0ELb0ES3_PKlN6hipcub16HIPCUB_304000_NS21ConstantInputIteratorIllEEPllNSB_3SumENSB_8EqualityElEE10hipError_tPvRmT2_T3_T4_T5_mT6_T7_P12ihipStream_tbENKUlT_T0_E_clISt17integral_constantIbLb0EESW_IbLb1EEEEDaSS_ST_EUlSS_E_NS1_11comp_targetILNS1_3genE2ELNS1_11target_archE906ELNS1_3gpuE6ELNS1_3repE0EEENS1_30default_config_static_selectorELNS0_4arch9wavefront6targetE0EEEvT1_, .Lfunc_end132-_ZN7rocprim17ROCPRIM_400000_NS6detail17trampoline_kernelINS0_14default_configENS1_27scan_by_key_config_selectorIllEEZZNS1_16scan_by_key_implILNS1_25lookback_scan_determinismE0ELb0ES3_PKlN6hipcub16HIPCUB_304000_NS21ConstantInputIteratorIllEEPllNSB_3SumENSB_8EqualityElEE10hipError_tPvRmT2_T3_T4_T5_mT6_T7_P12ihipStream_tbENKUlT_T0_E_clISt17integral_constantIbLb0EESW_IbLb1EEEEDaSS_ST_EUlSS_E_NS1_11comp_targetILNS1_3genE2ELNS1_11target_archE906ELNS1_3gpuE6ELNS1_3repE0EEENS1_30default_config_static_selectorELNS0_4arch9wavefront6targetE0EEEvT1_
                                        ; -- End function
	.set _ZN7rocprim17ROCPRIM_400000_NS6detail17trampoline_kernelINS0_14default_configENS1_27scan_by_key_config_selectorIllEEZZNS1_16scan_by_key_implILNS1_25lookback_scan_determinismE0ELb0ES3_PKlN6hipcub16HIPCUB_304000_NS21ConstantInputIteratorIllEEPllNSB_3SumENSB_8EqualityElEE10hipError_tPvRmT2_T3_T4_T5_mT6_T7_P12ihipStream_tbENKUlT_T0_E_clISt17integral_constantIbLb0EESW_IbLb1EEEEDaSS_ST_EUlSS_E_NS1_11comp_targetILNS1_3genE2ELNS1_11target_archE906ELNS1_3gpuE6ELNS1_3repE0EEENS1_30default_config_static_selectorELNS0_4arch9wavefront6targetE0EEEvT1_.num_vgpr, 0
	.set _ZN7rocprim17ROCPRIM_400000_NS6detail17trampoline_kernelINS0_14default_configENS1_27scan_by_key_config_selectorIllEEZZNS1_16scan_by_key_implILNS1_25lookback_scan_determinismE0ELb0ES3_PKlN6hipcub16HIPCUB_304000_NS21ConstantInputIteratorIllEEPllNSB_3SumENSB_8EqualityElEE10hipError_tPvRmT2_T3_T4_T5_mT6_T7_P12ihipStream_tbENKUlT_T0_E_clISt17integral_constantIbLb0EESW_IbLb1EEEEDaSS_ST_EUlSS_E_NS1_11comp_targetILNS1_3genE2ELNS1_11target_archE906ELNS1_3gpuE6ELNS1_3repE0EEENS1_30default_config_static_selectorELNS0_4arch9wavefront6targetE0EEEvT1_.num_agpr, 0
	.set _ZN7rocprim17ROCPRIM_400000_NS6detail17trampoline_kernelINS0_14default_configENS1_27scan_by_key_config_selectorIllEEZZNS1_16scan_by_key_implILNS1_25lookback_scan_determinismE0ELb0ES3_PKlN6hipcub16HIPCUB_304000_NS21ConstantInputIteratorIllEEPllNSB_3SumENSB_8EqualityElEE10hipError_tPvRmT2_T3_T4_T5_mT6_T7_P12ihipStream_tbENKUlT_T0_E_clISt17integral_constantIbLb0EESW_IbLb1EEEEDaSS_ST_EUlSS_E_NS1_11comp_targetILNS1_3genE2ELNS1_11target_archE906ELNS1_3gpuE6ELNS1_3repE0EEENS1_30default_config_static_selectorELNS0_4arch9wavefront6targetE0EEEvT1_.numbered_sgpr, 0
	.set _ZN7rocprim17ROCPRIM_400000_NS6detail17trampoline_kernelINS0_14default_configENS1_27scan_by_key_config_selectorIllEEZZNS1_16scan_by_key_implILNS1_25lookback_scan_determinismE0ELb0ES3_PKlN6hipcub16HIPCUB_304000_NS21ConstantInputIteratorIllEEPllNSB_3SumENSB_8EqualityElEE10hipError_tPvRmT2_T3_T4_T5_mT6_T7_P12ihipStream_tbENKUlT_T0_E_clISt17integral_constantIbLb0EESW_IbLb1EEEEDaSS_ST_EUlSS_E_NS1_11comp_targetILNS1_3genE2ELNS1_11target_archE906ELNS1_3gpuE6ELNS1_3repE0EEENS1_30default_config_static_selectorELNS0_4arch9wavefront6targetE0EEEvT1_.num_named_barrier, 0
	.set _ZN7rocprim17ROCPRIM_400000_NS6detail17trampoline_kernelINS0_14default_configENS1_27scan_by_key_config_selectorIllEEZZNS1_16scan_by_key_implILNS1_25lookback_scan_determinismE0ELb0ES3_PKlN6hipcub16HIPCUB_304000_NS21ConstantInputIteratorIllEEPllNSB_3SumENSB_8EqualityElEE10hipError_tPvRmT2_T3_T4_T5_mT6_T7_P12ihipStream_tbENKUlT_T0_E_clISt17integral_constantIbLb0EESW_IbLb1EEEEDaSS_ST_EUlSS_E_NS1_11comp_targetILNS1_3genE2ELNS1_11target_archE906ELNS1_3gpuE6ELNS1_3repE0EEENS1_30default_config_static_selectorELNS0_4arch9wavefront6targetE0EEEvT1_.private_seg_size, 0
	.set _ZN7rocprim17ROCPRIM_400000_NS6detail17trampoline_kernelINS0_14default_configENS1_27scan_by_key_config_selectorIllEEZZNS1_16scan_by_key_implILNS1_25lookback_scan_determinismE0ELb0ES3_PKlN6hipcub16HIPCUB_304000_NS21ConstantInputIteratorIllEEPllNSB_3SumENSB_8EqualityElEE10hipError_tPvRmT2_T3_T4_T5_mT6_T7_P12ihipStream_tbENKUlT_T0_E_clISt17integral_constantIbLb0EESW_IbLb1EEEEDaSS_ST_EUlSS_E_NS1_11comp_targetILNS1_3genE2ELNS1_11target_archE906ELNS1_3gpuE6ELNS1_3repE0EEENS1_30default_config_static_selectorELNS0_4arch9wavefront6targetE0EEEvT1_.uses_vcc, 0
	.set _ZN7rocprim17ROCPRIM_400000_NS6detail17trampoline_kernelINS0_14default_configENS1_27scan_by_key_config_selectorIllEEZZNS1_16scan_by_key_implILNS1_25lookback_scan_determinismE0ELb0ES3_PKlN6hipcub16HIPCUB_304000_NS21ConstantInputIteratorIllEEPllNSB_3SumENSB_8EqualityElEE10hipError_tPvRmT2_T3_T4_T5_mT6_T7_P12ihipStream_tbENKUlT_T0_E_clISt17integral_constantIbLb0EESW_IbLb1EEEEDaSS_ST_EUlSS_E_NS1_11comp_targetILNS1_3genE2ELNS1_11target_archE906ELNS1_3gpuE6ELNS1_3repE0EEENS1_30default_config_static_selectorELNS0_4arch9wavefront6targetE0EEEvT1_.uses_flat_scratch, 0
	.set _ZN7rocprim17ROCPRIM_400000_NS6detail17trampoline_kernelINS0_14default_configENS1_27scan_by_key_config_selectorIllEEZZNS1_16scan_by_key_implILNS1_25lookback_scan_determinismE0ELb0ES3_PKlN6hipcub16HIPCUB_304000_NS21ConstantInputIteratorIllEEPllNSB_3SumENSB_8EqualityElEE10hipError_tPvRmT2_T3_T4_T5_mT6_T7_P12ihipStream_tbENKUlT_T0_E_clISt17integral_constantIbLb0EESW_IbLb1EEEEDaSS_ST_EUlSS_E_NS1_11comp_targetILNS1_3genE2ELNS1_11target_archE906ELNS1_3gpuE6ELNS1_3repE0EEENS1_30default_config_static_selectorELNS0_4arch9wavefront6targetE0EEEvT1_.has_dyn_sized_stack, 0
	.set _ZN7rocprim17ROCPRIM_400000_NS6detail17trampoline_kernelINS0_14default_configENS1_27scan_by_key_config_selectorIllEEZZNS1_16scan_by_key_implILNS1_25lookback_scan_determinismE0ELb0ES3_PKlN6hipcub16HIPCUB_304000_NS21ConstantInputIteratorIllEEPllNSB_3SumENSB_8EqualityElEE10hipError_tPvRmT2_T3_T4_T5_mT6_T7_P12ihipStream_tbENKUlT_T0_E_clISt17integral_constantIbLb0EESW_IbLb1EEEEDaSS_ST_EUlSS_E_NS1_11comp_targetILNS1_3genE2ELNS1_11target_archE906ELNS1_3gpuE6ELNS1_3repE0EEENS1_30default_config_static_selectorELNS0_4arch9wavefront6targetE0EEEvT1_.has_recursion, 0
	.set _ZN7rocprim17ROCPRIM_400000_NS6detail17trampoline_kernelINS0_14default_configENS1_27scan_by_key_config_selectorIllEEZZNS1_16scan_by_key_implILNS1_25lookback_scan_determinismE0ELb0ES3_PKlN6hipcub16HIPCUB_304000_NS21ConstantInputIteratorIllEEPllNSB_3SumENSB_8EqualityElEE10hipError_tPvRmT2_T3_T4_T5_mT6_T7_P12ihipStream_tbENKUlT_T0_E_clISt17integral_constantIbLb0EESW_IbLb1EEEEDaSS_ST_EUlSS_E_NS1_11comp_targetILNS1_3genE2ELNS1_11target_archE906ELNS1_3gpuE6ELNS1_3repE0EEENS1_30default_config_static_selectorELNS0_4arch9wavefront6targetE0EEEvT1_.has_indirect_call, 0
	.section	.AMDGPU.csdata,"",@progbits
; Kernel info:
; codeLenInByte = 0
; TotalNumSgprs: 0
; NumVgprs: 0
; ScratchSize: 0
; MemoryBound: 0
; FloatMode: 240
; IeeeMode: 1
; LDSByteSize: 0 bytes/workgroup (compile time only)
; SGPRBlocks: 0
; VGPRBlocks: 0
; NumSGPRsForWavesPerEU: 1
; NumVGPRsForWavesPerEU: 1
; Occupancy: 16
; WaveLimiterHint : 0
; COMPUTE_PGM_RSRC2:SCRATCH_EN: 0
; COMPUTE_PGM_RSRC2:USER_SGPR: 6
; COMPUTE_PGM_RSRC2:TRAP_HANDLER: 0
; COMPUTE_PGM_RSRC2:TGID_X_EN: 1
; COMPUTE_PGM_RSRC2:TGID_Y_EN: 0
; COMPUTE_PGM_RSRC2:TGID_Z_EN: 0
; COMPUTE_PGM_RSRC2:TIDIG_COMP_CNT: 0
	.section	.text._ZN7rocprim17ROCPRIM_400000_NS6detail17trampoline_kernelINS0_14default_configENS1_27scan_by_key_config_selectorIllEEZZNS1_16scan_by_key_implILNS1_25lookback_scan_determinismE0ELb0ES3_PKlN6hipcub16HIPCUB_304000_NS21ConstantInputIteratorIllEEPllNSB_3SumENSB_8EqualityElEE10hipError_tPvRmT2_T3_T4_T5_mT6_T7_P12ihipStream_tbENKUlT_T0_E_clISt17integral_constantIbLb0EESW_IbLb1EEEEDaSS_ST_EUlSS_E_NS1_11comp_targetILNS1_3genE10ELNS1_11target_archE1200ELNS1_3gpuE4ELNS1_3repE0EEENS1_30default_config_static_selectorELNS0_4arch9wavefront6targetE0EEEvT1_,"axG",@progbits,_ZN7rocprim17ROCPRIM_400000_NS6detail17trampoline_kernelINS0_14default_configENS1_27scan_by_key_config_selectorIllEEZZNS1_16scan_by_key_implILNS1_25lookback_scan_determinismE0ELb0ES3_PKlN6hipcub16HIPCUB_304000_NS21ConstantInputIteratorIllEEPllNSB_3SumENSB_8EqualityElEE10hipError_tPvRmT2_T3_T4_T5_mT6_T7_P12ihipStream_tbENKUlT_T0_E_clISt17integral_constantIbLb0EESW_IbLb1EEEEDaSS_ST_EUlSS_E_NS1_11comp_targetILNS1_3genE10ELNS1_11target_archE1200ELNS1_3gpuE4ELNS1_3repE0EEENS1_30default_config_static_selectorELNS0_4arch9wavefront6targetE0EEEvT1_,comdat
	.protected	_ZN7rocprim17ROCPRIM_400000_NS6detail17trampoline_kernelINS0_14default_configENS1_27scan_by_key_config_selectorIllEEZZNS1_16scan_by_key_implILNS1_25lookback_scan_determinismE0ELb0ES3_PKlN6hipcub16HIPCUB_304000_NS21ConstantInputIteratorIllEEPllNSB_3SumENSB_8EqualityElEE10hipError_tPvRmT2_T3_T4_T5_mT6_T7_P12ihipStream_tbENKUlT_T0_E_clISt17integral_constantIbLb0EESW_IbLb1EEEEDaSS_ST_EUlSS_E_NS1_11comp_targetILNS1_3genE10ELNS1_11target_archE1200ELNS1_3gpuE4ELNS1_3repE0EEENS1_30default_config_static_selectorELNS0_4arch9wavefront6targetE0EEEvT1_ ; -- Begin function _ZN7rocprim17ROCPRIM_400000_NS6detail17trampoline_kernelINS0_14default_configENS1_27scan_by_key_config_selectorIllEEZZNS1_16scan_by_key_implILNS1_25lookback_scan_determinismE0ELb0ES3_PKlN6hipcub16HIPCUB_304000_NS21ConstantInputIteratorIllEEPllNSB_3SumENSB_8EqualityElEE10hipError_tPvRmT2_T3_T4_T5_mT6_T7_P12ihipStream_tbENKUlT_T0_E_clISt17integral_constantIbLb0EESW_IbLb1EEEEDaSS_ST_EUlSS_E_NS1_11comp_targetILNS1_3genE10ELNS1_11target_archE1200ELNS1_3gpuE4ELNS1_3repE0EEENS1_30default_config_static_selectorELNS0_4arch9wavefront6targetE0EEEvT1_
	.globl	_ZN7rocprim17ROCPRIM_400000_NS6detail17trampoline_kernelINS0_14default_configENS1_27scan_by_key_config_selectorIllEEZZNS1_16scan_by_key_implILNS1_25lookback_scan_determinismE0ELb0ES3_PKlN6hipcub16HIPCUB_304000_NS21ConstantInputIteratorIllEEPllNSB_3SumENSB_8EqualityElEE10hipError_tPvRmT2_T3_T4_T5_mT6_T7_P12ihipStream_tbENKUlT_T0_E_clISt17integral_constantIbLb0EESW_IbLb1EEEEDaSS_ST_EUlSS_E_NS1_11comp_targetILNS1_3genE10ELNS1_11target_archE1200ELNS1_3gpuE4ELNS1_3repE0EEENS1_30default_config_static_selectorELNS0_4arch9wavefront6targetE0EEEvT1_
	.p2align	8
	.type	_ZN7rocprim17ROCPRIM_400000_NS6detail17trampoline_kernelINS0_14default_configENS1_27scan_by_key_config_selectorIllEEZZNS1_16scan_by_key_implILNS1_25lookback_scan_determinismE0ELb0ES3_PKlN6hipcub16HIPCUB_304000_NS21ConstantInputIteratorIllEEPllNSB_3SumENSB_8EqualityElEE10hipError_tPvRmT2_T3_T4_T5_mT6_T7_P12ihipStream_tbENKUlT_T0_E_clISt17integral_constantIbLb0EESW_IbLb1EEEEDaSS_ST_EUlSS_E_NS1_11comp_targetILNS1_3genE10ELNS1_11target_archE1200ELNS1_3gpuE4ELNS1_3repE0EEENS1_30default_config_static_selectorELNS0_4arch9wavefront6targetE0EEEvT1_,@function
_ZN7rocprim17ROCPRIM_400000_NS6detail17trampoline_kernelINS0_14default_configENS1_27scan_by_key_config_selectorIllEEZZNS1_16scan_by_key_implILNS1_25lookback_scan_determinismE0ELb0ES3_PKlN6hipcub16HIPCUB_304000_NS21ConstantInputIteratorIllEEPllNSB_3SumENSB_8EqualityElEE10hipError_tPvRmT2_T3_T4_T5_mT6_T7_P12ihipStream_tbENKUlT_T0_E_clISt17integral_constantIbLb0EESW_IbLb1EEEEDaSS_ST_EUlSS_E_NS1_11comp_targetILNS1_3genE10ELNS1_11target_archE1200ELNS1_3gpuE4ELNS1_3repE0EEENS1_30default_config_static_selectorELNS0_4arch9wavefront6targetE0EEEvT1_: ; @_ZN7rocprim17ROCPRIM_400000_NS6detail17trampoline_kernelINS0_14default_configENS1_27scan_by_key_config_selectorIllEEZZNS1_16scan_by_key_implILNS1_25lookback_scan_determinismE0ELb0ES3_PKlN6hipcub16HIPCUB_304000_NS21ConstantInputIteratorIllEEPllNSB_3SumENSB_8EqualityElEE10hipError_tPvRmT2_T3_T4_T5_mT6_T7_P12ihipStream_tbENKUlT_T0_E_clISt17integral_constantIbLb0EESW_IbLb1EEEEDaSS_ST_EUlSS_E_NS1_11comp_targetILNS1_3genE10ELNS1_11target_archE1200ELNS1_3gpuE4ELNS1_3repE0EEENS1_30default_config_static_selectorELNS0_4arch9wavefront6targetE0EEEvT1_
; %bb.0:
	.section	.rodata,"a",@progbits
	.p2align	6, 0x0
	.amdhsa_kernel _ZN7rocprim17ROCPRIM_400000_NS6detail17trampoline_kernelINS0_14default_configENS1_27scan_by_key_config_selectorIllEEZZNS1_16scan_by_key_implILNS1_25lookback_scan_determinismE0ELb0ES3_PKlN6hipcub16HIPCUB_304000_NS21ConstantInputIteratorIllEEPllNSB_3SumENSB_8EqualityElEE10hipError_tPvRmT2_T3_T4_T5_mT6_T7_P12ihipStream_tbENKUlT_T0_E_clISt17integral_constantIbLb0EESW_IbLb1EEEEDaSS_ST_EUlSS_E_NS1_11comp_targetILNS1_3genE10ELNS1_11target_archE1200ELNS1_3gpuE4ELNS1_3repE0EEENS1_30default_config_static_selectorELNS0_4arch9wavefront6targetE0EEEvT1_
		.amdhsa_group_segment_fixed_size 0
		.amdhsa_private_segment_fixed_size 0
		.amdhsa_kernarg_size 144
		.amdhsa_user_sgpr_count 6
		.amdhsa_user_sgpr_private_segment_buffer 1
		.amdhsa_user_sgpr_dispatch_ptr 0
		.amdhsa_user_sgpr_queue_ptr 0
		.amdhsa_user_sgpr_kernarg_segment_ptr 1
		.amdhsa_user_sgpr_dispatch_id 0
		.amdhsa_user_sgpr_flat_scratch_init 0
		.amdhsa_user_sgpr_private_segment_size 0
		.amdhsa_wavefront_size32 1
		.amdhsa_uses_dynamic_stack 0
		.amdhsa_system_sgpr_private_segment_wavefront_offset 0
		.amdhsa_system_sgpr_workgroup_id_x 1
		.amdhsa_system_sgpr_workgroup_id_y 0
		.amdhsa_system_sgpr_workgroup_id_z 0
		.amdhsa_system_sgpr_workgroup_info 0
		.amdhsa_system_vgpr_workitem_id 0
		.amdhsa_next_free_vgpr 1
		.amdhsa_next_free_sgpr 1
		.amdhsa_reserve_vcc 0
		.amdhsa_reserve_flat_scratch 0
		.amdhsa_float_round_mode_32 0
		.amdhsa_float_round_mode_16_64 0
		.amdhsa_float_denorm_mode_32 3
		.amdhsa_float_denorm_mode_16_64 3
		.amdhsa_dx10_clamp 1
		.amdhsa_ieee_mode 1
		.amdhsa_fp16_overflow 0
		.amdhsa_workgroup_processor_mode 1
		.amdhsa_memory_ordered 1
		.amdhsa_forward_progress 1
		.amdhsa_shared_vgpr_count 0
		.amdhsa_exception_fp_ieee_invalid_op 0
		.amdhsa_exception_fp_denorm_src 0
		.amdhsa_exception_fp_ieee_div_zero 0
		.amdhsa_exception_fp_ieee_overflow 0
		.amdhsa_exception_fp_ieee_underflow 0
		.amdhsa_exception_fp_ieee_inexact 0
		.amdhsa_exception_int_div_zero 0
	.end_amdhsa_kernel
	.section	.text._ZN7rocprim17ROCPRIM_400000_NS6detail17trampoline_kernelINS0_14default_configENS1_27scan_by_key_config_selectorIllEEZZNS1_16scan_by_key_implILNS1_25lookback_scan_determinismE0ELb0ES3_PKlN6hipcub16HIPCUB_304000_NS21ConstantInputIteratorIllEEPllNSB_3SumENSB_8EqualityElEE10hipError_tPvRmT2_T3_T4_T5_mT6_T7_P12ihipStream_tbENKUlT_T0_E_clISt17integral_constantIbLb0EESW_IbLb1EEEEDaSS_ST_EUlSS_E_NS1_11comp_targetILNS1_3genE10ELNS1_11target_archE1200ELNS1_3gpuE4ELNS1_3repE0EEENS1_30default_config_static_selectorELNS0_4arch9wavefront6targetE0EEEvT1_,"axG",@progbits,_ZN7rocprim17ROCPRIM_400000_NS6detail17trampoline_kernelINS0_14default_configENS1_27scan_by_key_config_selectorIllEEZZNS1_16scan_by_key_implILNS1_25lookback_scan_determinismE0ELb0ES3_PKlN6hipcub16HIPCUB_304000_NS21ConstantInputIteratorIllEEPllNSB_3SumENSB_8EqualityElEE10hipError_tPvRmT2_T3_T4_T5_mT6_T7_P12ihipStream_tbENKUlT_T0_E_clISt17integral_constantIbLb0EESW_IbLb1EEEEDaSS_ST_EUlSS_E_NS1_11comp_targetILNS1_3genE10ELNS1_11target_archE1200ELNS1_3gpuE4ELNS1_3repE0EEENS1_30default_config_static_selectorELNS0_4arch9wavefront6targetE0EEEvT1_,comdat
.Lfunc_end133:
	.size	_ZN7rocprim17ROCPRIM_400000_NS6detail17trampoline_kernelINS0_14default_configENS1_27scan_by_key_config_selectorIllEEZZNS1_16scan_by_key_implILNS1_25lookback_scan_determinismE0ELb0ES3_PKlN6hipcub16HIPCUB_304000_NS21ConstantInputIteratorIllEEPllNSB_3SumENSB_8EqualityElEE10hipError_tPvRmT2_T3_T4_T5_mT6_T7_P12ihipStream_tbENKUlT_T0_E_clISt17integral_constantIbLb0EESW_IbLb1EEEEDaSS_ST_EUlSS_E_NS1_11comp_targetILNS1_3genE10ELNS1_11target_archE1200ELNS1_3gpuE4ELNS1_3repE0EEENS1_30default_config_static_selectorELNS0_4arch9wavefront6targetE0EEEvT1_, .Lfunc_end133-_ZN7rocprim17ROCPRIM_400000_NS6detail17trampoline_kernelINS0_14default_configENS1_27scan_by_key_config_selectorIllEEZZNS1_16scan_by_key_implILNS1_25lookback_scan_determinismE0ELb0ES3_PKlN6hipcub16HIPCUB_304000_NS21ConstantInputIteratorIllEEPllNSB_3SumENSB_8EqualityElEE10hipError_tPvRmT2_T3_T4_T5_mT6_T7_P12ihipStream_tbENKUlT_T0_E_clISt17integral_constantIbLb0EESW_IbLb1EEEEDaSS_ST_EUlSS_E_NS1_11comp_targetILNS1_3genE10ELNS1_11target_archE1200ELNS1_3gpuE4ELNS1_3repE0EEENS1_30default_config_static_selectorELNS0_4arch9wavefront6targetE0EEEvT1_
                                        ; -- End function
	.set _ZN7rocprim17ROCPRIM_400000_NS6detail17trampoline_kernelINS0_14default_configENS1_27scan_by_key_config_selectorIllEEZZNS1_16scan_by_key_implILNS1_25lookback_scan_determinismE0ELb0ES3_PKlN6hipcub16HIPCUB_304000_NS21ConstantInputIteratorIllEEPllNSB_3SumENSB_8EqualityElEE10hipError_tPvRmT2_T3_T4_T5_mT6_T7_P12ihipStream_tbENKUlT_T0_E_clISt17integral_constantIbLb0EESW_IbLb1EEEEDaSS_ST_EUlSS_E_NS1_11comp_targetILNS1_3genE10ELNS1_11target_archE1200ELNS1_3gpuE4ELNS1_3repE0EEENS1_30default_config_static_selectorELNS0_4arch9wavefront6targetE0EEEvT1_.num_vgpr, 0
	.set _ZN7rocprim17ROCPRIM_400000_NS6detail17trampoline_kernelINS0_14default_configENS1_27scan_by_key_config_selectorIllEEZZNS1_16scan_by_key_implILNS1_25lookback_scan_determinismE0ELb0ES3_PKlN6hipcub16HIPCUB_304000_NS21ConstantInputIteratorIllEEPllNSB_3SumENSB_8EqualityElEE10hipError_tPvRmT2_T3_T4_T5_mT6_T7_P12ihipStream_tbENKUlT_T0_E_clISt17integral_constantIbLb0EESW_IbLb1EEEEDaSS_ST_EUlSS_E_NS1_11comp_targetILNS1_3genE10ELNS1_11target_archE1200ELNS1_3gpuE4ELNS1_3repE0EEENS1_30default_config_static_selectorELNS0_4arch9wavefront6targetE0EEEvT1_.num_agpr, 0
	.set _ZN7rocprim17ROCPRIM_400000_NS6detail17trampoline_kernelINS0_14default_configENS1_27scan_by_key_config_selectorIllEEZZNS1_16scan_by_key_implILNS1_25lookback_scan_determinismE0ELb0ES3_PKlN6hipcub16HIPCUB_304000_NS21ConstantInputIteratorIllEEPllNSB_3SumENSB_8EqualityElEE10hipError_tPvRmT2_T3_T4_T5_mT6_T7_P12ihipStream_tbENKUlT_T0_E_clISt17integral_constantIbLb0EESW_IbLb1EEEEDaSS_ST_EUlSS_E_NS1_11comp_targetILNS1_3genE10ELNS1_11target_archE1200ELNS1_3gpuE4ELNS1_3repE0EEENS1_30default_config_static_selectorELNS0_4arch9wavefront6targetE0EEEvT1_.numbered_sgpr, 0
	.set _ZN7rocprim17ROCPRIM_400000_NS6detail17trampoline_kernelINS0_14default_configENS1_27scan_by_key_config_selectorIllEEZZNS1_16scan_by_key_implILNS1_25lookback_scan_determinismE0ELb0ES3_PKlN6hipcub16HIPCUB_304000_NS21ConstantInputIteratorIllEEPllNSB_3SumENSB_8EqualityElEE10hipError_tPvRmT2_T3_T4_T5_mT6_T7_P12ihipStream_tbENKUlT_T0_E_clISt17integral_constantIbLb0EESW_IbLb1EEEEDaSS_ST_EUlSS_E_NS1_11comp_targetILNS1_3genE10ELNS1_11target_archE1200ELNS1_3gpuE4ELNS1_3repE0EEENS1_30default_config_static_selectorELNS0_4arch9wavefront6targetE0EEEvT1_.num_named_barrier, 0
	.set _ZN7rocprim17ROCPRIM_400000_NS6detail17trampoline_kernelINS0_14default_configENS1_27scan_by_key_config_selectorIllEEZZNS1_16scan_by_key_implILNS1_25lookback_scan_determinismE0ELb0ES3_PKlN6hipcub16HIPCUB_304000_NS21ConstantInputIteratorIllEEPllNSB_3SumENSB_8EqualityElEE10hipError_tPvRmT2_T3_T4_T5_mT6_T7_P12ihipStream_tbENKUlT_T0_E_clISt17integral_constantIbLb0EESW_IbLb1EEEEDaSS_ST_EUlSS_E_NS1_11comp_targetILNS1_3genE10ELNS1_11target_archE1200ELNS1_3gpuE4ELNS1_3repE0EEENS1_30default_config_static_selectorELNS0_4arch9wavefront6targetE0EEEvT1_.private_seg_size, 0
	.set _ZN7rocprim17ROCPRIM_400000_NS6detail17trampoline_kernelINS0_14default_configENS1_27scan_by_key_config_selectorIllEEZZNS1_16scan_by_key_implILNS1_25lookback_scan_determinismE0ELb0ES3_PKlN6hipcub16HIPCUB_304000_NS21ConstantInputIteratorIllEEPllNSB_3SumENSB_8EqualityElEE10hipError_tPvRmT2_T3_T4_T5_mT6_T7_P12ihipStream_tbENKUlT_T0_E_clISt17integral_constantIbLb0EESW_IbLb1EEEEDaSS_ST_EUlSS_E_NS1_11comp_targetILNS1_3genE10ELNS1_11target_archE1200ELNS1_3gpuE4ELNS1_3repE0EEENS1_30default_config_static_selectorELNS0_4arch9wavefront6targetE0EEEvT1_.uses_vcc, 0
	.set _ZN7rocprim17ROCPRIM_400000_NS6detail17trampoline_kernelINS0_14default_configENS1_27scan_by_key_config_selectorIllEEZZNS1_16scan_by_key_implILNS1_25lookback_scan_determinismE0ELb0ES3_PKlN6hipcub16HIPCUB_304000_NS21ConstantInputIteratorIllEEPllNSB_3SumENSB_8EqualityElEE10hipError_tPvRmT2_T3_T4_T5_mT6_T7_P12ihipStream_tbENKUlT_T0_E_clISt17integral_constantIbLb0EESW_IbLb1EEEEDaSS_ST_EUlSS_E_NS1_11comp_targetILNS1_3genE10ELNS1_11target_archE1200ELNS1_3gpuE4ELNS1_3repE0EEENS1_30default_config_static_selectorELNS0_4arch9wavefront6targetE0EEEvT1_.uses_flat_scratch, 0
	.set _ZN7rocprim17ROCPRIM_400000_NS6detail17trampoline_kernelINS0_14default_configENS1_27scan_by_key_config_selectorIllEEZZNS1_16scan_by_key_implILNS1_25lookback_scan_determinismE0ELb0ES3_PKlN6hipcub16HIPCUB_304000_NS21ConstantInputIteratorIllEEPllNSB_3SumENSB_8EqualityElEE10hipError_tPvRmT2_T3_T4_T5_mT6_T7_P12ihipStream_tbENKUlT_T0_E_clISt17integral_constantIbLb0EESW_IbLb1EEEEDaSS_ST_EUlSS_E_NS1_11comp_targetILNS1_3genE10ELNS1_11target_archE1200ELNS1_3gpuE4ELNS1_3repE0EEENS1_30default_config_static_selectorELNS0_4arch9wavefront6targetE0EEEvT1_.has_dyn_sized_stack, 0
	.set _ZN7rocprim17ROCPRIM_400000_NS6detail17trampoline_kernelINS0_14default_configENS1_27scan_by_key_config_selectorIllEEZZNS1_16scan_by_key_implILNS1_25lookback_scan_determinismE0ELb0ES3_PKlN6hipcub16HIPCUB_304000_NS21ConstantInputIteratorIllEEPllNSB_3SumENSB_8EqualityElEE10hipError_tPvRmT2_T3_T4_T5_mT6_T7_P12ihipStream_tbENKUlT_T0_E_clISt17integral_constantIbLb0EESW_IbLb1EEEEDaSS_ST_EUlSS_E_NS1_11comp_targetILNS1_3genE10ELNS1_11target_archE1200ELNS1_3gpuE4ELNS1_3repE0EEENS1_30default_config_static_selectorELNS0_4arch9wavefront6targetE0EEEvT1_.has_recursion, 0
	.set _ZN7rocprim17ROCPRIM_400000_NS6detail17trampoline_kernelINS0_14default_configENS1_27scan_by_key_config_selectorIllEEZZNS1_16scan_by_key_implILNS1_25lookback_scan_determinismE0ELb0ES3_PKlN6hipcub16HIPCUB_304000_NS21ConstantInputIteratorIllEEPllNSB_3SumENSB_8EqualityElEE10hipError_tPvRmT2_T3_T4_T5_mT6_T7_P12ihipStream_tbENKUlT_T0_E_clISt17integral_constantIbLb0EESW_IbLb1EEEEDaSS_ST_EUlSS_E_NS1_11comp_targetILNS1_3genE10ELNS1_11target_archE1200ELNS1_3gpuE4ELNS1_3repE0EEENS1_30default_config_static_selectorELNS0_4arch9wavefront6targetE0EEEvT1_.has_indirect_call, 0
	.section	.AMDGPU.csdata,"",@progbits
; Kernel info:
; codeLenInByte = 0
; TotalNumSgprs: 0
; NumVgprs: 0
; ScratchSize: 0
; MemoryBound: 0
; FloatMode: 240
; IeeeMode: 1
; LDSByteSize: 0 bytes/workgroup (compile time only)
; SGPRBlocks: 0
; VGPRBlocks: 0
; NumSGPRsForWavesPerEU: 1
; NumVGPRsForWavesPerEU: 1
; Occupancy: 16
; WaveLimiterHint : 0
; COMPUTE_PGM_RSRC2:SCRATCH_EN: 0
; COMPUTE_PGM_RSRC2:USER_SGPR: 6
; COMPUTE_PGM_RSRC2:TRAP_HANDLER: 0
; COMPUTE_PGM_RSRC2:TGID_X_EN: 1
; COMPUTE_PGM_RSRC2:TGID_Y_EN: 0
; COMPUTE_PGM_RSRC2:TGID_Z_EN: 0
; COMPUTE_PGM_RSRC2:TIDIG_COMP_CNT: 0
	.section	.text._ZN7rocprim17ROCPRIM_400000_NS6detail17trampoline_kernelINS0_14default_configENS1_27scan_by_key_config_selectorIllEEZZNS1_16scan_by_key_implILNS1_25lookback_scan_determinismE0ELb0ES3_PKlN6hipcub16HIPCUB_304000_NS21ConstantInputIteratorIllEEPllNSB_3SumENSB_8EqualityElEE10hipError_tPvRmT2_T3_T4_T5_mT6_T7_P12ihipStream_tbENKUlT_T0_E_clISt17integral_constantIbLb0EESW_IbLb1EEEEDaSS_ST_EUlSS_E_NS1_11comp_targetILNS1_3genE9ELNS1_11target_archE1100ELNS1_3gpuE3ELNS1_3repE0EEENS1_30default_config_static_selectorELNS0_4arch9wavefront6targetE0EEEvT1_,"axG",@progbits,_ZN7rocprim17ROCPRIM_400000_NS6detail17trampoline_kernelINS0_14default_configENS1_27scan_by_key_config_selectorIllEEZZNS1_16scan_by_key_implILNS1_25lookback_scan_determinismE0ELb0ES3_PKlN6hipcub16HIPCUB_304000_NS21ConstantInputIteratorIllEEPllNSB_3SumENSB_8EqualityElEE10hipError_tPvRmT2_T3_T4_T5_mT6_T7_P12ihipStream_tbENKUlT_T0_E_clISt17integral_constantIbLb0EESW_IbLb1EEEEDaSS_ST_EUlSS_E_NS1_11comp_targetILNS1_3genE9ELNS1_11target_archE1100ELNS1_3gpuE3ELNS1_3repE0EEENS1_30default_config_static_selectorELNS0_4arch9wavefront6targetE0EEEvT1_,comdat
	.protected	_ZN7rocprim17ROCPRIM_400000_NS6detail17trampoline_kernelINS0_14default_configENS1_27scan_by_key_config_selectorIllEEZZNS1_16scan_by_key_implILNS1_25lookback_scan_determinismE0ELb0ES3_PKlN6hipcub16HIPCUB_304000_NS21ConstantInputIteratorIllEEPllNSB_3SumENSB_8EqualityElEE10hipError_tPvRmT2_T3_T4_T5_mT6_T7_P12ihipStream_tbENKUlT_T0_E_clISt17integral_constantIbLb0EESW_IbLb1EEEEDaSS_ST_EUlSS_E_NS1_11comp_targetILNS1_3genE9ELNS1_11target_archE1100ELNS1_3gpuE3ELNS1_3repE0EEENS1_30default_config_static_selectorELNS0_4arch9wavefront6targetE0EEEvT1_ ; -- Begin function _ZN7rocprim17ROCPRIM_400000_NS6detail17trampoline_kernelINS0_14default_configENS1_27scan_by_key_config_selectorIllEEZZNS1_16scan_by_key_implILNS1_25lookback_scan_determinismE0ELb0ES3_PKlN6hipcub16HIPCUB_304000_NS21ConstantInputIteratorIllEEPllNSB_3SumENSB_8EqualityElEE10hipError_tPvRmT2_T3_T4_T5_mT6_T7_P12ihipStream_tbENKUlT_T0_E_clISt17integral_constantIbLb0EESW_IbLb1EEEEDaSS_ST_EUlSS_E_NS1_11comp_targetILNS1_3genE9ELNS1_11target_archE1100ELNS1_3gpuE3ELNS1_3repE0EEENS1_30default_config_static_selectorELNS0_4arch9wavefront6targetE0EEEvT1_
	.globl	_ZN7rocprim17ROCPRIM_400000_NS6detail17trampoline_kernelINS0_14default_configENS1_27scan_by_key_config_selectorIllEEZZNS1_16scan_by_key_implILNS1_25lookback_scan_determinismE0ELb0ES3_PKlN6hipcub16HIPCUB_304000_NS21ConstantInputIteratorIllEEPllNSB_3SumENSB_8EqualityElEE10hipError_tPvRmT2_T3_T4_T5_mT6_T7_P12ihipStream_tbENKUlT_T0_E_clISt17integral_constantIbLb0EESW_IbLb1EEEEDaSS_ST_EUlSS_E_NS1_11comp_targetILNS1_3genE9ELNS1_11target_archE1100ELNS1_3gpuE3ELNS1_3repE0EEENS1_30default_config_static_selectorELNS0_4arch9wavefront6targetE0EEEvT1_
	.p2align	8
	.type	_ZN7rocprim17ROCPRIM_400000_NS6detail17trampoline_kernelINS0_14default_configENS1_27scan_by_key_config_selectorIllEEZZNS1_16scan_by_key_implILNS1_25lookback_scan_determinismE0ELb0ES3_PKlN6hipcub16HIPCUB_304000_NS21ConstantInputIteratorIllEEPllNSB_3SumENSB_8EqualityElEE10hipError_tPvRmT2_T3_T4_T5_mT6_T7_P12ihipStream_tbENKUlT_T0_E_clISt17integral_constantIbLb0EESW_IbLb1EEEEDaSS_ST_EUlSS_E_NS1_11comp_targetILNS1_3genE9ELNS1_11target_archE1100ELNS1_3gpuE3ELNS1_3repE0EEENS1_30default_config_static_selectorELNS0_4arch9wavefront6targetE0EEEvT1_,@function
_ZN7rocprim17ROCPRIM_400000_NS6detail17trampoline_kernelINS0_14default_configENS1_27scan_by_key_config_selectorIllEEZZNS1_16scan_by_key_implILNS1_25lookback_scan_determinismE0ELb0ES3_PKlN6hipcub16HIPCUB_304000_NS21ConstantInputIteratorIllEEPllNSB_3SumENSB_8EqualityElEE10hipError_tPvRmT2_T3_T4_T5_mT6_T7_P12ihipStream_tbENKUlT_T0_E_clISt17integral_constantIbLb0EESW_IbLb1EEEEDaSS_ST_EUlSS_E_NS1_11comp_targetILNS1_3genE9ELNS1_11target_archE1100ELNS1_3gpuE3ELNS1_3repE0EEENS1_30default_config_static_selectorELNS0_4arch9wavefront6targetE0EEEvT1_: ; @_ZN7rocprim17ROCPRIM_400000_NS6detail17trampoline_kernelINS0_14default_configENS1_27scan_by_key_config_selectorIllEEZZNS1_16scan_by_key_implILNS1_25lookback_scan_determinismE0ELb0ES3_PKlN6hipcub16HIPCUB_304000_NS21ConstantInputIteratorIllEEPllNSB_3SumENSB_8EqualityElEE10hipError_tPvRmT2_T3_T4_T5_mT6_T7_P12ihipStream_tbENKUlT_T0_E_clISt17integral_constantIbLb0EESW_IbLb1EEEEDaSS_ST_EUlSS_E_NS1_11comp_targetILNS1_3genE9ELNS1_11target_archE1100ELNS1_3gpuE3ELNS1_3repE0EEENS1_30default_config_static_selectorELNS0_4arch9wavefront6targetE0EEEvT1_
; %bb.0:
	.section	.rodata,"a",@progbits
	.p2align	6, 0x0
	.amdhsa_kernel _ZN7rocprim17ROCPRIM_400000_NS6detail17trampoline_kernelINS0_14default_configENS1_27scan_by_key_config_selectorIllEEZZNS1_16scan_by_key_implILNS1_25lookback_scan_determinismE0ELb0ES3_PKlN6hipcub16HIPCUB_304000_NS21ConstantInputIteratorIllEEPllNSB_3SumENSB_8EqualityElEE10hipError_tPvRmT2_T3_T4_T5_mT6_T7_P12ihipStream_tbENKUlT_T0_E_clISt17integral_constantIbLb0EESW_IbLb1EEEEDaSS_ST_EUlSS_E_NS1_11comp_targetILNS1_3genE9ELNS1_11target_archE1100ELNS1_3gpuE3ELNS1_3repE0EEENS1_30default_config_static_selectorELNS0_4arch9wavefront6targetE0EEEvT1_
		.amdhsa_group_segment_fixed_size 0
		.amdhsa_private_segment_fixed_size 0
		.amdhsa_kernarg_size 144
		.amdhsa_user_sgpr_count 6
		.amdhsa_user_sgpr_private_segment_buffer 1
		.amdhsa_user_sgpr_dispatch_ptr 0
		.amdhsa_user_sgpr_queue_ptr 0
		.amdhsa_user_sgpr_kernarg_segment_ptr 1
		.amdhsa_user_sgpr_dispatch_id 0
		.amdhsa_user_sgpr_flat_scratch_init 0
		.amdhsa_user_sgpr_private_segment_size 0
		.amdhsa_wavefront_size32 1
		.amdhsa_uses_dynamic_stack 0
		.amdhsa_system_sgpr_private_segment_wavefront_offset 0
		.amdhsa_system_sgpr_workgroup_id_x 1
		.amdhsa_system_sgpr_workgroup_id_y 0
		.amdhsa_system_sgpr_workgroup_id_z 0
		.amdhsa_system_sgpr_workgroup_info 0
		.amdhsa_system_vgpr_workitem_id 0
		.amdhsa_next_free_vgpr 1
		.amdhsa_next_free_sgpr 1
		.amdhsa_reserve_vcc 0
		.amdhsa_reserve_flat_scratch 0
		.amdhsa_float_round_mode_32 0
		.amdhsa_float_round_mode_16_64 0
		.amdhsa_float_denorm_mode_32 3
		.amdhsa_float_denorm_mode_16_64 3
		.amdhsa_dx10_clamp 1
		.amdhsa_ieee_mode 1
		.amdhsa_fp16_overflow 0
		.amdhsa_workgroup_processor_mode 1
		.amdhsa_memory_ordered 1
		.amdhsa_forward_progress 1
		.amdhsa_shared_vgpr_count 0
		.amdhsa_exception_fp_ieee_invalid_op 0
		.amdhsa_exception_fp_denorm_src 0
		.amdhsa_exception_fp_ieee_div_zero 0
		.amdhsa_exception_fp_ieee_overflow 0
		.amdhsa_exception_fp_ieee_underflow 0
		.amdhsa_exception_fp_ieee_inexact 0
		.amdhsa_exception_int_div_zero 0
	.end_amdhsa_kernel
	.section	.text._ZN7rocprim17ROCPRIM_400000_NS6detail17trampoline_kernelINS0_14default_configENS1_27scan_by_key_config_selectorIllEEZZNS1_16scan_by_key_implILNS1_25lookback_scan_determinismE0ELb0ES3_PKlN6hipcub16HIPCUB_304000_NS21ConstantInputIteratorIllEEPllNSB_3SumENSB_8EqualityElEE10hipError_tPvRmT2_T3_T4_T5_mT6_T7_P12ihipStream_tbENKUlT_T0_E_clISt17integral_constantIbLb0EESW_IbLb1EEEEDaSS_ST_EUlSS_E_NS1_11comp_targetILNS1_3genE9ELNS1_11target_archE1100ELNS1_3gpuE3ELNS1_3repE0EEENS1_30default_config_static_selectorELNS0_4arch9wavefront6targetE0EEEvT1_,"axG",@progbits,_ZN7rocprim17ROCPRIM_400000_NS6detail17trampoline_kernelINS0_14default_configENS1_27scan_by_key_config_selectorIllEEZZNS1_16scan_by_key_implILNS1_25lookback_scan_determinismE0ELb0ES3_PKlN6hipcub16HIPCUB_304000_NS21ConstantInputIteratorIllEEPllNSB_3SumENSB_8EqualityElEE10hipError_tPvRmT2_T3_T4_T5_mT6_T7_P12ihipStream_tbENKUlT_T0_E_clISt17integral_constantIbLb0EESW_IbLb1EEEEDaSS_ST_EUlSS_E_NS1_11comp_targetILNS1_3genE9ELNS1_11target_archE1100ELNS1_3gpuE3ELNS1_3repE0EEENS1_30default_config_static_selectorELNS0_4arch9wavefront6targetE0EEEvT1_,comdat
.Lfunc_end134:
	.size	_ZN7rocprim17ROCPRIM_400000_NS6detail17trampoline_kernelINS0_14default_configENS1_27scan_by_key_config_selectorIllEEZZNS1_16scan_by_key_implILNS1_25lookback_scan_determinismE0ELb0ES3_PKlN6hipcub16HIPCUB_304000_NS21ConstantInputIteratorIllEEPllNSB_3SumENSB_8EqualityElEE10hipError_tPvRmT2_T3_T4_T5_mT6_T7_P12ihipStream_tbENKUlT_T0_E_clISt17integral_constantIbLb0EESW_IbLb1EEEEDaSS_ST_EUlSS_E_NS1_11comp_targetILNS1_3genE9ELNS1_11target_archE1100ELNS1_3gpuE3ELNS1_3repE0EEENS1_30default_config_static_selectorELNS0_4arch9wavefront6targetE0EEEvT1_, .Lfunc_end134-_ZN7rocprim17ROCPRIM_400000_NS6detail17trampoline_kernelINS0_14default_configENS1_27scan_by_key_config_selectorIllEEZZNS1_16scan_by_key_implILNS1_25lookback_scan_determinismE0ELb0ES3_PKlN6hipcub16HIPCUB_304000_NS21ConstantInputIteratorIllEEPllNSB_3SumENSB_8EqualityElEE10hipError_tPvRmT2_T3_T4_T5_mT6_T7_P12ihipStream_tbENKUlT_T0_E_clISt17integral_constantIbLb0EESW_IbLb1EEEEDaSS_ST_EUlSS_E_NS1_11comp_targetILNS1_3genE9ELNS1_11target_archE1100ELNS1_3gpuE3ELNS1_3repE0EEENS1_30default_config_static_selectorELNS0_4arch9wavefront6targetE0EEEvT1_
                                        ; -- End function
	.set _ZN7rocprim17ROCPRIM_400000_NS6detail17trampoline_kernelINS0_14default_configENS1_27scan_by_key_config_selectorIllEEZZNS1_16scan_by_key_implILNS1_25lookback_scan_determinismE0ELb0ES3_PKlN6hipcub16HIPCUB_304000_NS21ConstantInputIteratorIllEEPllNSB_3SumENSB_8EqualityElEE10hipError_tPvRmT2_T3_T4_T5_mT6_T7_P12ihipStream_tbENKUlT_T0_E_clISt17integral_constantIbLb0EESW_IbLb1EEEEDaSS_ST_EUlSS_E_NS1_11comp_targetILNS1_3genE9ELNS1_11target_archE1100ELNS1_3gpuE3ELNS1_3repE0EEENS1_30default_config_static_selectorELNS0_4arch9wavefront6targetE0EEEvT1_.num_vgpr, 0
	.set _ZN7rocprim17ROCPRIM_400000_NS6detail17trampoline_kernelINS0_14default_configENS1_27scan_by_key_config_selectorIllEEZZNS1_16scan_by_key_implILNS1_25lookback_scan_determinismE0ELb0ES3_PKlN6hipcub16HIPCUB_304000_NS21ConstantInputIteratorIllEEPllNSB_3SumENSB_8EqualityElEE10hipError_tPvRmT2_T3_T4_T5_mT6_T7_P12ihipStream_tbENKUlT_T0_E_clISt17integral_constantIbLb0EESW_IbLb1EEEEDaSS_ST_EUlSS_E_NS1_11comp_targetILNS1_3genE9ELNS1_11target_archE1100ELNS1_3gpuE3ELNS1_3repE0EEENS1_30default_config_static_selectorELNS0_4arch9wavefront6targetE0EEEvT1_.num_agpr, 0
	.set _ZN7rocprim17ROCPRIM_400000_NS6detail17trampoline_kernelINS0_14default_configENS1_27scan_by_key_config_selectorIllEEZZNS1_16scan_by_key_implILNS1_25lookback_scan_determinismE0ELb0ES3_PKlN6hipcub16HIPCUB_304000_NS21ConstantInputIteratorIllEEPllNSB_3SumENSB_8EqualityElEE10hipError_tPvRmT2_T3_T4_T5_mT6_T7_P12ihipStream_tbENKUlT_T0_E_clISt17integral_constantIbLb0EESW_IbLb1EEEEDaSS_ST_EUlSS_E_NS1_11comp_targetILNS1_3genE9ELNS1_11target_archE1100ELNS1_3gpuE3ELNS1_3repE0EEENS1_30default_config_static_selectorELNS0_4arch9wavefront6targetE0EEEvT1_.numbered_sgpr, 0
	.set _ZN7rocprim17ROCPRIM_400000_NS6detail17trampoline_kernelINS0_14default_configENS1_27scan_by_key_config_selectorIllEEZZNS1_16scan_by_key_implILNS1_25lookback_scan_determinismE0ELb0ES3_PKlN6hipcub16HIPCUB_304000_NS21ConstantInputIteratorIllEEPllNSB_3SumENSB_8EqualityElEE10hipError_tPvRmT2_T3_T4_T5_mT6_T7_P12ihipStream_tbENKUlT_T0_E_clISt17integral_constantIbLb0EESW_IbLb1EEEEDaSS_ST_EUlSS_E_NS1_11comp_targetILNS1_3genE9ELNS1_11target_archE1100ELNS1_3gpuE3ELNS1_3repE0EEENS1_30default_config_static_selectorELNS0_4arch9wavefront6targetE0EEEvT1_.num_named_barrier, 0
	.set _ZN7rocprim17ROCPRIM_400000_NS6detail17trampoline_kernelINS0_14default_configENS1_27scan_by_key_config_selectorIllEEZZNS1_16scan_by_key_implILNS1_25lookback_scan_determinismE0ELb0ES3_PKlN6hipcub16HIPCUB_304000_NS21ConstantInputIteratorIllEEPllNSB_3SumENSB_8EqualityElEE10hipError_tPvRmT2_T3_T4_T5_mT6_T7_P12ihipStream_tbENKUlT_T0_E_clISt17integral_constantIbLb0EESW_IbLb1EEEEDaSS_ST_EUlSS_E_NS1_11comp_targetILNS1_3genE9ELNS1_11target_archE1100ELNS1_3gpuE3ELNS1_3repE0EEENS1_30default_config_static_selectorELNS0_4arch9wavefront6targetE0EEEvT1_.private_seg_size, 0
	.set _ZN7rocprim17ROCPRIM_400000_NS6detail17trampoline_kernelINS0_14default_configENS1_27scan_by_key_config_selectorIllEEZZNS1_16scan_by_key_implILNS1_25lookback_scan_determinismE0ELb0ES3_PKlN6hipcub16HIPCUB_304000_NS21ConstantInputIteratorIllEEPllNSB_3SumENSB_8EqualityElEE10hipError_tPvRmT2_T3_T4_T5_mT6_T7_P12ihipStream_tbENKUlT_T0_E_clISt17integral_constantIbLb0EESW_IbLb1EEEEDaSS_ST_EUlSS_E_NS1_11comp_targetILNS1_3genE9ELNS1_11target_archE1100ELNS1_3gpuE3ELNS1_3repE0EEENS1_30default_config_static_selectorELNS0_4arch9wavefront6targetE0EEEvT1_.uses_vcc, 0
	.set _ZN7rocprim17ROCPRIM_400000_NS6detail17trampoline_kernelINS0_14default_configENS1_27scan_by_key_config_selectorIllEEZZNS1_16scan_by_key_implILNS1_25lookback_scan_determinismE0ELb0ES3_PKlN6hipcub16HIPCUB_304000_NS21ConstantInputIteratorIllEEPllNSB_3SumENSB_8EqualityElEE10hipError_tPvRmT2_T3_T4_T5_mT6_T7_P12ihipStream_tbENKUlT_T0_E_clISt17integral_constantIbLb0EESW_IbLb1EEEEDaSS_ST_EUlSS_E_NS1_11comp_targetILNS1_3genE9ELNS1_11target_archE1100ELNS1_3gpuE3ELNS1_3repE0EEENS1_30default_config_static_selectorELNS0_4arch9wavefront6targetE0EEEvT1_.uses_flat_scratch, 0
	.set _ZN7rocprim17ROCPRIM_400000_NS6detail17trampoline_kernelINS0_14default_configENS1_27scan_by_key_config_selectorIllEEZZNS1_16scan_by_key_implILNS1_25lookback_scan_determinismE0ELb0ES3_PKlN6hipcub16HIPCUB_304000_NS21ConstantInputIteratorIllEEPllNSB_3SumENSB_8EqualityElEE10hipError_tPvRmT2_T3_T4_T5_mT6_T7_P12ihipStream_tbENKUlT_T0_E_clISt17integral_constantIbLb0EESW_IbLb1EEEEDaSS_ST_EUlSS_E_NS1_11comp_targetILNS1_3genE9ELNS1_11target_archE1100ELNS1_3gpuE3ELNS1_3repE0EEENS1_30default_config_static_selectorELNS0_4arch9wavefront6targetE0EEEvT1_.has_dyn_sized_stack, 0
	.set _ZN7rocprim17ROCPRIM_400000_NS6detail17trampoline_kernelINS0_14default_configENS1_27scan_by_key_config_selectorIllEEZZNS1_16scan_by_key_implILNS1_25lookback_scan_determinismE0ELb0ES3_PKlN6hipcub16HIPCUB_304000_NS21ConstantInputIteratorIllEEPllNSB_3SumENSB_8EqualityElEE10hipError_tPvRmT2_T3_T4_T5_mT6_T7_P12ihipStream_tbENKUlT_T0_E_clISt17integral_constantIbLb0EESW_IbLb1EEEEDaSS_ST_EUlSS_E_NS1_11comp_targetILNS1_3genE9ELNS1_11target_archE1100ELNS1_3gpuE3ELNS1_3repE0EEENS1_30default_config_static_selectorELNS0_4arch9wavefront6targetE0EEEvT1_.has_recursion, 0
	.set _ZN7rocprim17ROCPRIM_400000_NS6detail17trampoline_kernelINS0_14default_configENS1_27scan_by_key_config_selectorIllEEZZNS1_16scan_by_key_implILNS1_25lookback_scan_determinismE0ELb0ES3_PKlN6hipcub16HIPCUB_304000_NS21ConstantInputIteratorIllEEPllNSB_3SumENSB_8EqualityElEE10hipError_tPvRmT2_T3_T4_T5_mT6_T7_P12ihipStream_tbENKUlT_T0_E_clISt17integral_constantIbLb0EESW_IbLb1EEEEDaSS_ST_EUlSS_E_NS1_11comp_targetILNS1_3genE9ELNS1_11target_archE1100ELNS1_3gpuE3ELNS1_3repE0EEENS1_30default_config_static_selectorELNS0_4arch9wavefront6targetE0EEEvT1_.has_indirect_call, 0
	.section	.AMDGPU.csdata,"",@progbits
; Kernel info:
; codeLenInByte = 0
; TotalNumSgprs: 0
; NumVgprs: 0
; ScratchSize: 0
; MemoryBound: 0
; FloatMode: 240
; IeeeMode: 1
; LDSByteSize: 0 bytes/workgroup (compile time only)
; SGPRBlocks: 0
; VGPRBlocks: 0
; NumSGPRsForWavesPerEU: 1
; NumVGPRsForWavesPerEU: 1
; Occupancy: 16
; WaveLimiterHint : 0
; COMPUTE_PGM_RSRC2:SCRATCH_EN: 0
; COMPUTE_PGM_RSRC2:USER_SGPR: 6
; COMPUTE_PGM_RSRC2:TRAP_HANDLER: 0
; COMPUTE_PGM_RSRC2:TGID_X_EN: 1
; COMPUTE_PGM_RSRC2:TGID_Y_EN: 0
; COMPUTE_PGM_RSRC2:TGID_Z_EN: 0
; COMPUTE_PGM_RSRC2:TIDIG_COMP_CNT: 0
	.section	.text._ZN7rocprim17ROCPRIM_400000_NS6detail17trampoline_kernelINS0_14default_configENS1_27scan_by_key_config_selectorIllEEZZNS1_16scan_by_key_implILNS1_25lookback_scan_determinismE0ELb0ES3_PKlN6hipcub16HIPCUB_304000_NS21ConstantInputIteratorIllEEPllNSB_3SumENSB_8EqualityElEE10hipError_tPvRmT2_T3_T4_T5_mT6_T7_P12ihipStream_tbENKUlT_T0_E_clISt17integral_constantIbLb0EESW_IbLb1EEEEDaSS_ST_EUlSS_E_NS1_11comp_targetILNS1_3genE8ELNS1_11target_archE1030ELNS1_3gpuE2ELNS1_3repE0EEENS1_30default_config_static_selectorELNS0_4arch9wavefront6targetE0EEEvT1_,"axG",@progbits,_ZN7rocprim17ROCPRIM_400000_NS6detail17trampoline_kernelINS0_14default_configENS1_27scan_by_key_config_selectorIllEEZZNS1_16scan_by_key_implILNS1_25lookback_scan_determinismE0ELb0ES3_PKlN6hipcub16HIPCUB_304000_NS21ConstantInputIteratorIllEEPllNSB_3SumENSB_8EqualityElEE10hipError_tPvRmT2_T3_T4_T5_mT6_T7_P12ihipStream_tbENKUlT_T0_E_clISt17integral_constantIbLb0EESW_IbLb1EEEEDaSS_ST_EUlSS_E_NS1_11comp_targetILNS1_3genE8ELNS1_11target_archE1030ELNS1_3gpuE2ELNS1_3repE0EEENS1_30default_config_static_selectorELNS0_4arch9wavefront6targetE0EEEvT1_,comdat
	.protected	_ZN7rocprim17ROCPRIM_400000_NS6detail17trampoline_kernelINS0_14default_configENS1_27scan_by_key_config_selectorIllEEZZNS1_16scan_by_key_implILNS1_25lookback_scan_determinismE0ELb0ES3_PKlN6hipcub16HIPCUB_304000_NS21ConstantInputIteratorIllEEPllNSB_3SumENSB_8EqualityElEE10hipError_tPvRmT2_T3_T4_T5_mT6_T7_P12ihipStream_tbENKUlT_T0_E_clISt17integral_constantIbLb0EESW_IbLb1EEEEDaSS_ST_EUlSS_E_NS1_11comp_targetILNS1_3genE8ELNS1_11target_archE1030ELNS1_3gpuE2ELNS1_3repE0EEENS1_30default_config_static_selectorELNS0_4arch9wavefront6targetE0EEEvT1_ ; -- Begin function _ZN7rocprim17ROCPRIM_400000_NS6detail17trampoline_kernelINS0_14default_configENS1_27scan_by_key_config_selectorIllEEZZNS1_16scan_by_key_implILNS1_25lookback_scan_determinismE0ELb0ES3_PKlN6hipcub16HIPCUB_304000_NS21ConstantInputIteratorIllEEPllNSB_3SumENSB_8EqualityElEE10hipError_tPvRmT2_T3_T4_T5_mT6_T7_P12ihipStream_tbENKUlT_T0_E_clISt17integral_constantIbLb0EESW_IbLb1EEEEDaSS_ST_EUlSS_E_NS1_11comp_targetILNS1_3genE8ELNS1_11target_archE1030ELNS1_3gpuE2ELNS1_3repE0EEENS1_30default_config_static_selectorELNS0_4arch9wavefront6targetE0EEEvT1_
	.globl	_ZN7rocprim17ROCPRIM_400000_NS6detail17trampoline_kernelINS0_14default_configENS1_27scan_by_key_config_selectorIllEEZZNS1_16scan_by_key_implILNS1_25lookback_scan_determinismE0ELb0ES3_PKlN6hipcub16HIPCUB_304000_NS21ConstantInputIteratorIllEEPllNSB_3SumENSB_8EqualityElEE10hipError_tPvRmT2_T3_T4_T5_mT6_T7_P12ihipStream_tbENKUlT_T0_E_clISt17integral_constantIbLb0EESW_IbLb1EEEEDaSS_ST_EUlSS_E_NS1_11comp_targetILNS1_3genE8ELNS1_11target_archE1030ELNS1_3gpuE2ELNS1_3repE0EEENS1_30default_config_static_selectorELNS0_4arch9wavefront6targetE0EEEvT1_
	.p2align	8
	.type	_ZN7rocprim17ROCPRIM_400000_NS6detail17trampoline_kernelINS0_14default_configENS1_27scan_by_key_config_selectorIllEEZZNS1_16scan_by_key_implILNS1_25lookback_scan_determinismE0ELb0ES3_PKlN6hipcub16HIPCUB_304000_NS21ConstantInputIteratorIllEEPllNSB_3SumENSB_8EqualityElEE10hipError_tPvRmT2_T3_T4_T5_mT6_T7_P12ihipStream_tbENKUlT_T0_E_clISt17integral_constantIbLb0EESW_IbLb1EEEEDaSS_ST_EUlSS_E_NS1_11comp_targetILNS1_3genE8ELNS1_11target_archE1030ELNS1_3gpuE2ELNS1_3repE0EEENS1_30default_config_static_selectorELNS0_4arch9wavefront6targetE0EEEvT1_,@function
_ZN7rocprim17ROCPRIM_400000_NS6detail17trampoline_kernelINS0_14default_configENS1_27scan_by_key_config_selectorIllEEZZNS1_16scan_by_key_implILNS1_25lookback_scan_determinismE0ELb0ES3_PKlN6hipcub16HIPCUB_304000_NS21ConstantInputIteratorIllEEPllNSB_3SumENSB_8EqualityElEE10hipError_tPvRmT2_T3_T4_T5_mT6_T7_P12ihipStream_tbENKUlT_T0_E_clISt17integral_constantIbLb0EESW_IbLb1EEEEDaSS_ST_EUlSS_E_NS1_11comp_targetILNS1_3genE8ELNS1_11target_archE1030ELNS1_3gpuE2ELNS1_3repE0EEENS1_30default_config_static_selectorELNS0_4arch9wavefront6targetE0EEEvT1_: ; @_ZN7rocprim17ROCPRIM_400000_NS6detail17trampoline_kernelINS0_14default_configENS1_27scan_by_key_config_selectorIllEEZZNS1_16scan_by_key_implILNS1_25lookback_scan_determinismE0ELb0ES3_PKlN6hipcub16HIPCUB_304000_NS21ConstantInputIteratorIllEEPllNSB_3SumENSB_8EqualityElEE10hipError_tPvRmT2_T3_T4_T5_mT6_T7_P12ihipStream_tbENKUlT_T0_E_clISt17integral_constantIbLb0EESW_IbLb1EEEEDaSS_ST_EUlSS_E_NS1_11comp_targetILNS1_3genE8ELNS1_11target_archE1030ELNS1_3gpuE2ELNS1_3repE0EEENS1_30default_config_static_selectorELNS0_4arch9wavefront6targetE0EEEvT1_
; %bb.0:
	s_clause 0x4
	s_load_dwordx4 s[8:11], s[4:5], 0x0
	s_load_dwordx2 s[6:7], s[4:5], 0x10
	s_load_dwordx2 s[18:19], s[4:5], 0x20
	s_load_dwordx8 s[20:27], s[4:5], 0x38
	s_load_dwordx2 s[34:35], s[4:5], 0x58
	v_cmp_ne_u32_e64 s1, 0, v0
	v_cmp_eq_u32_e64 s0, 0, v0
	s_and_saveexec_b32 s2, s0
	s_cbranch_execz .LBB135_4
; %bb.1:
	s_mov_b32 s12, exec_lo
	s_mov_b32 s3, exec_lo
	v_mbcnt_lo_u32_b32 v1, s12, 0
                                        ; implicit-def: $vgpr2
	v_cmpx_eq_u32_e32 0, v1
	s_cbranch_execz .LBB135_3
; %bb.2:
	s_load_dwordx2 s[14:15], s[4:5], 0x88
	s_bcnt1_i32_b32 s12, s12
	v_mov_b32_e32 v2, 0
	v_mov_b32_e32 v3, s12
	s_waitcnt lgkmcnt(0)
	global_atomic_add v2, v2, v3, s[14:15] glc
.LBB135_3:
	s_or_b32 exec_lo, exec_lo, s3
	s_waitcnt vmcnt(0)
	v_readfirstlane_b32 s3, v2
	v_mov_b32_e32 v2, 0
	v_add_nc_u32_e32 v1, s3, v1
	ds_write_b32 v2, v1
.LBB135_4:
	s_or_b32 exec_lo, exec_lo, s2
	v_mov_b32_e32 v1, 0
	s_clause 0x1
	s_load_dword s13, s[4:5], 0x60
	s_load_dwordx8 s[36:43], s[4:5], 0x68
	s_waitcnt lgkmcnt(0)
	s_barrier
	buffer_gl0_inv
	ds_read_b32 v2, v1
	s_lshl_b64 s[28:29], s[10:11], 3
	s_waitcnt lgkmcnt(0)
	s_barrier
	buffer_gl0_inv
	s_barrier
	buffer_gl0_inv
	s_mul_i32 s2, s35, s13
	s_mul_hi_u32 s3, s34, s13
	s_add_i32 s4, s3, s2
	s_add_u32 s5, s8, s28
	v_readfirstlane_b32 s44, v2
	s_addc_u32 s9, s9, s29
	s_cmp_lg_u64 s[40:41], 0
	s_mov_b32 s3, 0
	s_cselect_b32 s12, -1, 0
	s_mul_i32 s2, s44, 0xd00
	s_lshl_b64 s[30:31], s[2:3], 3
	s_mul_i32 s2, s34, s13
	s_add_u32 s8, s5, s30
	s_addc_u32 s9, s9, s31
	s_add_u32 s10, s2, s44
	s_addc_u32 s11, s4, 0
	s_add_u32 s4, s36, -1
	s_addc_u32 s5, s37, -1
	s_mul_i32 s33, s4, 0xfffff300
	v_cmp_ge_u64_e64 s27, s[10:11], s[4:5]
	s_and_b32 vcc_lo, exec_lo, s27
	s_cbranch_vccz .LBB135_34
; %bb.5:
	global_load_dwordx2 v[1:2], v1, s[8:9]
	s_add_i32 s5, s33, s26
	s_mov_b32 s2, exec_lo
	s_waitcnt vmcnt(0)
	v_mov_b32_e32 v4, v2
	v_mov_b32_e32 v3, v1
	v_cmpx_gt_u32_e64 s5, v0
	s_cbranch_execz .LBB135_7
; %bb.6:
	v_lshlrev_b32_e32 v3, 3, v0
	global_load_dwordx2 v[3:4], v3, s[8:9]
.LBB135_7:
	s_or_b32 exec_lo, exec_lo, s2
	v_mov_b32_e32 v6, v2
	v_or_b32_e32 v7, 0x100, v0
	v_mov_b32_e32 v5, v1
	s_mov_b32 s2, exec_lo
	v_cmpx_gt_u32_e64 s5, v7
	s_cbranch_execz .LBB135_9
; %bb.8:
	v_lshlrev_b32_e32 v5, 3, v7
	global_load_dwordx2 v[5:6], v5, s[8:9]
.LBB135_9:
	s_or_b32 exec_lo, exec_lo, s2
	v_mov_b32_e32 v8, v2
	v_or_b32_e32 v9, 0x200, v0
	v_mov_b32_e32 v7, v1
	s_mov_b32 s2, exec_lo
	;; [unrolled: 11-line block ×11, first 2 shown]
	v_cmpx_gt_u32_e64 s5, v27
	s_cbranch_execz .LBB135_29
; %bb.28:
	v_lshlrev_b32_e32 v25, 3, v27
	global_load_dwordx2 v[25:26], v25, s[8:9]
.LBB135_29:
	s_or_b32 exec_lo, exec_lo, s2
	v_or_b32_e32 v27, 0xc00, v0
	s_mov_b32 s2, exec_lo
	v_cmpx_gt_u32_e64 s5, v27
	s_cbranch_execz .LBB135_31
; %bb.30:
	v_lshlrev_b32_e32 v1, 3, v27
	global_load_dwordx2 v[1:2], v1, s[8:9]
.LBB135_31:
	s_or_b32 exec_lo, exec_lo, s2
	v_lshlrev_b32_e32 v27, 3, v0
	s_cmp_eq_u64 s[10:11], 0
	s_mov_b64 s[2:3], s[8:9]
	s_waitcnt vmcnt(0)
	ds_write2st64_b64 v27, v[3:4], v[5:6] offset1:4
	ds_write2st64_b64 v27, v[7:8], v[9:10] offset0:8 offset1:12
	ds_write2st64_b64 v27, v[11:12], v[13:14] offset0:16 offset1:20
	;; [unrolled: 1-line block ×5, first 2 shown]
	v_mad_u32_u24 v102, 0x60, v0, v27
	ds_write_b64 v27, v[1:2] offset:24576
	s_waitcnt lgkmcnt(0)
	s_barrier
	buffer_gl0_inv
	ds_read2_b64 v[65:68], v102 offset0:2 offset1:3
	ds_read2_b64 v[57:60], v102 offset0:3 offset1:4
	ds_read2_b64 v[69:72], v102 offset1:1
	ds_read2_b64 v[73:76], v102 offset0:1 offset1:2
	ds_read2_b64 v[53:56], v102 offset0:7 offset1:8
	;; [unrolled: 1-line block ×5, first 2 shown]
	s_cbranch_scc1 .LBB135_37
; %bb.32:
	s_add_u32 s2, s8, -8
	s_addc_u32 s3, s9, -1
	s_andn2_b32 vcc_lo, exec_lo, s12
	s_cbranch_vccnz .LBB135_35
; %bb.33:
	s_lshl_b64 s[2:3], s[10:11], 3
	s_mov_b32 s4, 0
	s_add_u32 s2, s42, s2
	s_addc_u32 s3, s43, s3
	s_add_u32 s2, s2, -8
	s_addc_u32 s3, s3, -1
	s_branch .LBB135_36
.LBB135_34:
                                        ; implicit-def: $sgpr14
                                        ; implicit-def: $vgpr99
                                        ; implicit-def: $vgpr93
                                        ; implicit-def: $vgpr98
                                        ; implicit-def: $vgpr96
                                        ; implicit-def: $vgpr103
                                        ; implicit-def: $vgpr94
                                        ; implicit-def: $vgpr101
                                        ; implicit-def: $vgpr100
                                        ; implicit-def: $vgpr35_vgpr36
                                        ; implicit-def: $vgpr95
                                        ; implicit-def: $vgpr5_vgpr6
                                        ; implicit-def: $vgpr97
                                        ; implicit-def: $vgpr29_vgpr30
                                        ; implicit-def: $vgpr33_vgpr34
                                        ; implicit-def: $vgpr39_vgpr40
                                        ; implicit-def: $vgpr43_vgpr44
                                        ; implicit-def: $vgpr3_vgpr4
                                        ; implicit-def: $vgpr105
                                        ; implicit-def: $vgpr88
                                        ; implicit-def: $vgpr85
                                        ; implicit-def: $vgpr86
                                        ; implicit-def: $vgpr83
                                        ; implicit-def: $vgpr92
                                        ; implicit-def: $vgpr91
                                        ; implicit-def: $vgpr90
                                        ; implicit-def: $vgpr89
                                        ; implicit-def: $vgpr81
                                        ; implicit-def: $vgpr82
                                        ; implicit-def: $vgpr77_vgpr78
                                        ; implicit-def: $vgpr84
                                        ; implicit-def: $vgpr25_vgpr26
                                        ; implicit-def: $vgpr79_vgpr80
                                        ; implicit-def: $vgpr21_vgpr22
                                        ; implicit-def: $vgpr23_vgpr24
                                        ; implicit-def: $vgpr17_vgpr18
                                        ; implicit-def: $vgpr19_vgpr20
                                        ; implicit-def: $vgpr13_vgpr14
                                        ; implicit-def: $vgpr15_vgpr16
                                        ; implicit-def: $vgpr9_vgpr10
                                        ; implicit-def: $vgpr87
	v_lshlrev_b32_e32 v53, 3, v0
	s_cbranch_execnz .LBB135_64
	s_branch .LBB135_72
.LBB135_35:
	s_mov_b32 s4, -1
.LBB135_36:
	s_andn2_b32 vcc_lo, exec_lo, s4
.LBB135_37:
	v_mov_b32_e32 v95, 0
	v_mad_i32_i24 v1, 0xffffffa0, v0, v102
	global_load_dwordx2 v[11:12], v95, s[2:3]
	s_waitcnt lgkmcnt(0)
	ds_write_b64 v1, v[51:52] offset:26624
	s_waitcnt vmcnt(0) lgkmcnt(0)
	s_barrier
	buffer_gl0_inv
	s_and_saveexec_b32 s2, s1
; %bb.38:
	v_mul_i32_i24_e32 v1, 0xffffffa0, v0
	v_add_nc_u32_e32 v1, v102, v1
	ds_read_b64 v[11:12], v1 offset:26616
; %bb.39:
	s_or_b32 exec_lo, exec_lo, s2
	v_mov_b32_e32 v1, s6
	v_mov_b32_e32 v2, s7
	v_mul_u32_u24_e32 v104, 13, v0
	s_waitcnt lgkmcnt(0)
	s_barrier
	buffer_gl0_inv
	ds_write2st64_b64 v27, v[1:2], v[1:2] offset1:4
	ds_write2st64_b64 v27, v[1:2], v[1:2] offset0:8 offset1:12
	ds_write2st64_b64 v27, v[1:2], v[1:2] offset0:16 offset1:20
	;; [unrolled: 1-line block ×5, first 2 shown]
	ds_write_b64 v27, v[1:2] offset:24576
	v_mov_b32_e32 v5, 0
	v_mov_b32_e32 v29, 0
	;; [unrolled: 1-line block ×22, first 2 shown]
	v_cmp_gt_u32_e32 vcc_lo, s5, v104
	v_mov_b32_e32 v99, 0
	v_mov_b32_e32 v6, 0
	;; [unrolled: 1-line block ×44, first 2 shown]
	s_mov_b32 s13, 0
	s_mov_b32 s3, 0
	s_waitcnt lgkmcnt(0)
	s_barrier
	buffer_gl0_inv
                                        ; implicit-def: $sgpr14
                                        ; implicit-def: $vgpr35_vgpr36
	s_and_saveexec_b32 s15, vcc_lo
	s_cbranch_execz .LBB135_63
; %bb.40:
	ds_read_b64 v[1:2], v102
	v_add_nc_u32_e32 v3, 1, v104
	v_mov_b32_e32 v5, 0
	v_mov_b32_e32 v29, 0
	v_mov_b32_e32 v27, 0
	v_mov_b32_e32 v33, 0
	v_cmp_gt_u32_e64 s2, s5, v3
	v_mov_b32_e32 v31, 0
	v_mov_b32_e32 v39, 0
	;; [unrolled: 1-line block ×59, first 2 shown]
	v_cmp_ne_u64_e32 vcc_lo, v[11:12], v[69:70]
                                        ; implicit-def: $sgpr14
                                        ; implicit-def: $vgpr35_vgpr36
	s_and_saveexec_b32 s16, s2
	s_cbranch_execz .LBB135_62
; %bb.41:
	ds_read2_b64 v[9:12], v102 offset0:1 offset1:2
	v_cmp_ne_u64_e64 s2, v[71:72], v[75:76]
	v_cmp_ne_u64_e64 s4, v[69:70], v[73:74]
	v_add_nc_u32_e32 v5, 2, v104
	v_cmp_ne_u64_e64 s3, v[67:68], v[59:60]
	v_mov_b32_e32 v29, 0
	v_mov_b32_e32 v27, 0
	v_cndmask_b32_e64 v3, 0, 1, s2
	v_cmp_ne_u64_e64 s2, v[65:66], v[57:58]
	v_cndmask_b32_e64 v4, 0, 1, s4
	v_cmp_gt_u32_e64 s4, s5, v5
	v_mov_b32_e32 v5, 0
	v_mov_b32_e32 v33, 0
	;; [unrolled: 1-line block ×17, first 2 shown]
	v_lshlrev_b16 v3, 8, v3
	v_mov_b32_e32 v99, 0
	v_mov_b32_e32 v6, 0
	;; [unrolled: 1-line block ×38, first 2 shown]
	s_mov_b32 s36, 0
                                        ; implicit-def: $sgpr14
                                        ; implicit-def: $vgpr35_vgpr36
	s_and_saveexec_b32 s17, s4
	s_cbranch_execz .LBB135_61
; %bb.42:
	v_cndmask_b32_e64 v7, 0, 1, s3
	v_cndmask_b32_e64 v8, 0, 1, s2
	v_add_nc_u32_e32 v13, 3, v104
	v_mov_b32_e32 v5, 0
	v_mov_b32_e32 v29, 0
	v_lshlrev_b16 v7, 8, v7
	v_mov_b32_e32 v27, 0
	v_mov_b32_e32 v33, 0
	;; [unrolled: 1-line block ×4, first 2 shown]
	v_or_b32_e32 v41, v8, v7
	v_mov_b32_e32 v37, 0
	v_mov_b32_e32 v43, 0
	v_cmp_gt_u32_e64 s2, s5, v13
	v_mov_b32_e32 v77, 0
	v_lshlrev_b32_e32 v42, 16, v41
	v_mov_b32_e32 v25, 0
	v_mov_b32_e32 v79, 0
	;; [unrolled: 1-line block ×4, first 2 shown]
	v_or_b32_sdwa v7, v3, v42 dst_sel:DWORD dst_unused:UNUSED_PAD src0_sel:WORD_0 src1_sel:DWORD
	v_mov_b32_e32 v17, 0
	v_mov_b32_e32 v19, 0
	;; [unrolled: 1-line block ×4, first 2 shown]
	v_lshrrev_b32_e32 v94, 8, v7
	v_mov_b32_e32 v7, 0
	v_mov_b32_e32 v6, 0
	;; [unrolled: 1-line block ×34, first 2 shown]
	s_mov_b32 s3, 0
                                        ; implicit-def: $sgpr14
                                        ; implicit-def: $vgpr35_vgpr36
	s_and_saveexec_b32 s36, s2
	s_cbranch_execz .LBB135_60
; %bb.43:
	ds_read2_b64 v[13:16], v102 offset0:3 offset1:4
	v_add_nc_u32_e32 v7, 4, v104
	v_mov_b32_e32 v5, 0
	v_mov_b32_e32 v29, 0
	;; [unrolled: 1-line block ×4, first 2 shown]
	v_cmp_gt_u32_e64 s2, s5, v7
	v_mov_b32_e32 v31, 0
	v_mov_b32_e32 v39, 0
	;; [unrolled: 1-line block ×41, first 2 shown]
                                        ; implicit-def: $sgpr14
                                        ; implicit-def: $vgpr35_vgpr36
	s_and_saveexec_b32 s37, s2
	s_cbranch_execz .LBB135_59
; %bb.44:
	v_add_nc_u32_e32 v7, 5, v104
	v_mov_b32_e32 v5, 0
	v_mov_b32_e32 v29, 0
	;; [unrolled: 1-line block ×4, first 2 shown]
	v_cmp_gt_u32_e64 s2, s5, v7
	v_mov_b32_e32 v31, 0
	v_mov_b32_e32 v39, 0
	;; [unrolled: 1-line block ×34, first 2 shown]
                                        ; implicit-def: $sgpr14
                                        ; implicit-def: $vgpr35_vgpr36
	s_and_saveexec_b32 s40, s2
	s_cbranch_execz .LBB135_58
; %bb.45:
	ds_read2_b64 v[17:20], v102 offset0:5 offset1:6
	v_cmp_ne_u64_e64 s2, v[61:62], v[63:64]
	v_cmp_ne_u64_e64 s4, v[59:60], v[61:62]
	v_add_nc_u32_e32 v6, 6, v104
	v_cmp_ne_u64_e64 s3, v[53:54], v[55:56]
	v_mov_b32_e32 v29, 0
	v_mov_b32_e32 v27, 0
	v_cndmask_b32_e64 v5, 0, 1, s2
	v_cmp_ne_u64_e64 s2, v[63:64], v[53:54]
	v_cndmask_b32_e64 v38, 0, 1, s4
	v_cmp_gt_u32_e64 s4, s5, v6
	v_mov_b32_e32 v33, 0
	v_lshlrev_b16 v37, 8, v5
	v_mov_b32_e32 v5, 0
	v_mov_b32_e32 v31, 0
	;; [unrolled: 1-line block ×30, first 2 shown]
	s_mov_b32 s45, 0
                                        ; implicit-def: $sgpr14
                                        ; implicit-def: $vgpr35_vgpr36
	s_and_saveexec_b32 s41, s4
	s_cbranch_execz .LBB135_57
; %bb.46:
	v_cndmask_b32_e64 v5, 0, 1, s3
	v_cndmask_b32_e64 v7, 0, 1, s2
	v_mov_b32_e32 v29, 0
	v_mov_b32_e32 v27, 0
	;; [unrolled: 1-line block ×3, first 2 shown]
	v_lshlrev_b16 v8, 8, v5
	v_mov_b32_e32 v5, 0
	v_mov_b32_e32 v77, 0
	;; [unrolled: 1-line block ×4, first 2 shown]
	v_or_b32_e32 v31, v7, v8
	v_mov_b32_e32 v7, 0
	v_mov_b32_e32 v21, 0
	v_add_nc_u32_e32 v23, 7, v104
	v_mov_b32_e32 v98, 0
	v_lshlrev_b32_e32 v32, 16, v31
	v_mov_b32_e32 v6, 0
	v_mov_b32_e32 v96, 0
	;; [unrolled: 1-line block ×4, first 2 shown]
	v_or_b32_sdwa v24, v37, v32 dst_sel:DWORD dst_unused:UNUSED_PAD src0_sel:WORD_0 src1_sel:DWORD
	v_mov_b32_e32 v30, 0
	v_mov_b32_e32 v28, 0
	;; [unrolled: 1-line block ×11, first 2 shown]
	v_lshrrev_b32_e32 v93, 8, v24
	v_mov_b32_e32 v84, 0
	s_mov_b32 s3, 0
	s_mov_b32 s45, exec_lo
                                        ; implicit-def: $sgpr14
                                        ; implicit-def: $vgpr35_vgpr36
	v_cmpx_gt_u32_e64 s5, v23
	s_cbranch_execz .LBB135_56
; %bb.47:
	ds_read2_b64 v[21:24], v102 offset0:7 offset1:8
	v_add_nc_u32_e32 v7, 8, v104
	v_mov_b32_e32 v5, 0
	v_mov_b32_e32 v29, 0
	;; [unrolled: 1-line block ×4, first 2 shown]
	v_cmp_gt_u32_e64 s2, s5, v7
	v_mov_b32_e32 v7, 0
	v_mov_b32_e32 v25, 0
	;; [unrolled: 1-line block ×16, first 2 shown]
                                        ; implicit-def: $sgpr14
                                        ; implicit-def: $vgpr35_vgpr36
	s_and_saveexec_b32 s46, s2
	s_cbranch_execz .LBB135_55
; %bb.48:
	v_add_nc_u32_e32 v7, 9, v104
	v_mov_b32_e32 v5, 0
	v_mov_b32_e32 v29, 0
	v_mov_b32_e32 v77, 0
	v_mov_b32_e32 v25, 0
	v_cmp_gt_u32_e64 s2, s5, v7
	v_mov_b32_e32 v7, 0
	v_mov_b32_e32 v6, 0
	;; [unrolled: 1-line block ×10, first 2 shown]
                                        ; implicit-def: $sgpr14
                                        ; implicit-def: $vgpr35_vgpr36
	s_and_saveexec_b32 s47, s2
	s_cbranch_execz .LBB135_54
; %bb.49:
	ds_read2_b64 v[25:28], v102 offset0:9 offset1:10
	v_add_nc_u32_e32 v5, 10, v104
	v_cmp_ne_u64_e64 s2, v[55:56], v[45:46]
	v_mov_b32_e32 v7, 0
	v_mov_b32_e32 v77, 0
	;; [unrolled: 1-line block ×3, first 2 shown]
	v_cmp_gt_u32_e64 s3, s5, v5
	v_mov_b32_e32 v5, 0
	v_mov_b32_e32 v6, 0
	;; [unrolled: 1-line block ×5, first 2 shown]
	s_mov_b32 s4, 0
                                        ; implicit-def: $sgpr14
                                        ; implicit-def: $vgpr35_vgpr36
	s_and_saveexec_b32 s48, s3
	s_cbranch_execz .LBB135_53
; %bb.50:
	v_cmp_ne_u64_e64 s3, v[45:46], v[47:48]
	v_mov_b32_e32 v7, 0
	v_add_nc_u32_e32 v5, 11, v104
	v_mov_b32_e32 v8, 0
	v_mov_b32_e32 v81, 0
	s_mov_b32 s49, 0
	s_mov_b32 s50, exec_lo
                                        ; implicit-def: $sgpr14
                                        ; implicit-def: $vgpr35_vgpr36
	v_cmpx_gt_u32_e64 s5, v5
	s_xor_b32 s50, exec_lo, s50
	s_cbranch_execz .LBB135_52
; %bb.51:
	ds_read2_b64 v[33:36], v102 offset0:11 offset1:12
	v_add_nc_u32_e32 v5, 12, v104
	v_cmp_ne_u64_e64 s14, v[49:50], v[51:52]
	v_cmp_gt_u32_e64 s4, s5, v5
	v_cmp_ne_u64_e64 s5, v[47:48], v[49:50]
	s_and_b32 s49, s4, exec_lo
	v_cndmask_b32_e64 v81, 0, 1, s5
	s_waitcnt lgkmcnt(0)
	v_mov_b32_e32 v7, v33
	v_mov_b32_e32 v8, v34
.LBB135_52:
	s_or_b32 exec_lo, exec_lo, s50
	s_waitcnt lgkmcnt(0)
	v_mov_b32_e32 v5, v27
	v_mov_b32_e32 v78, v28
	v_cndmask_b32_e64 v95, 0, 1, s3
	v_mov_b32_e32 v6, v28
	v_mov_b32_e32 v77, v27
	s_and_b32 s4, s49, exec_lo
.LBB135_53:
	s_or_b32 exec_lo, exec_lo, s48
	v_cndmask_b32_e64 v97, 0, 1, s2
	s_waitcnt lgkmcnt(0)
	v_mov_b32_e32 v30, v26
	v_mov_b32_e32 v29, v25
	s_and_b32 s3, s4, exec_lo
	v_mov_b32_e32 v84, v97
.LBB135_54:
	s_or_b32 exec_lo, exec_lo, s47
	s_waitcnt lgkmcnt(0)
	v_mov_b32_e32 v28, v24
	v_mov_b32_e32 v80, v24
	v_lshrrev_b32_e32 v96, 24, v32
	v_mov_b32_e32 v27, v23
	v_mov_b32_e32 v82, v95
	;; [unrolled: 1-line block ×3, first 2 shown]
	s_and_b32 s3, s3, exec_lo
.LBB135_55:
	s_or_b32 exec_lo, exec_lo, s46
	s_waitcnt lgkmcnt(0)
	v_mov_b32_e32 v34, v22
	v_mov_b32_e32 v98, v31
	;; [unrolled: 1-line block ×4, first 2 shown]
	s_and_b32 s3, s3, exec_lo
.LBB135_56:
	s_or_b32 exec_lo, exec_lo, s45
	s_waitcnt lgkmcnt(0)
	v_mov_b32_e32 v32, v20
	v_mov_b32_e32 v24, v20
	;; [unrolled: 1-line block ×6, first 2 shown]
	s_and_b32 s45, s3, exec_lo
.LBB135_57:
	s_or_b32 exec_lo, exec_lo, s41
	s_waitcnt lgkmcnt(0)
	v_mov_b32_e32 v40, v18
	v_or_b32_e32 v99, v38, v37
	v_mov_b32_e32 v39, v17
	s_and_b32 s3, s45, exec_lo
.LBB135_58:
	s_or_b32 exec_lo, exec_lo, s40
	v_lshrrev_b32_e32 v100, 24, v42
	s_waitcnt lgkmcnt(0)
	v_mov_b32_e32 v38, v16
	v_mov_b32_e32 v20, v16
	v_mov_b32_e32 v37, v15
	v_mov_b32_e32 v88, v99
	v_mov_b32_e32 v89, v100
	v_mov_b32_e32 v19, v15
	s_and_b32 s3, s3, exec_lo
.LBB135_59:
	s_or_b32 exec_lo, exec_lo, s37
	s_waitcnt lgkmcnt(0)
	v_mov_b32_e32 v44, v14
	v_mov_b32_e32 v101, v41
	;; [unrolled: 1-line block ×4, first 2 shown]
	s_and_b32 s3, s3, exec_lo
.LBB135_60:
	s_or_b32 exec_lo, exec_lo, s36
	s_waitcnt lgkmcnt(0)
	v_mov_b32_e32 v42, v12
	v_mov_b32_e32 v16, v12
	;; [unrolled: 1-line block ×5, first 2 shown]
	s_and_b32 s36, s3, exec_lo
.LBB135_61:
	s_or_b32 exec_lo, exec_lo, s17
	v_or_b32_e32 v103, v4, v3
	s_waitcnt lgkmcnt(0)
	v_mov_b32_e32 v3, v9
	v_mov_b32_e32 v4, v10
	s_and_b32 s3, s36, exec_lo
	v_mov_b32_e32 v92, v103
.LBB135_62:
	s_or_b32 exec_lo, exec_lo, s16
	v_cndmask_b32_e64 v105, 0, 1, vcc_lo
	s_and_b32 s3, s3, exec_lo
	v_mov_b32_e32 v87, v105
.LBB135_63:
	s_or_b32 exec_lo, exec_lo, s15
	v_lshlrev_b32_e32 v53, 3, v0
	s_and_b32 vcc_lo, exec_lo, s13
	s_cbranch_vccz .LBB135_72
.LBB135_64:
	v_add_co_u32 v17, s2, s8, v53
	v_add_co_ci_u32_e64 v18, null, s9, 0, s2
	v_mad_u32_u24 v45, 0x60, v0, v53
	s_waitcnt lgkmcnt(0)
	v_add_co_u32 v1, vcc_lo, v17, 0x1000
	v_add_co_ci_u32_e64 v2, null, 0, v18, vcc_lo
	v_add_co_u32 v3, vcc_lo, v17, 0x2000
	v_add_co_ci_u32_e64 v4, null, 0, v18, vcc_lo
	;; [unrolled: 2-line block ×6, first 2 shown]
	s_clause 0xc
	global_load_dwordx2 v[5:6], v53, s[8:9]
	global_load_dwordx2 v[7:8], v[1:2], off offset:-2048
	global_load_dwordx2 v[1:2], v[1:2], off
	global_load_dwordx2 v[9:10], v[3:4], off offset:-2048
	global_load_dwordx2 v[3:4], v[3:4], off
	;; [unrolled: 2-line block ×6, first 2 shown]
	v_mov_b32_e32 v33, 0
	s_cmp_eq_u64 s[10:11], 0
	s_waitcnt vmcnt(11)
	ds_write2st64_b64 v53, v[5:6], v[7:8] offset1:4
	s_waitcnt vmcnt(9)
	ds_write2st64_b64 v53, v[1:2], v[9:10] offset0:8 offset1:12
	s_waitcnt vmcnt(7)
	ds_write2st64_b64 v53, v[3:4], v[19:20] offset0:16 offset1:20
	;; [unrolled: 2-line block ×5, first 2 shown]
	s_waitcnt vmcnt(0)
	ds_write_b64 v53, v[17:18] offset:24576
	s_waitcnt lgkmcnt(0)
	s_barrier
	buffer_gl0_inv
	ds_read2_b64 v[5:8], v45 offset0:2 offset1:3
	ds_read2_b64 v[13:16], v45 offset0:3 offset1:4
	ds_read2_b64 v[9:12], v45 offset1:1
	ds_read2_b64 v[1:4], v45 offset0:1 offset1:2
	ds_read2_b64 v[21:24], v45 offset0:7 offset1:8
	;; [unrolled: 1-line block ×5, first 2 shown]
	s_cbranch_scc1 .LBB135_69
; %bb.65:
	s_add_u32 s8, s8, -8
	s_addc_u32 s9, s9, -1
	s_andn2_b32 vcc_lo, exec_lo, s12
	s_cbranch_vccnz .LBB135_67
; %bb.66:
	s_lshl_b64 s[2:3], s[10:11], 3
	s_add_u32 s2, s42, s2
	s_addc_u32 s3, s43, s3
	s_add_u32 s8, s2, -8
	s_addc_u32 s9, s3, -1
	s_mov_b32 s2, 0
	s_branch .LBB135_68
.LBB135_67:
	s_mov_b32 s2, -1
.LBB135_68:
	s_andn2_b32 vcc_lo, exec_lo, s2
.LBB135_69:
	global_load_dwordx2 v[35:36], v33, s[8:9]
	v_mad_i32_i24 v33, 0xffffffa0, v0, v45
	s_waitcnt lgkmcnt(0)
	ds_write_b64 v33, v[31:32] offset:26624
	s_waitcnt vmcnt(0) lgkmcnt(0)
	s_barrier
	buffer_gl0_inv
	s_and_saveexec_b32 s2, s1
; %bb.70:
	v_mul_i32_i24_e32 v33, 0xffffffa0, v0
	v_add_nc_u32_e32 v33, v45, v33
	ds_read_b64 v[35:36], v33 offset:26616
; %bb.71:
	s_or_b32 exec_lo, exec_lo, s2
	v_cmp_ne_u64_e32 vcc_lo, v[21:22], v[23:24]
	v_cmp_ne_u64_e64 s14, v[29:30], v[31:32]
	s_waitcnt lgkmcnt(0)
	s_barrier
	buffer_gl0_inv
	s_mov_b32 s3, -1
	v_cndmask_b32_e64 v33, 0, 1, vcc_lo
	v_cmp_ne_u64_e32 vcc_lo, v[27:28], v[29:30]
	v_lshlrev_b16 v29, 8, v33
	v_cndmask_b32_e64 v81, 0, 1, vcc_lo
	v_cmp_ne_u64_e32 vcc_lo, v[19:20], v[21:22]
	v_cndmask_b32_e64 v21, 0, 1, vcc_lo
	v_cmp_ne_u64_e32 vcc_lo, v[25:26], v[27:28]
	v_or_b32_e32 v98, v21, v29
	v_cndmask_b32_e64 v95, 0, 1, vcc_lo
	v_cmp_ne_u64_e32 vcc_lo, v[17:18], v[19:20]
	v_mov_b32_e32 v86, v98
	v_mov_b32_e32 v82, v95
	v_cndmask_b32_e64 v19, 0, 1, vcc_lo
	v_cmp_ne_u64_e32 vcc_lo, v[7:8], v[15:16]
	v_lshlrev_b16 v8, 8, v19
	v_lshlrev_b32_e32 v19, 16, v98
	v_cndmask_b32_e64 v7, 0, 1, vcc_lo
	v_cmp_ne_u64_e32 vcc_lo, v[23:24], v[25:26]
	v_lshrrev_b32_e32 v96, 24, v19
	v_lshlrev_b16 v7, 8, v7
	v_cndmask_b32_e64 v97, 0, 1, vcc_lo
	v_cmp_ne_u64_e32 vcc_lo, v[5:6], v[13:14]
	v_mov_b32_e32 v83, v96
	v_mov_b32_e32 v84, v97
	v_cndmask_b32_e64 v5, 0, 1, vcc_lo
	v_cmp_ne_u64_e32 vcc_lo, v[15:16], v[17:18]
	v_or_b32_e32 v101, v5, v7
	v_cndmask_b32_e64 v6, 0, 1, vcc_lo
	v_cmp_ne_u64_e32 vcc_lo, v[11:12], v[3:4]
	v_or_b32_sdwa v4, v8, v19 dst_sel:DWORD dst_unused:UNUSED_PAD src0_sel:WORD_0 src1_sel:DWORD
	v_lshlrev_b32_e32 v11, 16, v101
	v_mov_b32_e32 v90, v101
	v_or_b32_e32 v99, v6, v8
	v_cndmask_b32_e64 v3, 0, 1, vcc_lo
	v_cmp_ne_u64_e32 vcc_lo, v[9:10], v[1:2]
	v_mov_b32_e32 v1, s6
	v_lshrrev_b32_e32 v93, 8, v4
	v_mov_b32_e32 v2, s7
	v_lshlrev_b16 v3, 8, v3
	ds_write2st64_b64 v53, v[1:2], v[1:2] offset1:4
	ds_write2st64_b64 v53, v[1:2], v[1:2] offset0:8 offset1:12
	ds_write2st64_b64 v53, v[1:2], v[1:2] offset0:16 offset1:20
	ds_write2st64_b64 v53, v[1:2], v[1:2] offset0:24 offset1:28
	ds_write2st64_b64 v53, v[1:2], v[1:2] offset0:32 offset1:36
	ds_write2st64_b64 v53, v[1:2], v[1:2] offset0:40 offset1:44
	ds_write_b64 v53, v[1:2] offset:24576
	v_cndmask_b32_e64 v4, 0, 1, vcc_lo
	v_or_b32_sdwa v12, v3, v11 dst_sel:DWORD dst_unused:UNUSED_PAD src0_sel:WORD_0 src1_sel:DWORD
	s_waitcnt lgkmcnt(0)
	s_barrier
	buffer_gl0_inv
	ds_read2_b64 v[27:30], v45 offset0:8 offset1:9
	ds_read2_b64 v[5:8], v45 offset0:10 offset1:11
	v_or_b32_e32 v103, v4, v3
	ds_read2_b64 v[37:40], v45 offset0:4 offset1:5
	ds_read2_b64 v[31:34], v45 offset0:6 offset1:7
	ds_read2_b64 v[1:4], v45 offset1:1
	ds_read2_b64 v[41:44], v45 offset0:2 offset1:3
	v_cmp_ne_u64_e32 vcc_lo, v[35:36], v[9:10]
	ds_read_b64 v[35:36], v45 offset:96
	v_lshrrev_b32_e32 v100, 24, v11
	v_lshrrev_b32_e32 v94, 8, v12
	v_mov_b32_e32 v88, v99
	v_mov_b32_e32 v85, v93
	v_cndmask_b32_e64 v105, 0, 1, vcc_lo
	v_mov_b32_e32 v92, v103
	v_mov_b32_e32 v91, v94
	;; [unrolled: 1-line block ×4, first 2 shown]
	s_waitcnt lgkmcnt(6)
	v_mov_b32_e32 v25, v29
	s_waitcnt lgkmcnt(5)
	v_mov_b32_e32 v78, v6
	v_mov_b32_e32 v80, v28
	s_waitcnt lgkmcnt(3)
	v_mov_b32_e32 v21, v33
	v_mov_b32_e32 v23, v31
	;; [unrolled: 1-line block ×4, first 2 shown]
	s_waitcnt lgkmcnt(1)
	v_mov_b32_e32 v13, v43
	v_mov_b32_e32 v15, v41
	;; [unrolled: 1-line block ×13, first 2 shown]
.LBB135_72:
	v_mov_b32_e32 v11, 0
	v_mov_b32_e32 v12, 0
	;; [unrolled: 1-line block ×3, first 2 shown]
	s_and_saveexec_b32 s2, s3
	s_cbranch_execz .LBB135_74
; %bb.73:
	v_mov_b32_e32 v10, v4
	v_mov_b32_e32 v15, v41
	;; [unrolled: 1-line block ×10, first 2 shown]
	s_waitcnt lgkmcnt(0)
	v_mov_b32_e32 v11, v35
	v_cndmask_b32_e64 v55, 0, 1, s14
	v_mov_b32_e32 v87, v105
	v_mov_b32_e32 v9, v3
	;; [unrolled: 1-line block ×22, first 2 shown]
.LBB135_74:
	s_or_b32 exec_lo, exec_lo, s2
	v_and_b32_e32 v61, 1, v88
	v_and_b32_e32 v62, 1, v83
	;; [unrolled: 1-line block ×5, first 2 shown]
	v_or_b32_e32 v57, v89, v90
	v_or_b32_e32 v56, v86, v85
	;; [unrolled: 1-line block ×3, first 2 shown]
	v_cmp_eq_u32_e64 s17, 1, v61
	v_cmp_eq_u32_e64 s15, 1, v62
	;; [unrolled: 1-line block ×3, first 2 shown]
	v_cmp_eq_u16_e64 s2, 0, v55
	v_cmp_eq_u32_e64 s14, 1, v59
	v_mbcnt_lo_u32_b32 v54, -1, 0
	s_cmp_lg_u32 s44, 0
	v_cmp_eq_u32_e32 vcc_lo, 1, v63
	s_waitcnt lgkmcnt(0)
	s_barrier
	buffer_gl0_inv
	s_cbranch_scc0 .LBB135_132
; %bb.75:
	v_mov_b32_e32 v3, 0
	v_or_b32_e32 v6, v92, v87
	v_cmp_eq_u16_sdwa s12, v92, v3 src0_sel:BYTE_0 src1_sel:DWORD
	v_cmp_eq_u16_sdwa s13, v91, v3 src0_sel:BYTE_0 src1_sel:DWORD
	;; [unrolled: 1-line block ×5, first 2 shown]
	v_cndmask_b32_e64 v5, 0, v1, s12
	v_cndmask_b32_e64 v4, 0, v2, s12
	v_cmp_eq_u16_sdwa s8, v85, v3 src0_sel:BYTE_0 src1_sel:DWORD
	v_cmp_eq_u16_sdwa s7, v86, v3 src0_sel:BYTE_0 src1_sel:DWORD
	;; [unrolled: 1-line block ×3, first 2 shown]
	v_add_co_u32 v5, s3, v5, v9
	v_add_co_ci_u32_e64 v4, null, v4, v10, s3
	v_cmp_eq_u16_sdwa s4, v84, v3 src0_sel:BYTE_0 src1_sel:DWORD
	v_cndmask_b32_e64 v5, 0, v5, s13
	v_cmp_ne_u16_sdwa s40, v58, v3 src0_sel:BYTE_0 src1_sel:DWORD
	v_cndmask_b32_e64 v4, 0, v4, s13
	v_cmp_ne_u16_sdwa s36, v6, v3 src0_sel:BYTE_0 src1_sel:DWORD
	v_cmp_ne_u16_sdwa s37, v57, v3 src0_sel:BYTE_0 src1_sel:DWORD
	v_add_co_u32 v5, s3, v5, v15
	v_add_co_ci_u32_e64 v4, null, v4, v16, s3
	v_cmp_ne_u16_sdwa s41, v56, v3 src0_sel:BYTE_0 src1_sel:DWORD
	v_cndmask_b32_e64 v5, 0, v5, s11
	s_or_b32 s16, s40, s16
	v_cndmask_b32_e64 v4, 0, v4, s11
	s_or_b32 s16, s14, s16
	s_or_b32 s15, s41, s15
	v_add_co_u32 v5, s3, v5, v13
	v_add_co_ci_u32_e64 v4, null, v4, v14, s3
	s_or_b32 s17, s37, s17
	v_cndmask_b32_e64 v5, 0, v5, s10
	v_cndmask_b32_e64 v4, 0, v4, s10
	v_add_co_u32 v5, s3, v5, v19
	v_add_co_ci_u32_e64 v4, null, v4, v20, s3
	v_cndmask_b32_e64 v5, 0, v5, s9
	v_cndmask_b32_e64 v4, 0, v4, s9
	v_add_co_u32 v5, s3, v5, v17
	v_add_co_ci_u32_e64 v4, null, v4, v18, s3
	;; [unrolled: 4-line block ×6, first 2 shown]
	v_cmp_eq_u16_sdwa s3, v82, v3 src0_sel:BYTE_0 src1_sel:DWORD
	v_cndmask_b32_e64 v5, 0, v5, s3
	v_cndmask_b32_e64 v4, 0, v4, s3
	v_add_co_u32 v5, s5, v5, v77
	v_add_co_ci_u32_e64 v4, null, v4, v78, s5
	v_cmp_eq_u16_sdwa s5, v81, v3 src0_sel:BYTE_0 src1_sel:DWORD
	v_cndmask_b32_e64 v3, 0, v4, s5
	v_cndmask_b32_e64 v4, 0, v5, s5
	v_add_co_u32 v4, s14, v4, v7
	v_add_co_ci_u32_e64 v3, null, v3, v8, s14
	s_or_b32 s14, s16, s15
	v_cndmask_b32_e64 v4, 0, v4, s2
	s_or_b32 s15, s36, vcc_lo
	v_cndmask_b32_e64 v6, 0, v3, s2
	s_or_b32 s14, s14, s17
	s_or_b32 s14, s14, s15
	v_add_co_u32 v5, vcc_lo, v4, v11
	v_cndmask_b32_e64 v3, 0, 1, s14
	v_add_co_ci_u32_e64 v6, null, v6, v12, vcc_lo
	v_and_b32_e32 v4, 15, v54
	v_mov_b32_dpp v28, v5 row_shr:1 row_mask:0xf bank_mask:0xf
	v_mov_b32_dpp v27, v3 row_shr:1 row_mask:0xf bank_mask:0xf
	;; [unrolled: 1-line block ×3, first 2 shown]
	s_mov_b32 s15, exec_lo
	v_cmpx_ne_u32_e32 0, v4
; %bb.76:
	v_cndmask_b32_e64 v28, v28, 0, s14
	v_cndmask_b32_e64 v29, v29, 0, s14
	v_and_or_b32 v3, v27, 1, v3
	v_add_co_u32 v5, vcc_lo, v28, v5
	v_add_co_ci_u32_e64 v6, null, v29, v6, vcc_lo
; %bb.77:
	s_or_b32 exec_lo, exec_lo, s15
	v_mov_b32_dpp v28, v5 row_shr:2 row_mask:0xf bank_mask:0xf
	v_mov_b32_dpp v29, v6 row_shr:2 row_mask:0xf bank_mask:0xf
	v_mov_b32_dpp v27, v3 row_shr:2 row_mask:0xf bank_mask:0xf
	s_mov_b32 s14, exec_lo
	v_cmpx_lt_u32_e32 1, v4
	s_cbranch_execz .LBB135_79
; %bb.78:
	v_cmp_eq_u16_e32 vcc_lo, 0, v3
	v_or_b32_e32 v3, v27, v3
	v_cndmask_b32_e32 v28, 0, v28, vcc_lo
	v_cndmask_b32_e32 v29, 0, v29, vcc_lo
	v_and_b32_e32 v3, 1, v3
	v_add_co_u32 v5, vcc_lo, v28, v5
	v_add_co_ci_u32_e64 v6, null, v29, v6, vcc_lo
.LBB135_79:
	s_or_b32 exec_lo, exec_lo, s14
	v_mov_b32_dpp v28, v5 row_shr:4 row_mask:0xf bank_mask:0xf
	v_mov_b32_dpp v29, v6 row_shr:4 row_mask:0xf bank_mask:0xf
	v_mov_b32_dpp v27, v3 row_shr:4 row_mask:0xf bank_mask:0xf
	s_mov_b32 s14, exec_lo
	v_cmpx_lt_u32_e32 3, v4
	s_cbranch_execz .LBB135_81
; %bb.80:
	v_cmp_eq_u16_e32 vcc_lo, 0, v3
	v_or_b32_e32 v3, v27, v3
	v_cndmask_b32_e32 v28, 0, v28, vcc_lo
	v_cndmask_b32_e32 v29, 0, v29, vcc_lo
	v_and_b32_e32 v3, 1, v3
	v_add_co_u32 v5, vcc_lo, v28, v5
	v_add_co_ci_u32_e64 v6, null, v29, v6, vcc_lo
.LBB135_81:
	;; [unrolled: 16-line block ×3, first 2 shown]
	s_or_b32 exec_lo, exec_lo, s14
	ds_swizzle_b32 v4, v5 offset:swizzle(BROADCAST,32,15)
	ds_swizzle_b32 v28, v6 offset:swizzle(BROADCAST,32,15)
	;; [unrolled: 1-line block ×3, first 2 shown]
	v_and_b32_e32 v27, 16, v54
	v_cmp_ne_u32_e32 vcc_lo, 0, v27
	v_mov_b32_e32 v27, v3
	s_and_saveexec_b32 s16, vcc_lo
	s_cbranch_execz .LBB135_85
; %bb.84:
	v_cmp_eq_u16_e32 vcc_lo, 0, v3
	v_and_b32_e32 v3, 1, v3
	s_waitcnt lgkmcnt(0)
	v_and_b32_e32 v27, 1, v29
	v_cndmask_b32_e32 v28, 0, v28, vcc_lo
	v_cndmask_b32_e32 v4, 0, v4, vcc_lo
	v_cmp_eq_u32_e32 vcc_lo, 1, v3
	v_cmp_eq_u32_e64 s14, 1, v27
	v_add_co_u32 v5, s15, v4, v5
	s_or_b32 s14, vcc_lo, s14
	v_add_co_ci_u32_e64 v6, null, v28, v6, s15
	v_cndmask_b32_e64 v3, 0, 1, s14
	v_cndmask_b32_e64 v27, 0, 1, s14
.LBB135_85:
	s_or_b32 exec_lo, exec_lo, s16
	s_waitcnt lgkmcnt(1)
	v_lshrrev_b32_e32 v28, 5, v0
	v_or_b32_e32 v4, 31, v0
	s_mov_b32 s14, exec_lo
	v_lshlrev_b32_e32 v28, 4, v28
	v_cmpx_eq_u32_e64 v0, v4
	s_cbranch_execz .LBB135_87
; %bb.86:
	ds_write_b64 v28, v[5:6]
	ds_write_b8 v28, v3 offset:8
.LBB135_87:
	s_or_b32 exec_lo, exec_lo, s14
	s_mov_b32 s16, exec_lo
	s_waitcnt lgkmcnt(0)
	s_barrier
	buffer_gl0_inv
	v_cmpx_gt_u32_e32 8, v0
	s_cbranch_execz .LBB135_95
; %bb.88:
	v_lshlrev_b32_e32 v29, 4, v0
	v_and_b32_e32 v30, 7, v54
	s_mov_b32 s14, exec_lo
	ds_read_b64 v[3:4], v29
	ds_read_b32 v34, v29 offset:8
	s_waitcnt lgkmcnt(1)
	v_mov_b32_dpp v35, v3 row_shr:1 row_mask:0xf bank_mask:0xf
	v_mov_b32_dpp v36, v4 row_shr:1 row_mask:0xf bank_mask:0xf
	s_waitcnt lgkmcnt(0)
	v_and_b32_e32 v32, 0xffffff00, v34
	v_mov_b32_dpp v37, v34 row_shr:1 row_mask:0xf bank_mask:0xf
	v_mov_b32_e32 v33, v34
	v_mov_b32_e32 v31, v34
	v_cmpx_ne_u32_e32 0, v30
	s_cbranch_execz .LBB135_90
; %bb.89:
	v_mov_b32_e32 v31, 0
	v_cmp_eq_u16_sdwa vcc_lo, v34, v31 src0_sel:BYTE_0 src1_sel:DWORD
	v_or_b32_e32 v31, v37, v34
	v_cndmask_b32_e32 v35, 0, v35, vcc_lo
	v_cndmask_b32_e32 v34, 0, v36, vcc_lo
	v_and_b32_e32 v33, 1, v31
	v_and_b32_e32 v31, 1, v31
	v_add_co_u32 v3, vcc_lo, v35, v3
	v_add_co_ci_u32_e64 v4, null, v34, v4, vcc_lo
	v_or_b32_e32 v34, v31, v32
.LBB135_90:
	s_or_b32 exec_lo, exec_lo, s14
	v_mov_b32_dpp v35, v3 row_shr:2 row_mask:0xf bank_mask:0xf
	v_mov_b32_dpp v36, v4 row_shr:2 row_mask:0xf bank_mask:0xf
	;; [unrolled: 1-line block ×3, first 2 shown]
	s_mov_b32 s17, exec_lo
	v_cmpx_lt_u32_e32 1, v30
	s_cbranch_execz .LBB135_92
; %bb.91:
	v_mov_b32_e32 v33, 0
	v_and_b32_e32 v34, 1, v31
	v_and_b32_e32 v37, 1, v37
	v_cmp_eq_u16_sdwa vcc_lo, v31, v33 src0_sel:BYTE_0 src1_sel:DWORD
	v_cmp_eq_u32_e64 s14, 1, v34
	v_cmp_eq_u32_e64 s15, 1, v37
	v_cndmask_b32_e32 v34, 0, v35, vcc_lo
	v_cndmask_b32_e32 v31, 0, v36, vcc_lo
	s_or_b32 s14, s14, s15
	v_cndmask_b32_e64 v33, 0, 1, s14
	v_cndmask_b32_e64 v35, 0, 1, s14
	v_add_co_u32 v3, vcc_lo, v34, v3
	v_add_co_ci_u32_e64 v4, null, v31, v4, vcc_lo
	v_or_b32_e32 v34, v32, v35
	v_mov_b32_e32 v31, v33
.LBB135_92:
	s_or_b32 exec_lo, exec_lo, s17
	v_mov_b32_dpp v32, v3 row_shr:4 row_mask:0xf bank_mask:0xf
	v_mov_b32_dpp v35, v4 row_shr:4 row_mask:0xf bank_mask:0xf
	;; [unrolled: 1-line block ×3, first 2 shown]
	s_mov_b32 s17, exec_lo
	v_cmpx_lt_u32_e32 3, v30
	s_cbranch_execz .LBB135_94
; %bb.93:
	v_mov_b32_e32 v30, 0
	v_cmp_eq_u16_sdwa vcc_lo, v31, v30 src0_sel:BYTE_0 src1_sel:DWORD
	v_and_b32_e32 v30, 1, v31
	v_and_b32_e32 v31, 1, v34
	v_cndmask_b32_e32 v33, 0, v35, vcc_lo
	v_cndmask_b32_e32 v32, 0, v32, vcc_lo
	v_cmp_eq_u32_e32 vcc_lo, 1, v30
	v_cmp_eq_u32_e64 s14, 1, v31
	v_add_co_u32 v3, s15, v32, v3
	s_or_b32 s14, vcc_lo, s14
	v_add_co_ci_u32_e64 v4, null, v33, v4, s15
	v_cndmask_b32_e64 v33, 0, 1, s14
.LBB135_94:
	s_or_b32 exec_lo, exec_lo, s17
	ds_write_b64 v29, v[3:4]
	ds_write_b8 v29, v33 offset:8
.LBB135_95:
	s_or_b32 exec_lo, exec_lo, s16
	v_mov_b32_e32 v3, 0
	v_mov_b32_e32 v4, 0
	;; [unrolled: 1-line block ×3, first 2 shown]
	s_mov_b32 s15, exec_lo
	v_cmp_gt_u32_e32 vcc_lo, 32, v0
	s_waitcnt lgkmcnt(0)
	s_barrier
	buffer_gl0_inv
	v_cmpx_lt_u32_e32 31, v0
	s_cbranch_execz .LBB135_97
; %bb.96:
	v_add_nc_u32_e32 v3, -16, v28
	v_add_nc_u32_e32 v28, -8, v28
	v_cmp_eq_u32_e64 s14, 0, v27
	ds_read_b64 v[3:4], v3
	ds_read_u8 v28, v28
	s_waitcnt lgkmcnt(1)
	v_cndmask_b32_e64 v30, 0, v3, s14
	v_cndmask_b32_e64 v29, 0, v4, s14
	s_waitcnt lgkmcnt(0)
	v_or_b32_e32 v27, v28, v27
	v_and_b32_e32 v33, 1, v28
	v_add_co_u32 v5, s14, v30, v5
	v_add_co_ci_u32_e64 v6, null, v29, v6, s14
	v_and_b32_e32 v27, 1, v27
.LBB135_97:
	s_or_b32 exec_lo, exec_lo, s15
	v_sub_co_u32 v28, s14, v54, 1
	v_cmp_gt_i32_e64 s15, 0, v28
	v_cndmask_b32_e64 v28, v28, v54, s15
	v_lshlrev_b32_e32 v28, 2, v28
	ds_bpermute_b32 v34, v28, v5
	ds_bpermute_b32 v35, v28, v6
	;; [unrolled: 1-line block ×3, first 2 shown]
	s_and_saveexec_b32 s17, vcc_lo
	s_cbranch_execz .LBB135_137
; %bb.98:
	v_mov_b32_e32 v29, 0
	ds_read_b64 v[5:6], v29 offset:112
	ds_read_u8 v37, v29 offset:120
	s_and_saveexec_b32 s15, s14
	s_cbranch_execz .LBB135_100
; %bb.99:
	s_add_i32 s36, s44, 32
	s_mov_b32 s37, 0
	v_mov_b32_e32 v27, 1
	s_lshl_b64 s[40:41], s[36:37], 4
	v_mov_b32_e32 v28, s36
	s_add_u32 s40, s20, s40
	s_addc_u32 s41, s21, s41
	s_waitcnt lgkmcnt(1)
	global_store_dwordx2 v29, v[5:6], s[40:41]
	s_waitcnt lgkmcnt(0)
	global_store_byte v29, v37, s[40:41] offset:8
	s_waitcnt_vscnt null, 0x0
	buffer_gl1_inv
	buffer_gl0_inv
	global_store_byte v28, v27, s[24:25]
.LBB135_100:
	s_or_b32 exec_lo, exec_lo, s15
	v_xad_u32 v27, v54, -1, s44
	s_mov_b32 s16, 0
	s_mov_b32 s15, exec_lo
	v_add_nc_u32_e32 v28, 32, v27
	global_load_ubyte v38, v28, s[24:25] glc dlc
	s_waitcnt vmcnt(0)
	v_cmpx_eq_u16_e32 0, v38
	s_cbranch_execz .LBB135_104
; %bb.101:
	v_add_co_u32 v30, s36, s24, v28
	v_add_co_ci_u32_e64 v31, null, s25, 0, s36
.LBB135_102:                            ; =>This Inner Loop Header: Depth=1
	global_load_ubyte v38, v[30:31], off glc dlc
	s_waitcnt vmcnt(0)
	v_cmp_ne_u16_e32 vcc_lo, 0, v38
	s_or_b32 s16, vcc_lo, s16
	s_andn2_b32 exec_lo, exec_lo, s16
	s_cbranch_execnz .LBB135_102
; %bb.103:
	s_or_b32 exec_lo, exec_lo, s16
.LBB135_104:
	s_or_b32 exec_lo, exec_lo, s15
	v_cmp_eq_u16_e32 vcc_lo, 1, v38
	v_mov_b32_e32 v31, s20
	v_mov_b32_e32 v30, s21
	v_lshlrev_b64 v[28:29], 4, v[28:29]
	s_waitcnt lgkmcnt(0)
	s_waitcnt_vscnt null, 0x0
	buffer_gl1_inv
	buffer_gl0_inv
	v_lshlrev_b32_e64 v40, v54, -1
	v_cndmask_b32_e32 v31, s22, v31, vcc_lo
	v_cndmask_b32_e32 v30, s23, v30, vcc_lo
	s_mov_b32 s15, exec_lo
	v_add_co_u32 v28, vcc_lo, v31, v28
	v_add_co_ci_u32_e64 v29, null, v30, v29, vcc_lo
	v_cmp_ne_u32_e32 vcc_lo, 31, v54
	s_clause 0x1
	global_load_ubyte v51, v[28:29], off offset:8
	global_load_dwordx2 v[31:32], v[28:29], off
	v_add_co_ci_u32_e64 v28, null, 0, v54, vcc_lo
	v_cmp_eq_u16_e32 vcc_lo, 2, v38
	v_lshlrev_b32_e32 v39, 2, v28
	v_and_or_b32 v28, vcc_lo, v40, 0x80000000
	v_ffbl_b32_e32 v28, v28
	s_waitcnt vmcnt(1)
	v_and_b32_e32 v29, 1, v51
	s_waitcnt vmcnt(0)
	ds_bpermute_b32 v30, v39, v31
	ds_bpermute_b32 v41, v39, v32
	;; [unrolled: 1-line block ×3, first 2 shown]
	v_cmpx_lt_u32_e64 v54, v28
	s_cbranch_execz .LBB135_106
; %bb.105:
	v_mov_b32_e32 v29, 0
	v_cmp_eq_u16_sdwa vcc_lo, v51, v29 src0_sel:BYTE_0 src1_sel:DWORD
	s_waitcnt lgkmcnt(0)
	v_and_b32_e32 v29, 1, v42
	v_cndmask_b32_e32 v30, 0, v30, vcc_lo
	v_cndmask_b32_e32 v41, 0, v41, vcc_lo
	v_or_b32_e32 v51, v29, v51
	v_add_co_u32 v31, vcc_lo, v30, v31
	v_add_co_ci_u32_e64 v32, null, v41, v32, vcc_lo
	v_and_b32_e32 v29, 0xff, v51
.LBB135_106:
	s_or_b32 exec_lo, exec_lo, s15
	v_cmp_gt_u32_e32 vcc_lo, 30, v54
	s_waitcnt lgkmcnt(0)
	v_add_nc_u32_e32 v42, 2, v54
	s_mov_b32 s36, exec_lo
	v_cndmask_b32_e64 v30, 0, 2, vcc_lo
	v_add_lshl_u32 v41, v30, v54, 2
	ds_bpermute_b32 v30, v41, v31
	ds_bpermute_b32 v43, v41, v32
	ds_bpermute_b32 v44, v41, v29
	v_cmpx_le_u32_e64 v42, v28
	s_cbranch_execz .LBB135_108
; %bb.107:
	v_mov_b32_e32 v29, 0
	v_and_b32_e32 v45, 1, v51
	s_waitcnt lgkmcnt(0)
	v_and_b32_e32 v44, 1, v44
	v_cmp_eq_u16_sdwa vcc_lo, v51, v29 src0_sel:BYTE_0 src1_sel:DWORD
	v_cmp_eq_u32_e64 s15, 1, v45
	v_cmp_eq_u32_e64 s16, 1, v44
	v_cndmask_b32_e32 v30, 0, v30, vcc_lo
	v_cndmask_b32_e32 v29, 0, v43, vcc_lo
	s_or_b32 s15, s15, s16
	v_cndmask_b32_e64 v51, 0, 1, s15
	v_add_co_u32 v31, vcc_lo, v30, v31
	v_add_co_ci_u32_e64 v32, null, v29, v32, vcc_lo
	v_cndmask_b32_e64 v29, 0, 1, s15
.LBB135_108:
	s_or_b32 exec_lo, exec_lo, s36
	v_cmp_gt_u32_e32 vcc_lo, 28, v54
	s_waitcnt lgkmcnt(0)
	v_add_nc_u32_e32 v44, 4, v54
	s_mov_b32 s36, exec_lo
	v_cndmask_b32_e64 v30, 0, 4, vcc_lo
	v_add_lshl_u32 v43, v30, v54, 2
	ds_bpermute_b32 v30, v43, v31
	ds_bpermute_b32 v45, v43, v32
	ds_bpermute_b32 v46, v43, v29
	v_cmpx_le_u32_e64 v44, v28
	s_cbranch_execz .LBB135_110
; %bb.109:
	v_mov_b32_e32 v29, 0
	v_and_b32_e32 v47, 1, v51
	s_waitcnt lgkmcnt(0)
	v_and_b32_e32 v46, 1, v46
	v_cmp_eq_u16_sdwa vcc_lo, v51, v29 src0_sel:BYTE_0 src1_sel:DWORD
	v_cmp_eq_u32_e64 s15, 1, v47
	v_cmp_eq_u32_e64 s16, 1, v46
	v_cndmask_b32_e32 v30, 0, v30, vcc_lo
	v_cndmask_b32_e32 v29, 0, v45, vcc_lo
	s_or_b32 s15, s15, s16
	v_cndmask_b32_e64 v51, 0, 1, s15
	v_add_co_u32 v31, vcc_lo, v30, v31
	v_add_co_ci_u32_e64 v32, null, v29, v32, vcc_lo
	v_cndmask_b32_e64 v29, 0, 1, s15
.LBB135_110:
	;; [unrolled: 28-line block ×3, first 2 shown]
	s_or_b32 exec_lo, exec_lo, s36
	s_waitcnt lgkmcnt(0)
	v_lshl_or_b32 v48, v54, 2, 64
	v_add_nc_u32_e32 v49, 16, v54
	s_mov_b32 s36, exec_lo
	ds_bpermute_b32 v30, v48, v31
	ds_bpermute_b32 v47, v48, v32
	ds_bpermute_b32 v29, v48, v29
	v_cmpx_le_u32_e64 v49, v28
	s_cbranch_execz .LBB135_114
; %bb.113:
	v_mov_b32_e32 v28, 0
	s_waitcnt lgkmcnt(0)
	v_and_b32_e32 v29, 1, v29
	v_cmp_eq_u16_sdwa vcc_lo, v51, v28 src0_sel:BYTE_0 src1_sel:DWORD
	v_and_b32_e32 v28, 1, v51
	v_cmp_eq_u32_e64 s15, 1, v29
	v_cndmask_b32_e32 v47, 0, v47, vcc_lo
	v_cndmask_b32_e32 v30, 0, v30, vcc_lo
	v_cmp_eq_u32_e32 vcc_lo, 1, v28
	v_add_co_u32 v31, s16, v30, v31
	s_or_b32 s15, vcc_lo, s15
	v_add_co_ci_u32_e64 v32, null, v47, v32, s16
	v_cndmask_b32_e64 v51, 0, 1, s15
.LBB135_114:
	s_or_b32 exec_lo, exec_lo, s36
	v_mov_b32_e32 v28, 0
	v_mov_b32_e32 v50, 2
	s_branch .LBB135_117
.LBB135_115:                            ;   in Loop: Header=BB135_117 Depth=1
	s_or_b32 exec_lo, exec_lo, s37
	v_cmp_eq_u16_sdwa vcc_lo, v47, v28 src0_sel:BYTE_0 src1_sel:DWORD
	v_and_b32_e32 v51, 1, v47
	v_subrev_nc_u32_e32 v27, 32, v27
	v_cndmask_b32_e32 v31, 0, v31, vcc_lo
	v_cndmask_b32_e32 v32, 0, v32, vcc_lo
	v_cmp_eq_u32_e32 vcc_lo, 1, v51
	v_add_co_u32 v31, s15, v31, v29
	v_add_co_ci_u32_e64 v32, null, v32, v30, s15
	s_or_b32 s15, vcc_lo, s36
	v_cndmask_b32_e64 v51, 0, 1, s15
	s_mov_b32 s15, 0
.LBB135_116:                            ;   in Loop: Header=BB135_117 Depth=1
	s_and_b32 vcc_lo, exec_lo, s15
	s_cbranch_vccnz .LBB135_133
.LBB135_117:                            ; =>This Loop Header: Depth=1
                                        ;     Child Loop BB135_120 Depth 2
	v_cmp_ne_u16_sdwa s15, v38, v50 src0_sel:BYTE_0 src1_sel:DWORD
	s_waitcnt lgkmcnt(0)
	v_mov_b32_e32 v29, v31
	v_mov_b32_e32 v47, v51
	;; [unrolled: 1-line block ×3, first 2 shown]
                                        ; implicit-def: $vgpr51
                                        ; implicit-def: $vgpr31_vgpr32
                                        ; implicit-def: $vgpr38
	s_cmp_lg_u32 s15, exec_lo
	s_mov_b32 s15, -1
	s_cbranch_scc1 .LBB135_116
; %bb.118:                              ;   in Loop: Header=BB135_117 Depth=1
	global_load_ubyte v38, v27, s[24:25] glc dlc
	s_mov_b32 s15, exec_lo
	s_waitcnt vmcnt(0)
	v_cmpx_eq_u16_e32 0, v38
	s_cbranch_execz .LBB135_122
; %bb.119:                              ;   in Loop: Header=BB135_117 Depth=1
	v_add_co_u32 v31, s16, s24, v27
	v_add_co_ci_u32_e64 v32, null, s25, 0, s16
	s_mov_b32 s16, 0
.LBB135_120:                            ;   Parent Loop BB135_117 Depth=1
                                        ; =>  This Inner Loop Header: Depth=2
	global_load_ubyte v38, v[31:32], off glc dlc
	s_waitcnt vmcnt(0)
	v_cmp_ne_u16_e32 vcc_lo, 0, v38
	s_or_b32 s16, vcc_lo, s16
	s_andn2_b32 exec_lo, exec_lo, s16
	s_cbranch_execnz .LBB135_120
; %bb.121:                              ;   in Loop: Header=BB135_117 Depth=1
	s_or_b32 exec_lo, exec_lo, s16
.LBB135_122:                            ;   in Loop: Header=BB135_117 Depth=1
	s_or_b32 exec_lo, exec_lo, s15
	v_cmp_eq_u16_e32 vcc_lo, 1, v38
	v_mov_b32_e32 v52, s20
	v_mov_b32_e32 v51, s21
	v_lshlrev_b64 v[31:32], 4, v[27:28]
	buffer_gl1_inv
	buffer_gl0_inv
	s_mov_b32 s15, exec_lo
	v_cndmask_b32_e32 v52, s22, v52, vcc_lo
	v_cndmask_b32_e32 v51, s23, v51, vcc_lo
	v_add_co_u32 v31, vcc_lo, v52, v31
	v_add_co_ci_u32_e64 v32, null, v51, v32, vcc_lo
	v_cmp_eq_u16_e32 vcc_lo, 2, v38
	s_clause 0x1
	global_load_ubyte v52, v[31:32], off offset:8
	global_load_dwordx2 v[31:32], v[31:32], off
	v_and_or_b32 v51, vcc_lo, v40, 0x80000000
	v_ffbl_b32_e32 v51, v51
	s_waitcnt vmcnt(1)
	v_and_b32_e32 v64, 1, v52
	s_waitcnt vmcnt(0)
	ds_bpermute_b32 v65, v39, v31
	ds_bpermute_b32 v66, v39, v32
	;; [unrolled: 1-line block ×3, first 2 shown]
	v_cmpx_lt_u32_e64 v54, v51
	s_cbranch_execz .LBB135_124
; %bb.123:                              ;   in Loop: Header=BB135_117 Depth=1
	v_cmp_eq_u16_sdwa vcc_lo, v52, v28 src0_sel:BYTE_0 src1_sel:DWORD
	s_waitcnt lgkmcnt(0)
	v_and_b32_e32 v64, 1, v67
	v_cndmask_b32_e32 v65, 0, v65, vcc_lo
	v_cndmask_b32_e32 v66, 0, v66, vcc_lo
	v_or_b32_e32 v52, v64, v52
	v_add_co_u32 v31, vcc_lo, v65, v31
	v_add_co_ci_u32_e64 v32, null, v66, v32, vcc_lo
	v_and_b32_e32 v64, 0xff, v52
.LBB135_124:                            ;   in Loop: Header=BB135_117 Depth=1
	s_or_b32 exec_lo, exec_lo, s15
	s_waitcnt lgkmcnt(2)
	ds_bpermute_b32 v65, v41, v31
	s_waitcnt lgkmcnt(2)
	ds_bpermute_b32 v66, v41, v32
	;; [unrolled: 2-line block ×3, first 2 shown]
	v_and_b32_e32 v68, 1, v52
	s_mov_b32 s16, exec_lo
	v_cmp_eq_u32_e64 s36, 1, v68
	v_cmpx_le_u32_e64 v42, v51
	s_cbranch_execz .LBB135_126
; %bb.125:                              ;   in Loop: Header=BB135_117 Depth=1
	v_cmp_eq_u16_sdwa vcc_lo, v52, v28 src0_sel:BYTE_0 src1_sel:DWORD
	s_waitcnt lgkmcnt(0)
	v_and_b32_e32 v52, 1, v67
	v_cndmask_b32_e32 v65, 0, v65, vcc_lo
	v_cndmask_b32_e32 v64, 0, v66, vcc_lo
	v_cmp_eq_u32_e32 vcc_lo, 1, v52
	v_add_co_u32 v31, s15, v65, v31
	v_add_co_ci_u32_e64 v32, null, v64, v32, s15
	s_or_b32 s15, s36, vcc_lo
	s_andn2_b32 s36, s36, exec_lo
	v_cndmask_b32_e64 v52, 0, 1, s15
	v_cndmask_b32_e64 v64, 0, 1, s15
	s_and_b32 s15, s15, exec_lo
	s_or_b32 s36, s36, s15
.LBB135_126:                            ;   in Loop: Header=BB135_117 Depth=1
	s_or_b32 exec_lo, exec_lo, s16
	s_waitcnt lgkmcnt(2)
	ds_bpermute_b32 v65, v43, v31
	s_waitcnt lgkmcnt(2)
	ds_bpermute_b32 v66, v43, v32
	;; [unrolled: 2-line block ×3, first 2 shown]
	s_mov_b32 s37, exec_lo
	v_cmpx_le_u32_e64 v44, v51
	s_cbranch_execz .LBB135_128
; %bb.127:                              ;   in Loop: Header=BB135_117 Depth=1
	v_cmp_eq_u16_sdwa vcc_lo, v52, v28 src0_sel:BYTE_0 src1_sel:DWORD
	v_and_b32_e32 v52, 1, v52
	s_waitcnt lgkmcnt(0)
	v_and_b32_e32 v64, 1, v67
	v_cndmask_b32_e32 v66, 0, v66, vcc_lo
	v_cndmask_b32_e32 v65, 0, v65, vcc_lo
	v_cmp_eq_u32_e32 vcc_lo, 1, v52
	v_cmp_eq_u32_e64 s15, 1, v64
	v_add_co_u32 v31, s16, v65, v31
	s_or_b32 s15, vcc_lo, s15
	v_add_co_ci_u32_e64 v32, null, v66, v32, s16
	v_cndmask_b32_e64 v52, 0, 1, s15
	v_cndmask_b32_e64 v64, 0, 1, s15
	s_andn2_b32 s16, s36, exec_lo
	s_and_b32 s15, s15, exec_lo
	s_or_b32 s36, s16, s15
.LBB135_128:                            ;   in Loop: Header=BB135_117 Depth=1
	s_or_b32 exec_lo, exec_lo, s37
	s_waitcnt lgkmcnt(2)
	ds_bpermute_b32 v65, v45, v31
	s_waitcnt lgkmcnt(2)
	ds_bpermute_b32 v66, v45, v32
	;; [unrolled: 2-line block ×3, first 2 shown]
	s_mov_b32 s37, exec_lo
	v_cmpx_le_u32_e64 v46, v51
	s_cbranch_execz .LBB135_130
; %bb.129:                              ;   in Loop: Header=BB135_117 Depth=1
	v_cmp_eq_u16_sdwa vcc_lo, v52, v28 src0_sel:BYTE_0 src1_sel:DWORD
	v_and_b32_e32 v52, 1, v52
	s_waitcnt lgkmcnt(0)
	v_and_b32_e32 v64, 1, v67
	v_cndmask_b32_e32 v66, 0, v66, vcc_lo
	v_cndmask_b32_e32 v65, 0, v65, vcc_lo
	v_cmp_eq_u32_e32 vcc_lo, 1, v52
	v_cmp_eq_u32_e64 s15, 1, v64
	v_add_co_u32 v31, s16, v65, v31
	s_or_b32 s15, vcc_lo, s15
	v_add_co_ci_u32_e64 v32, null, v66, v32, s16
	v_cndmask_b32_e64 v52, 0, 1, s15
	v_cndmask_b32_e64 v64, 0, 1, s15
	s_andn2_b32 s16, s36, exec_lo
	s_and_b32 s15, s15, exec_lo
	s_or_b32 s36, s16, s15
.LBB135_130:                            ;   in Loop: Header=BB135_117 Depth=1
	s_or_b32 exec_lo, exec_lo, s37
	s_waitcnt lgkmcnt(2)
	ds_bpermute_b32 v65, v48, v31
	s_waitcnt lgkmcnt(2)
	ds_bpermute_b32 v66, v48, v32
	ds_bpermute_b32 v64, v48, v64
	s_mov_b32 s37, exec_lo
	v_cmpx_le_u32_e64 v49, v51
	s_cbranch_execz .LBB135_115
; %bb.131:                              ;   in Loop: Header=BB135_117 Depth=1
	v_cmp_eq_u16_sdwa vcc_lo, v52, v28 src0_sel:BYTE_0 src1_sel:DWORD
	v_and_b32_e32 v51, 1, v52
	s_waitcnt lgkmcnt(0)
	v_and_b32_e32 v52, 1, v64
	v_cndmask_b32_e32 v65, 0, v65, vcc_lo
	v_cndmask_b32_e32 v64, 0, v66, vcc_lo
	v_cmp_eq_u32_e32 vcc_lo, 1, v51
	v_cmp_eq_u32_e64 s15, 1, v52
	v_add_co_u32 v31, s16, v65, v31
	v_add_co_ci_u32_e64 v32, null, v64, v32, s16
	s_or_b32 s15, vcc_lo, s15
	s_andn2_b32 s16, s36, exec_lo
	s_and_b32 s15, s15, exec_lo
	s_or_b32 s36, s16, s15
	s_branch .LBB135_115
.LBB135_132:
                                        ; implicit-def: $vgpr49_vgpr50
                                        ; implicit-def: $vgpr47_vgpr48
                                        ; implicit-def: $vgpr43_vgpr44
                                        ; implicit-def: $vgpr39_vgpr40
                                        ; implicit-def: $vgpr35_vgpr36
                                        ; implicit-def: $vgpr31_vgpr32
                                        ; implicit-def: $vgpr27_vgpr28
                                        ; implicit-def: $vgpr45_vgpr46
                                        ; implicit-def: $vgpr41_vgpr42
                                        ; implicit-def: $vgpr37_vgpr38
                                        ; implicit-def: $vgpr33_vgpr34
                                        ; implicit-def: $vgpr29_vgpr30
                                        ; implicit-def: $vgpr51_vgpr52
	s_cbranch_execnz .LBB135_138
	s_branch .LBB135_167
.LBB135_133:
	s_and_saveexec_b32 s15, s14
	s_cbranch_execz .LBB135_135
; %bb.134:
	v_mov_b32_e32 v27, 0
	v_or_b32_e32 v28, v37, v47
	s_mov_b32 s21, 0
	s_add_i32 s20, s44, 32
	v_mov_b32_e32 v31, 2
	v_cmp_eq_u32_sdwa vcc_lo, v37, v27 src0_sel:BYTE_0 src1_sel:DWORD
	s_lshl_b64 s[36:37], s[20:21], 4
	v_mov_b32_e32 v38, s20
	v_and_b32_e32 v28, 1, v28
	s_add_u32 s20, s22, s36
	v_cndmask_b32_e32 v37, 0, v29, vcc_lo
	v_cndmask_b32_e32 v32, 0, v30, vcc_lo
	s_addc_u32 s21, s23, s37
	v_add_co_u32 v5, vcc_lo, v37, v5
	v_add_co_ci_u32_e64 v6, null, v32, v6, vcc_lo
	global_store_byte v27, v28, s[20:21] offset:8
	global_store_dwordx2 v27, v[5:6], s[20:21]
	s_waitcnt lgkmcnt(0)
	s_waitcnt_vscnt null, 0x0
	buffer_gl1_inv
	buffer_gl0_inv
	global_store_byte v38, v31, s[24:25]
.LBB135_135:
	s_or_b32 exec_lo, exec_lo, s15
	s_and_b32 exec_lo, exec_lo, s0
	s_cbranch_execz .LBB135_137
; %bb.136:
	v_mov_b32_e32 v5, 0
	ds_write_b64 v5, v[29:30] offset:112
	ds_write_b8 v5, v47 offset:120
.LBB135_137:
	s_or_b32 exec_lo, exec_lo, s17
	s_waitcnt lgkmcnt(0)
	v_cndmask_b32_e64 v5, v36, v33, s14
	v_and_b32_e32 v28, 1, v87
	v_mov_b32_e32 v27, 0
	s_waitcnt_vscnt null, 0x0
	s_barrier
	v_and_b32_e32 v29, 1, v5
	v_cmp_eq_u32_e32 vcc_lo, 1, v28
	buffer_gl0_inv
	ds_read_b64 v[5:6], v27 offset:112
	v_cndmask_b32_e64 v3, v34, v3, s14
	v_cmp_eq_u32_e64 s15, 1, v29
	v_cndmask_b32_e64 v4, v35, v4, s14
	s_or_b32 s15, vcc_lo, s15
	v_cmp_eq_u16_sdwa vcc_lo, v87, v27 src0_sel:BYTE_0 src1_sel:DWORD
	v_cndmask_b32_e64 v28, 0, 1, s15
	v_cndmask_b32_e32 v3, 0, v3, vcc_lo
	v_cndmask_b32_e64 v28, v28, v87, s0
	v_cndmask_b32_e32 v4, 0, v4, vcc_lo
	v_cndmask_b32_e64 v3, v3, 0, s0
	v_cmp_eq_u16_sdwa vcc_lo, v28, v27 src0_sel:BYTE_0 src1_sel:DWORD
	v_cndmask_b32_e64 v4, v4, 0, s0
	s_waitcnt lgkmcnt(0)
	v_cndmask_b32_e32 v6, 0, v6, vcc_lo
	v_cndmask_b32_e32 v5, 0, v5, vcc_lo
	v_add_co_u32 v3, vcc_lo, v3, v1
	v_add_co_ci_u32_e64 v4, null, v4, v2, vcc_lo
	v_add_co_u32 v51, vcc_lo, v3, v5
	v_add_co_ci_u32_e64 v52, null, v4, v6, vcc_lo
	v_cndmask_b32_e64 v3, 0, v51, s12
	v_cndmask_b32_e64 v4, 0, v52, s12
	v_add_co_u32 v27, vcc_lo, v3, v9
	v_add_co_ci_u32_e64 v28, null, v4, v10, vcc_lo
	v_cndmask_b32_e64 v3, 0, v27, s13
	v_cndmask_b32_e64 v4, 0, v28, s13
	;; [unrolled: 4-line block ×12, first 2 shown]
	v_add_co_u32 v49, vcc_lo, v3, v11
	v_add_co_ci_u32_e64 v50, null, v4, v12, vcc_lo
	s_branch .LBB135_167
.LBB135_138:
	s_cmp_lg_u64 s[34:35], 0
	s_cselect_b32 s2, -1, 0
	s_cmp_lg_u64 s[38:39], 0
	s_cselect_b32 s3, -1, 0
	s_and_b32 s2, s2, s3
	s_and_b32 s3, s0, s2
	s_and_saveexec_b32 s2, s3
	s_cbranch_execz .LBB135_140
; %bb.139:
	v_mov_b32_e32 v5, 0
	s_clause 0x1
	global_load_dwordx2 v[3:4], v5, s[38:39]
	global_load_ubyte v6, v5, s[38:39] offset:8
	v_cmp_eq_u16_sdwa vcc_lo, v87, v5 src0_sel:BYTE_0 src1_sel:DWORD
	s_waitcnt vmcnt(1)
	v_cndmask_b32_e32 v3, 0, v3, vcc_lo
	v_cndmask_b32_e32 v4, 0, v4, vcc_lo
	s_waitcnt vmcnt(0)
	v_or_b32_e32 v5, v87, v6
	v_add_co_u32 v1, vcc_lo, v3, v1
	v_add_co_ci_u32_e64 v2, null, v4, v2, vcc_lo
	v_and_b32_e32 v87, 1, v5
.LBB135_140:
	s_or_b32 exec_lo, exec_lo, s2
	v_mov_b32_e32 v3, 0
	v_or_b32_e32 v6, v87, v92
	v_cmp_eq_u32_e64 s12, 1, v61
	v_cmp_eq_u32_e64 s15, 1, v60
	;; [unrolled: 1-line block ×3, first 2 shown]
	v_cmp_eq_u16_sdwa vcc_lo, v92, v3 src0_sel:BYTE_0 src1_sel:DWORD
	v_cmp_ne_u16_sdwa s20, v57, v3 src0_sel:BYTE_0 src1_sel:DWORD
	v_cmp_ne_u16_sdwa s21, v58, v3 src0_sel:BYTE_0 src1_sel:DWORD
	;; [unrolled: 1-line block ×4, first 2 shown]
	v_cndmask_b32_e32 v5, 0, v1, vcc_lo
	v_cndmask_b32_e32 v4, 0, v2, vcc_lo
	s_or_b32 s20, s20, s12
	s_or_b32 s12, s21, s15
	v_cmp_eq_u32_e64 s14, 1, v62
	v_add_co_u32 v27, s2, v5, v9
	v_add_co_ci_u32_e64 v28, null, v4, v10, s2
	v_cmp_eq_u16_sdwa s2, v91, v3 src0_sel:BYTE_0 src1_sel:DWORD
	s_or_b32 s15, s16, s12
	v_cmp_eq_u32_e64 s13, 1, v63
	s_or_b32 s14, s34, s14
	v_and_b32_e32 v51, 15, v54
	v_cndmask_b32_e64 v5, 0, v27, s2
	v_cndmask_b32_e64 v4, 0, v28, s2
	s_or_b32 s14, s15, s14
	s_or_b32 s13, s17, s13
	;; [unrolled: 1-line block ×3, first 2 shown]
	v_add_co_u32 v29, s3, v5, v15
	v_add_co_ci_u32_e64 v30, null, v4, v16, s3
	v_cmp_eq_u16_sdwa s3, v90, v3 src0_sel:BYTE_0 src1_sel:DWORD
	s_or_b32 s14, s14, s13
	s_mov_b32 s15, exec_lo
	v_cndmask_b32_e64 v5, 0, v29, s3
	v_cndmask_b32_e64 v4, 0, v30, s3
	v_add_co_u32 v31, s4, v5, v13
	v_add_co_ci_u32_e64 v32, null, v4, v14, s4
	v_cmp_eq_u16_sdwa s4, v89, v3 src0_sel:BYTE_0 src1_sel:DWORD
	v_cndmask_b32_e64 v5, 0, v31, s4
	v_cndmask_b32_e64 v4, 0, v32, s4
	v_add_co_u32 v33, s5, v5, v19
	v_add_co_ci_u32_e64 v34, null, v4, v20, s5
	v_cmp_eq_u16_sdwa s5, v88, v3 src0_sel:BYTE_0 src1_sel:DWORD
	;; [unrolled: 5-line block ×8, first 2 shown]
	v_cndmask_b32_e64 v4, 0, v45, s11
	v_cndmask_b32_e64 v3, 0, v46, s11
	v_add_co_u32 v47, s12, v4, v7
	v_add_co_ci_u32_e64 v48, null, v3, v8, s12
	v_cmp_eq_u16_e64 s12, 0, v55
	v_cndmask_b32_e64 v55, 0, 1, s14
	v_cndmask_b32_e64 v4, 0, v47, s12
	;; [unrolled: 1-line block ×3, first 2 shown]
	v_mov_b32_dpp v52, v55 row_shr:1 row_mask:0xf bank_mask:0xf
	v_add_co_u32 v49, s13, v4, v11
	v_add_co_ci_u32_e64 v50, null, v3, v12, s13
	v_mov_b32_e32 v3, v49
	v_mov_b32_dpp v56, v49 row_shr:1 row_mask:0xf bank_mask:0xf
	v_mov_b32_dpp v57, v50 row_shr:1 row_mask:0xf bank_mask:0xf
	v_mov_b32_e32 v4, v50
	v_mov_b32_e32 v6, v50
	;; [unrolled: 1-line block ×3, first 2 shown]
	v_cmpx_ne_u32_e32 0, v51
	s_cbranch_execz .LBB135_142
; %bb.141:
	v_cndmask_b32_e64 v3, v56, 0, s14
	v_cndmask_b32_e64 v4, v57, 0, s14
	v_and_or_b32 v55, v52, 1, v55
	v_add_co_u32 v3, s13, v49, v3
	v_add_co_ci_u32_e64 v4, null, v50, v4, s13
	v_mov_b32_e32 v5, v3
	v_mov_b32_e32 v6, v4
.LBB135_142:
	s_or_b32 exec_lo, exec_lo, s15
	v_mov_b32_dpp v56, v5 row_shr:2 row_mask:0xf bank_mask:0xf
	v_mov_b32_dpp v57, v6 row_shr:2 row_mask:0xf bank_mask:0xf
	v_mov_b32_dpp v52, v55 row_shr:2 row_mask:0xf bank_mask:0xf
	s_mov_b32 s14, exec_lo
	v_cmpx_lt_u32_e32 1, v51
	s_cbranch_execz .LBB135_144
; %bb.143:
	v_cmp_eq_u16_e64 s13, 0, v55
	v_or_b32_e32 v52, v52, v55
	v_cndmask_b32_e64 v5, 0, v56, s13
	v_cndmask_b32_e64 v6, 0, v57, s13
	v_and_b32_e32 v55, 1, v52
	v_add_co_u32 v5, s13, v5, v3
	v_add_co_ci_u32_e64 v6, null, v6, v4, s13
	v_mov_b32_e32 v3, v5
	v_mov_b32_e32 v4, v6
.LBB135_144:
	s_or_b32 exec_lo, exec_lo, s14
	v_mov_b32_dpp v56, v5 row_shr:4 row_mask:0xf bank_mask:0xf
	v_mov_b32_dpp v57, v6 row_shr:4 row_mask:0xf bank_mask:0xf
	v_mov_b32_dpp v52, v55 row_shr:4 row_mask:0xf bank_mask:0xf
	s_mov_b32 s14, exec_lo
	v_cmpx_lt_u32_e32 3, v51
	s_cbranch_execz .LBB135_146
; %bb.145:
	v_cmp_eq_u16_e64 s13, 0, v55
	v_or_b32_e32 v52, v52, v55
	v_cndmask_b32_e64 v5, 0, v56, s13
	v_cndmask_b32_e64 v6, 0, v57, s13
	v_and_b32_e32 v55, 1, v52
	v_add_co_u32 v5, s13, v5, v3
	v_add_co_ci_u32_e64 v6, null, v6, v4, s13
	v_mov_b32_e32 v3, v5
	v_mov_b32_e32 v4, v6
.LBB135_146:
	;; [unrolled: 18-line block ×3, first 2 shown]
	s_or_b32 exec_lo, exec_lo, s14
	ds_swizzle_b32 v5, v5 offset:swizzle(BROADCAST,32,15)
	ds_swizzle_b32 v6, v6 offset:swizzle(BROADCAST,32,15)
	;; [unrolled: 1-line block ×3, first 2 shown]
	v_and_b32_e32 v51, 16, v54
	v_cmp_ne_u32_e64 s13, 0, v51
	v_mov_b32_e32 v51, v55
	s_and_saveexec_b32 s16, s13
	s_cbranch_execz .LBB135_150
; %bb.149:
	v_cmp_eq_u16_e64 s13, 0, v55
	v_and_b32_e32 v51, 1, v55
	s_waitcnt lgkmcnt(0)
	v_and_b32_e32 v52, 1, v52
	v_cndmask_b32_e64 v6, 0, v6, s13
	v_cndmask_b32_e64 v5, 0, v5, s13
	v_cmp_eq_u32_e64 s13, 1, v51
	v_cmp_eq_u32_e64 s14, 1, v52
	v_add_co_u32 v3, s15, v5, v3
	s_or_b32 s13, s13, s14
	v_add_co_ci_u32_e64 v4, null, v6, v4, s15
	v_cndmask_b32_e64 v55, 0, 1, s13
	v_cndmask_b32_e64 v51, 0, 1, s13
.LBB135_150:
	s_or_b32 exec_lo, exec_lo, s16
	s_waitcnt lgkmcnt(2)
	v_or_b32_e32 v5, 31, v0
	s_waitcnt lgkmcnt(0)
	v_lshrrev_b32_e32 v52, 5, v0
	s_mov_b32 s14, exec_lo
	v_cmpx_eq_u32_e64 v0, v5
	s_cbranch_execz .LBB135_152
; %bb.151:
	v_lshlrev_b32_e32 v5, 4, v52
	ds_write_b64 v5, v[3:4]
	ds_write_b8 v5, v55 offset:8
.LBB135_152:
	s_or_b32 exec_lo, exec_lo, s14
	s_mov_b32 s16, exec_lo
	s_waitcnt lgkmcnt(0)
	s_barrier
	buffer_gl0_inv
	v_cmpx_gt_u32_e32 8, v0
	s_cbranch_execz .LBB135_160
; %bb.153:
	v_lshlrev_b32_e32 v55, 4, v0
	v_and_b32_e32 v56, 7, v54
	s_mov_b32 s14, exec_lo
	ds_read_b64 v[5:6], v55
	ds_read_b32 v60, v55 offset:8
	s_waitcnt lgkmcnt(1)
	v_mov_b32_dpp v61, v5 row_shr:1 row_mask:0xf bank_mask:0xf
	v_mov_b32_dpp v62, v6 row_shr:1 row_mask:0xf bank_mask:0xf
	s_waitcnt lgkmcnt(0)
	v_and_b32_e32 v58, 0xffffff00, v60
	v_mov_b32_dpp v63, v60 row_shr:1 row_mask:0xf bank_mask:0xf
	v_mov_b32_e32 v59, v60
	v_mov_b32_e32 v57, v60
	v_cmpx_ne_u32_e32 0, v56
	s_cbranch_execz .LBB135_155
; %bb.154:
	v_mov_b32_e32 v57, 0
	v_cmp_eq_u16_sdwa s13, v60, v57 src0_sel:BYTE_0 src1_sel:DWORD
	v_or_b32_e32 v57, v63, v60
	v_cndmask_b32_e64 v61, 0, v61, s13
	v_cndmask_b32_e64 v60, 0, v62, s13
	v_and_b32_e32 v59, 1, v57
	v_and_b32_e32 v57, 1, v57
	v_add_co_u32 v5, s13, v61, v5
	v_add_co_ci_u32_e64 v6, null, v60, v6, s13
	v_or_b32_e32 v60, v57, v58
.LBB135_155:
	s_or_b32 exec_lo, exec_lo, s14
	v_mov_b32_dpp v61, v5 row_shr:2 row_mask:0xf bank_mask:0xf
	v_mov_b32_dpp v62, v6 row_shr:2 row_mask:0xf bank_mask:0xf
	v_mov_b32_dpp v63, v60 row_shr:2 row_mask:0xf bank_mask:0xf
	s_mov_b32 s17, exec_lo
	v_cmpx_lt_u32_e32 1, v56
	s_cbranch_execz .LBB135_157
; %bb.156:
	v_mov_b32_e32 v59, 0
	v_and_b32_e32 v60, 1, v57
	v_and_b32_e32 v63, 1, v63
	v_cmp_eq_u16_sdwa s13, v57, v59 src0_sel:BYTE_0 src1_sel:DWORD
	v_cmp_eq_u32_e64 s14, 1, v60
	v_cmp_eq_u32_e64 s15, 1, v63
	v_cndmask_b32_e64 v57, 0, v62, s13
	v_cndmask_b32_e64 v60, 0, v61, s13
	s_or_b32 s13, s14, s15
	v_cndmask_b32_e64 v59, 0, 1, s13
	v_cndmask_b32_e64 v61, 0, 1, s13
	v_add_co_u32 v5, s13, v60, v5
	v_add_co_ci_u32_e64 v6, null, v57, v6, s13
	v_or_b32_e32 v60, v58, v61
	v_mov_b32_e32 v57, v59
.LBB135_157:
	s_or_b32 exec_lo, exec_lo, s17
	v_mov_b32_dpp v58, v5 row_shr:4 row_mask:0xf bank_mask:0xf
	v_mov_b32_dpp v61, v6 row_shr:4 row_mask:0xf bank_mask:0xf
	;; [unrolled: 1-line block ×3, first 2 shown]
	s_mov_b32 s17, exec_lo
	v_cmpx_lt_u32_e32 3, v56
	s_cbranch_execz .LBB135_159
; %bb.158:
	v_mov_b32_e32 v56, 0
	v_cmp_eq_u16_sdwa s13, v57, v56 src0_sel:BYTE_0 src1_sel:DWORD
	v_and_b32_e32 v56, 1, v57
	v_and_b32_e32 v57, 1, v60
	v_cndmask_b32_e64 v59, 0, v61, s13
	v_cndmask_b32_e64 v58, 0, v58, s13
	v_cmp_eq_u32_e64 s13, 1, v56
	v_cmp_eq_u32_e64 s14, 1, v57
	v_add_co_u32 v5, s15, v58, v5
	s_or_b32 s13, s13, s14
	v_add_co_ci_u32_e64 v6, null, v59, v6, s15
	v_cndmask_b32_e64 v59, 0, 1, s13
.LBB135_159:
	s_or_b32 exec_lo, exec_lo, s17
	ds_write_b64 v55, v[5:6]
	ds_write_b8 v55, v59 offset:8
.LBB135_160:
	s_or_b32 exec_lo, exec_lo, s16
	v_mov_b32_e32 v5, 0
	v_mov_b32_e32 v6, 0
	s_mov_b32 s14, exec_lo
	s_waitcnt lgkmcnt(0)
	s_barrier
	buffer_gl0_inv
	v_cmpx_lt_u32_e32 31, v0
	s_cbranch_execz .LBB135_162
; %bb.161:
	v_lshl_add_u32 v5, v52, 4, -16
	v_cmp_eq_u32_e64 s13, 0, v51
	ds_read_b64 v[5:6], v5
	s_waitcnt lgkmcnt(0)
	v_cndmask_b32_e64 v52, 0, v5, s13
	v_cndmask_b32_e64 v51, 0, v6, s13
	v_add_co_u32 v3, s13, v52, v3
	v_add_co_ci_u32_e64 v4, null, v51, v4, s13
.LBB135_162:
	s_or_b32 exec_lo, exec_lo, s14
	v_add_nc_u32_e32 v51, -1, v54
	v_cmp_gt_i32_e64 s13, 0, v51
	v_cndmask_b32_e64 v51, v51, v54, s13
	v_lshlrev_b32_e32 v51, 2, v51
	ds_bpermute_b32 v3, v51, v3
	ds_bpermute_b32 v4, v51, v4
	s_and_saveexec_b32 s13, s1
	s_cbranch_execz .LBB135_164
; %bb.163:
	v_cmp_eq_u32_e64 s1, 0, v54
	v_mov_b32_e32 v27, 0
	;;#ASMSTART
	;;#ASMEND
	s_waitcnt lgkmcnt(1)
	v_cndmask_b32_e64 v3, v3, v5, s1
	s_waitcnt lgkmcnt(0)
	v_cndmask_b32_e64 v4, v4, v6, s1
	v_cmp_eq_u16_sdwa s1, v87, v27 src0_sel:BYTE_0 src1_sel:DWORD
	v_cndmask_b32_e64 v3, 0, v3, s1
	v_cndmask_b32_e64 v4, 0, v4, s1
	v_add_co_u32 v1, s1, v3, v1
	v_add_co_ci_u32_e64 v2, null, v4, v2, s1
	v_cndmask_b32_e32 v3, 0, v1, vcc_lo
	v_cndmask_b32_e32 v4, 0, v2, vcc_lo
	v_add_co_u32 v27, vcc_lo, v3, v9
	v_add_co_ci_u32_e64 v28, null, v4, v10, vcc_lo
	v_cndmask_b32_e64 v3, 0, v27, s2
	v_cndmask_b32_e64 v4, 0, v28, s2
	v_add_co_u32 v29, vcc_lo, v3, v15
	v_add_co_ci_u32_e64 v30, null, v4, v16, vcc_lo
	v_cndmask_b32_e64 v3, 0, v29, s3
	v_cndmask_b32_e64 v4, 0, v30, s3
	;; [unrolled: 4-line block ×11, first 2 shown]
	v_add_co_u32 v49, vcc_lo, v3, v11
	v_add_co_ci_u32_e64 v50, null, v4, v12, vcc_lo
.LBB135_164:
	s_or_b32 exec_lo, exec_lo, s13
	s_and_saveexec_b32 s1, s0
	s_cbranch_execz .LBB135_166
; %bb.165:
	v_mov_b32_e32 v5, 0
	v_mov_b32_e32 v7, 2
	s_waitcnt lgkmcnt(0)
	ds_read_b64 v[3:4], v5 offset:112
	ds_read_u8 v6, v5 offset:120
	s_waitcnt lgkmcnt(1)
	global_store_dwordx2 v5, v[3:4], s[22:23] offset:512
	s_waitcnt lgkmcnt(0)
	global_store_byte v5, v6, s[22:23] offset:520
	s_waitcnt_vscnt null, 0x0
	buffer_gl1_inv
	buffer_gl0_inv
	global_store_byte v5, v7, s[24:25] offset:32
.LBB135_166:
	s_or_b32 exec_lo, exec_lo, s1
	v_mov_b32_e32 v52, v2
	v_mov_b32_e32 v51, v1
.LBB135_167:
	s_add_u32 s0, s18, s28
	s_addc_u32 s1, s19, s29
	s_add_u32 s0, s0, s30
	s_addc_u32 s1, s1, s31
	s_and_b32 vcc_lo, exec_lo, s27
	s_cbranch_vccz .LBB135_211
; %bb.168:
	v_mul_u32_u24_e32 v1, 13, v0
	s_add_i32 s33, s33, s26
	s_mov_b32 s2, exec_lo
	v_cmpx_gt_u32_e64 s33, v1
	s_cbranch_execz .LBB135_186
; %bb.169:
	v_add_nc_u32_e32 v2, 1, v1
	s_mov_b32 s3, exec_lo
	v_cmpx_gt_u32_e64 s33, v2
	s_cbranch_execz .LBB135_185
; %bb.170:
	v_add_nc_u32_e32 v2, 2, v1
	s_mov_b32 s4, exec_lo
	v_cmpx_gt_u32_e64 s33, v2
	s_cbranch_execz .LBB135_184
; %bb.171:
	v_add_nc_u32_e32 v2, 3, v1
	s_mov_b32 s5, exec_lo
	v_cmpx_gt_u32_e64 s33, v2
	s_cbranch_execz .LBB135_183
; %bb.172:
	v_add_nc_u32_e32 v2, 4, v1
	s_mov_b32 s6, exec_lo
	v_cmpx_gt_u32_e64 s33, v2
	s_cbranch_execz .LBB135_182
; %bb.173:
	v_add_nc_u32_e32 v2, 5, v1
	s_mov_b32 s7, exec_lo
	v_cmpx_gt_u32_e64 s33, v2
	s_cbranch_execz .LBB135_181
; %bb.174:
	v_add_nc_u32_e32 v2, 6, v1
	s_mov_b32 s8, exec_lo
	v_cmpx_gt_u32_e64 s33, v2
	s_cbranch_execz .LBB135_180
; %bb.175:
	v_add_nc_u32_e32 v2, 7, v1
	s_mov_b32 s9, exec_lo
	v_cmpx_gt_u32_e64 s33, v2
	s_cbranch_execz .LBB135_179
; %bb.176:
	v_add_nc_u32_e32 v2, 8, v1
	s_mov_b32 s10, exec_lo
	v_cmpx_gt_u32_e64 s33, v2
; %bb.177:
	v_add_nc_u32_e32 v2, 9, v1
	s_mov_b32 s11, exec_lo
	v_cmpx_gt_u32_e64 s33, v2
	s_or_b32 exec_lo, exec_lo, s11
; %bb.178:
	s_or_b32 exec_lo, exec_lo, s10
.LBB135_179:
	s_or_b32 exec_lo, exec_lo, s9
.LBB135_180:
	s_or_b32 exec_lo, exec_lo, s8
.LBB135_181:
	s_or_b32 exec_lo, exec_lo, s7
.LBB135_182:
	s_or_b32 exec_lo, exec_lo, s6
.LBB135_183:
	s_or_b32 exec_lo, exec_lo, s5
.LBB135_184:
	s_or_b32 exec_lo, exec_lo, s4
.LBB135_185:
	s_or_b32 exec_lo, exec_lo, s3
.LBB135_186:
	s_or_b32 exec_lo, exec_lo, s2
	v_lshlrev_b32_e32 v54, 3, v1
	s_waitcnt lgkmcnt(0)
	s_waitcnt_vscnt null, 0x0
	s_barrier
	buffer_gl0_inv
	v_add_co_u32 v25, s2, s0, v53
	v_mad_i32_i24 v1, 0xffffffa0, v0, v54
	ds_write2_b64 v54, v[51:52], v[27:28] offset1:1
	ds_write2_b64 v54, v[29:30], v[31:32] offset0:2 offset1:3
	ds_write2_b64 v54, v[33:34], v[35:36] offset0:4 offset1:5
	;; [unrolled: 1-line block ×5, first 2 shown]
	ds_write_b64 v54, v[49:50] offset:96
	s_waitcnt lgkmcnt(0)
	s_barrier
	buffer_gl0_inv
	ds_read2st64_b64 v[21:24], v1 offset0:4 offset1:8
	ds_read2st64_b64 v[17:20], v1 offset0:12 offset1:16
	;; [unrolled: 1-line block ×6, first 2 shown]
	v_add_co_ci_u32_e64 v26, null, s1, 0, s2
	s_mov_b32 s2, exec_lo
	v_cmpx_gt_u32_e64 s33, v0
	s_cbranch_execz .LBB135_188
; %bb.187:
	v_mul_i32_i24_e32 v55, 0xffffffa0, v0
	v_add_nc_u32_e32 v54, v54, v55
	ds_read_b64 v[54:55], v54
	s_waitcnt lgkmcnt(0)
	global_store_dwordx2 v[25:26], v[54:55], off
.LBB135_188:
	s_or_b32 exec_lo, exec_lo, s2
	v_or_b32_e32 v54, 0x100, v0
	s_mov_b32 s2, exec_lo
	v_cmpx_gt_u32_e64 s33, v54
	s_cbranch_execz .LBB135_190
; %bb.189:
	v_add_co_u32 v54, vcc_lo, 0x800, v25
	v_add_co_ci_u32_e64 v55, null, 0, v26, vcc_lo
	s_waitcnt lgkmcnt(5)
	global_store_dwordx2 v[54:55], v[21:22], off
.LBB135_190:
	s_or_b32 exec_lo, exec_lo, s2
	s_waitcnt lgkmcnt(5)
	v_or_b32_e32 v21, 0x200, v0
	s_mov_b32 s2, exec_lo
	v_cmpx_gt_u32_e64 s33, v21
	s_cbranch_execz .LBB135_192
; %bb.191:
	v_add_co_u32 v21, vcc_lo, 0x1000, v25
	v_add_co_ci_u32_e64 v22, null, 0, v26, vcc_lo
	global_store_dwordx2 v[21:22], v[23:24], off
.LBB135_192:
	s_or_b32 exec_lo, exec_lo, s2
	v_or_b32_e32 v21, 0x300, v0
	s_mov_b32 s2, exec_lo
	v_cmpx_gt_u32_e64 s33, v21
	s_cbranch_execz .LBB135_194
; %bb.193:
	v_add_co_u32 v21, vcc_lo, 0x1800, v25
	v_add_co_ci_u32_e64 v22, null, 0, v26, vcc_lo
	s_waitcnt lgkmcnt(4)
	global_store_dwordx2 v[21:22], v[17:18], off
.LBB135_194:
	s_or_b32 exec_lo, exec_lo, s2
	s_waitcnt lgkmcnt(4)
	v_or_b32_e32 v17, 0x400, v0
	s_mov_b32 s2, exec_lo
	v_cmpx_gt_u32_e64 s33, v17
	s_cbranch_execz .LBB135_196
; %bb.195:
	v_add_co_u32 v17, vcc_lo, 0x2000, v25
	v_add_co_ci_u32_e64 v18, null, 0, v26, vcc_lo
	global_store_dwordx2 v[17:18], v[19:20], off
.LBB135_196:
	;; [unrolled: 22-line block ×5, first 2 shown]
	s_or_b32 exec_lo, exec_lo, s2
	v_or_b32_e32 v5, 0xb00, v0
	s_mov_b32 s2, exec_lo
	v_cmpx_gt_u32_e64 s33, v5
	s_cbranch_execz .LBB135_210
; %bb.209:
	v_add_co_u32 v5, vcc_lo, 0x5800, v25
	v_add_co_ci_u32_e64 v6, null, 0, v26, vcc_lo
	s_waitcnt lgkmcnt(0)
	global_store_dwordx2 v[5:6], v[1:2], off
.LBB135_210:
	s_or_b32 exec_lo, exec_lo, s2
	s_waitcnt lgkmcnt(0)
	v_or_b32_e32 v1, 0xc00, v0
	v_cmp_gt_u32_e64 s2, s33, v1
	s_branch .LBB135_213
.LBB135_211:
	s_mov_b32 s2, 0
                                        ; implicit-def: $vgpr3_vgpr4
	s_cbranch_execz .LBB135_213
; %bb.212:
	v_mul_i32_i24_e32 v2, 0xffffffa0, v0
	v_mul_u32_u24_e32 v1, 0x68, v0
	s_waitcnt lgkmcnt(0)
	s_waitcnt_vscnt null, 0x0
	s_barrier
	buffer_gl0_inv
	v_mad_u32_u24 v3, 0x68, v0, v2
	ds_write2_b64 v1, v[51:52], v[27:28] offset1:1
	ds_write2_b64 v1, v[29:30], v[31:32] offset0:2 offset1:3
	ds_write2_b64 v1, v[33:34], v[35:36] offset0:4 offset1:5
	;; [unrolled: 1-line block ×5, first 2 shown]
	ds_write_b64 v1, v[49:50] offset:96
	s_waitcnt lgkmcnt(0)
	s_barrier
	buffer_gl0_inv
	ds_read2st64_b64 v[5:8], v3 offset1:4
	ds_read2st64_b64 v[9:12], v3 offset0:8 offset1:12
	ds_read2st64_b64 v[13:16], v3 offset0:16 offset1:20
	v_add_co_u32 v29, s3, s0, v53
	ds_read2st64_b64 v[17:20], v3 offset0:24 offset1:28
	v_add_co_ci_u32_e64 v30, null, s1, 0, s3
	v_add_co_u32 v1, vcc_lo, v29, 0x1000
	ds_read2st64_b64 v[21:24], v3 offset0:32 offset1:36
	ds_read2st64_b64 v[25:28], v3 offset0:40 offset1:44
	ds_read_b64 v[3:4], v3 offset:24576
	v_add_co_ci_u32_e64 v2, null, 0, v30, vcc_lo
	s_or_b32 s2, s2, exec_lo
	s_waitcnt lgkmcnt(6)
	global_store_dwordx2 v53, v[5:6], s[0:1]
	global_store_dwordx2 v[1:2], v[7:8], off offset:-2048
	s_waitcnt lgkmcnt(5)
	global_store_dwordx2 v[1:2], v[9:10], off
	v_add_co_u32 v1, vcc_lo, v29, 0x2000
	v_add_co_ci_u32_e64 v2, null, 0, v30, vcc_lo
	v_add_co_u32 v5, vcc_lo, v29, 0x3000
	v_add_co_ci_u32_e64 v6, null, 0, v30, vcc_lo
	;; [unrolled: 2-line block ×3, first 2 shown]
	global_store_dwordx2 v[1:2], v[11:12], off offset:-2048
	s_waitcnt lgkmcnt(4)
	global_store_dwordx2 v[1:2], v[13:14], off
	global_store_dwordx2 v[5:6], v[15:16], off offset:-2048
	s_waitcnt lgkmcnt(3)
	global_store_dwordx2 v[5:6], v[17:18], off
	global_store_dwordx2 v[7:8], v[19:20], off offset:-2048
	v_add_co_u32 v1, vcc_lo, v29, 0x5000
	v_add_co_ci_u32_e64 v2, null, 0, v30, vcc_lo
	v_add_co_u32 v5, vcc_lo, 0x5800, v29
	v_add_co_ci_u32_e64 v6, null, 0, v30, vcc_lo
	s_waitcnt lgkmcnt(2)
	global_store_dwordx2 v[7:8], v[21:22], off
	global_store_dwordx2 v[1:2], v[23:24], off offset:-2048
	s_waitcnt lgkmcnt(1)
	global_store_dwordx2 v[1:2], v[25:26], off
	global_store_dwordx2 v[5:6], v[27:28], off
.LBB135_213:
	s_and_saveexec_b32 s3, s2
	s_cbranch_execnz .LBB135_215
; %bb.214:
	s_endpgm
.LBB135_215:
	v_lshlrev_b32_e32 v0, 3, v0
	v_add_co_u32 v0, s0, s0, v0
	v_add_co_ci_u32_e64 v1, null, s1, 0, s0
	v_add_co_u32 v0, vcc_lo, 0x6000, v0
	v_add_co_ci_u32_e64 v1, null, 0, v1, vcc_lo
	s_waitcnt lgkmcnt(0)
	global_store_dwordx2 v[0:1], v[3:4], off
	s_endpgm
	.section	.rodata,"a",@progbits
	.p2align	6, 0x0
	.amdhsa_kernel _ZN7rocprim17ROCPRIM_400000_NS6detail17trampoline_kernelINS0_14default_configENS1_27scan_by_key_config_selectorIllEEZZNS1_16scan_by_key_implILNS1_25lookback_scan_determinismE0ELb0ES3_PKlN6hipcub16HIPCUB_304000_NS21ConstantInputIteratorIllEEPllNSB_3SumENSB_8EqualityElEE10hipError_tPvRmT2_T3_T4_T5_mT6_T7_P12ihipStream_tbENKUlT_T0_E_clISt17integral_constantIbLb0EESW_IbLb1EEEEDaSS_ST_EUlSS_E_NS1_11comp_targetILNS1_3genE8ELNS1_11target_archE1030ELNS1_3gpuE2ELNS1_3repE0EEENS1_30default_config_static_selectorELNS0_4arch9wavefront6targetE0EEEvT1_
		.amdhsa_group_segment_fixed_size 30720
		.amdhsa_private_segment_fixed_size 0
		.amdhsa_kernarg_size 144
		.amdhsa_user_sgpr_count 6
		.amdhsa_user_sgpr_private_segment_buffer 1
		.amdhsa_user_sgpr_dispatch_ptr 0
		.amdhsa_user_sgpr_queue_ptr 0
		.amdhsa_user_sgpr_kernarg_segment_ptr 1
		.amdhsa_user_sgpr_dispatch_id 0
		.amdhsa_user_sgpr_flat_scratch_init 0
		.amdhsa_user_sgpr_private_segment_size 0
		.amdhsa_wavefront_size32 1
		.amdhsa_uses_dynamic_stack 0
		.amdhsa_system_sgpr_private_segment_wavefront_offset 0
		.amdhsa_system_sgpr_workgroup_id_x 1
		.amdhsa_system_sgpr_workgroup_id_y 0
		.amdhsa_system_sgpr_workgroup_id_z 0
		.amdhsa_system_sgpr_workgroup_info 0
		.amdhsa_system_vgpr_workitem_id 0
		.amdhsa_next_free_vgpr 113
		.amdhsa_next_free_sgpr 51
		.amdhsa_reserve_vcc 1
		.amdhsa_reserve_flat_scratch 0
		.amdhsa_float_round_mode_32 0
		.amdhsa_float_round_mode_16_64 0
		.amdhsa_float_denorm_mode_32 3
		.amdhsa_float_denorm_mode_16_64 3
		.amdhsa_dx10_clamp 1
		.amdhsa_ieee_mode 1
		.amdhsa_fp16_overflow 0
		.amdhsa_workgroup_processor_mode 1
		.amdhsa_memory_ordered 1
		.amdhsa_forward_progress 1
		.amdhsa_shared_vgpr_count 0
		.amdhsa_exception_fp_ieee_invalid_op 0
		.amdhsa_exception_fp_denorm_src 0
		.amdhsa_exception_fp_ieee_div_zero 0
		.amdhsa_exception_fp_ieee_overflow 0
		.amdhsa_exception_fp_ieee_underflow 0
		.amdhsa_exception_fp_ieee_inexact 0
		.amdhsa_exception_int_div_zero 0
	.end_amdhsa_kernel
	.section	.text._ZN7rocprim17ROCPRIM_400000_NS6detail17trampoline_kernelINS0_14default_configENS1_27scan_by_key_config_selectorIllEEZZNS1_16scan_by_key_implILNS1_25lookback_scan_determinismE0ELb0ES3_PKlN6hipcub16HIPCUB_304000_NS21ConstantInputIteratorIllEEPllNSB_3SumENSB_8EqualityElEE10hipError_tPvRmT2_T3_T4_T5_mT6_T7_P12ihipStream_tbENKUlT_T0_E_clISt17integral_constantIbLb0EESW_IbLb1EEEEDaSS_ST_EUlSS_E_NS1_11comp_targetILNS1_3genE8ELNS1_11target_archE1030ELNS1_3gpuE2ELNS1_3repE0EEENS1_30default_config_static_selectorELNS0_4arch9wavefront6targetE0EEEvT1_,"axG",@progbits,_ZN7rocprim17ROCPRIM_400000_NS6detail17trampoline_kernelINS0_14default_configENS1_27scan_by_key_config_selectorIllEEZZNS1_16scan_by_key_implILNS1_25lookback_scan_determinismE0ELb0ES3_PKlN6hipcub16HIPCUB_304000_NS21ConstantInputIteratorIllEEPllNSB_3SumENSB_8EqualityElEE10hipError_tPvRmT2_T3_T4_T5_mT6_T7_P12ihipStream_tbENKUlT_T0_E_clISt17integral_constantIbLb0EESW_IbLb1EEEEDaSS_ST_EUlSS_E_NS1_11comp_targetILNS1_3genE8ELNS1_11target_archE1030ELNS1_3gpuE2ELNS1_3repE0EEENS1_30default_config_static_selectorELNS0_4arch9wavefront6targetE0EEEvT1_,comdat
.Lfunc_end135:
	.size	_ZN7rocprim17ROCPRIM_400000_NS6detail17trampoline_kernelINS0_14default_configENS1_27scan_by_key_config_selectorIllEEZZNS1_16scan_by_key_implILNS1_25lookback_scan_determinismE0ELb0ES3_PKlN6hipcub16HIPCUB_304000_NS21ConstantInputIteratorIllEEPllNSB_3SumENSB_8EqualityElEE10hipError_tPvRmT2_T3_T4_T5_mT6_T7_P12ihipStream_tbENKUlT_T0_E_clISt17integral_constantIbLb0EESW_IbLb1EEEEDaSS_ST_EUlSS_E_NS1_11comp_targetILNS1_3genE8ELNS1_11target_archE1030ELNS1_3gpuE2ELNS1_3repE0EEENS1_30default_config_static_selectorELNS0_4arch9wavefront6targetE0EEEvT1_, .Lfunc_end135-_ZN7rocprim17ROCPRIM_400000_NS6detail17trampoline_kernelINS0_14default_configENS1_27scan_by_key_config_selectorIllEEZZNS1_16scan_by_key_implILNS1_25lookback_scan_determinismE0ELb0ES3_PKlN6hipcub16HIPCUB_304000_NS21ConstantInputIteratorIllEEPllNSB_3SumENSB_8EqualityElEE10hipError_tPvRmT2_T3_T4_T5_mT6_T7_P12ihipStream_tbENKUlT_T0_E_clISt17integral_constantIbLb0EESW_IbLb1EEEEDaSS_ST_EUlSS_E_NS1_11comp_targetILNS1_3genE8ELNS1_11target_archE1030ELNS1_3gpuE2ELNS1_3repE0EEENS1_30default_config_static_selectorELNS0_4arch9wavefront6targetE0EEEvT1_
                                        ; -- End function
	.set _ZN7rocprim17ROCPRIM_400000_NS6detail17trampoline_kernelINS0_14default_configENS1_27scan_by_key_config_selectorIllEEZZNS1_16scan_by_key_implILNS1_25lookback_scan_determinismE0ELb0ES3_PKlN6hipcub16HIPCUB_304000_NS21ConstantInputIteratorIllEEPllNSB_3SumENSB_8EqualityElEE10hipError_tPvRmT2_T3_T4_T5_mT6_T7_P12ihipStream_tbENKUlT_T0_E_clISt17integral_constantIbLb0EESW_IbLb1EEEEDaSS_ST_EUlSS_E_NS1_11comp_targetILNS1_3genE8ELNS1_11target_archE1030ELNS1_3gpuE2ELNS1_3repE0EEENS1_30default_config_static_selectorELNS0_4arch9wavefront6targetE0EEEvT1_.num_vgpr, 106
	.set _ZN7rocprim17ROCPRIM_400000_NS6detail17trampoline_kernelINS0_14default_configENS1_27scan_by_key_config_selectorIllEEZZNS1_16scan_by_key_implILNS1_25lookback_scan_determinismE0ELb0ES3_PKlN6hipcub16HIPCUB_304000_NS21ConstantInputIteratorIllEEPllNSB_3SumENSB_8EqualityElEE10hipError_tPvRmT2_T3_T4_T5_mT6_T7_P12ihipStream_tbENKUlT_T0_E_clISt17integral_constantIbLb0EESW_IbLb1EEEEDaSS_ST_EUlSS_E_NS1_11comp_targetILNS1_3genE8ELNS1_11target_archE1030ELNS1_3gpuE2ELNS1_3repE0EEENS1_30default_config_static_selectorELNS0_4arch9wavefront6targetE0EEEvT1_.num_agpr, 0
	.set _ZN7rocprim17ROCPRIM_400000_NS6detail17trampoline_kernelINS0_14default_configENS1_27scan_by_key_config_selectorIllEEZZNS1_16scan_by_key_implILNS1_25lookback_scan_determinismE0ELb0ES3_PKlN6hipcub16HIPCUB_304000_NS21ConstantInputIteratorIllEEPllNSB_3SumENSB_8EqualityElEE10hipError_tPvRmT2_T3_T4_T5_mT6_T7_P12ihipStream_tbENKUlT_T0_E_clISt17integral_constantIbLb0EESW_IbLb1EEEEDaSS_ST_EUlSS_E_NS1_11comp_targetILNS1_3genE8ELNS1_11target_archE1030ELNS1_3gpuE2ELNS1_3repE0EEENS1_30default_config_static_selectorELNS0_4arch9wavefront6targetE0EEEvT1_.numbered_sgpr, 51
	.set _ZN7rocprim17ROCPRIM_400000_NS6detail17trampoline_kernelINS0_14default_configENS1_27scan_by_key_config_selectorIllEEZZNS1_16scan_by_key_implILNS1_25lookback_scan_determinismE0ELb0ES3_PKlN6hipcub16HIPCUB_304000_NS21ConstantInputIteratorIllEEPllNSB_3SumENSB_8EqualityElEE10hipError_tPvRmT2_T3_T4_T5_mT6_T7_P12ihipStream_tbENKUlT_T0_E_clISt17integral_constantIbLb0EESW_IbLb1EEEEDaSS_ST_EUlSS_E_NS1_11comp_targetILNS1_3genE8ELNS1_11target_archE1030ELNS1_3gpuE2ELNS1_3repE0EEENS1_30default_config_static_selectorELNS0_4arch9wavefront6targetE0EEEvT1_.num_named_barrier, 0
	.set _ZN7rocprim17ROCPRIM_400000_NS6detail17trampoline_kernelINS0_14default_configENS1_27scan_by_key_config_selectorIllEEZZNS1_16scan_by_key_implILNS1_25lookback_scan_determinismE0ELb0ES3_PKlN6hipcub16HIPCUB_304000_NS21ConstantInputIteratorIllEEPllNSB_3SumENSB_8EqualityElEE10hipError_tPvRmT2_T3_T4_T5_mT6_T7_P12ihipStream_tbENKUlT_T0_E_clISt17integral_constantIbLb0EESW_IbLb1EEEEDaSS_ST_EUlSS_E_NS1_11comp_targetILNS1_3genE8ELNS1_11target_archE1030ELNS1_3gpuE2ELNS1_3repE0EEENS1_30default_config_static_selectorELNS0_4arch9wavefront6targetE0EEEvT1_.private_seg_size, 0
	.set _ZN7rocprim17ROCPRIM_400000_NS6detail17trampoline_kernelINS0_14default_configENS1_27scan_by_key_config_selectorIllEEZZNS1_16scan_by_key_implILNS1_25lookback_scan_determinismE0ELb0ES3_PKlN6hipcub16HIPCUB_304000_NS21ConstantInputIteratorIllEEPllNSB_3SumENSB_8EqualityElEE10hipError_tPvRmT2_T3_T4_T5_mT6_T7_P12ihipStream_tbENKUlT_T0_E_clISt17integral_constantIbLb0EESW_IbLb1EEEEDaSS_ST_EUlSS_E_NS1_11comp_targetILNS1_3genE8ELNS1_11target_archE1030ELNS1_3gpuE2ELNS1_3repE0EEENS1_30default_config_static_selectorELNS0_4arch9wavefront6targetE0EEEvT1_.uses_vcc, 1
	.set _ZN7rocprim17ROCPRIM_400000_NS6detail17trampoline_kernelINS0_14default_configENS1_27scan_by_key_config_selectorIllEEZZNS1_16scan_by_key_implILNS1_25lookback_scan_determinismE0ELb0ES3_PKlN6hipcub16HIPCUB_304000_NS21ConstantInputIteratorIllEEPllNSB_3SumENSB_8EqualityElEE10hipError_tPvRmT2_T3_T4_T5_mT6_T7_P12ihipStream_tbENKUlT_T0_E_clISt17integral_constantIbLb0EESW_IbLb1EEEEDaSS_ST_EUlSS_E_NS1_11comp_targetILNS1_3genE8ELNS1_11target_archE1030ELNS1_3gpuE2ELNS1_3repE0EEENS1_30default_config_static_selectorELNS0_4arch9wavefront6targetE0EEEvT1_.uses_flat_scratch, 0
	.set _ZN7rocprim17ROCPRIM_400000_NS6detail17trampoline_kernelINS0_14default_configENS1_27scan_by_key_config_selectorIllEEZZNS1_16scan_by_key_implILNS1_25lookback_scan_determinismE0ELb0ES3_PKlN6hipcub16HIPCUB_304000_NS21ConstantInputIteratorIllEEPllNSB_3SumENSB_8EqualityElEE10hipError_tPvRmT2_T3_T4_T5_mT6_T7_P12ihipStream_tbENKUlT_T0_E_clISt17integral_constantIbLb0EESW_IbLb1EEEEDaSS_ST_EUlSS_E_NS1_11comp_targetILNS1_3genE8ELNS1_11target_archE1030ELNS1_3gpuE2ELNS1_3repE0EEENS1_30default_config_static_selectorELNS0_4arch9wavefront6targetE0EEEvT1_.has_dyn_sized_stack, 0
	.set _ZN7rocprim17ROCPRIM_400000_NS6detail17trampoline_kernelINS0_14default_configENS1_27scan_by_key_config_selectorIllEEZZNS1_16scan_by_key_implILNS1_25lookback_scan_determinismE0ELb0ES3_PKlN6hipcub16HIPCUB_304000_NS21ConstantInputIteratorIllEEPllNSB_3SumENSB_8EqualityElEE10hipError_tPvRmT2_T3_T4_T5_mT6_T7_P12ihipStream_tbENKUlT_T0_E_clISt17integral_constantIbLb0EESW_IbLb1EEEEDaSS_ST_EUlSS_E_NS1_11comp_targetILNS1_3genE8ELNS1_11target_archE1030ELNS1_3gpuE2ELNS1_3repE0EEENS1_30default_config_static_selectorELNS0_4arch9wavefront6targetE0EEEvT1_.has_recursion, 0
	.set _ZN7rocprim17ROCPRIM_400000_NS6detail17trampoline_kernelINS0_14default_configENS1_27scan_by_key_config_selectorIllEEZZNS1_16scan_by_key_implILNS1_25lookback_scan_determinismE0ELb0ES3_PKlN6hipcub16HIPCUB_304000_NS21ConstantInputIteratorIllEEPllNSB_3SumENSB_8EqualityElEE10hipError_tPvRmT2_T3_T4_T5_mT6_T7_P12ihipStream_tbENKUlT_T0_E_clISt17integral_constantIbLb0EESW_IbLb1EEEEDaSS_ST_EUlSS_E_NS1_11comp_targetILNS1_3genE8ELNS1_11target_archE1030ELNS1_3gpuE2ELNS1_3repE0EEENS1_30default_config_static_selectorELNS0_4arch9wavefront6targetE0EEEvT1_.has_indirect_call, 0
	.section	.AMDGPU.csdata,"",@progbits
; Kernel info:
; codeLenInByte = 13924
; TotalNumSgprs: 53
; NumVgprs: 106
; ScratchSize: 0
; MemoryBound: 0
; FloatMode: 240
; IeeeMode: 1
; LDSByteSize: 30720 bytes/workgroup (compile time only)
; SGPRBlocks: 0
; VGPRBlocks: 14
; NumSGPRsForWavesPerEU: 53
; NumVGPRsForWavesPerEU: 113
; Occupancy: 8
; WaveLimiterHint : 1
; COMPUTE_PGM_RSRC2:SCRATCH_EN: 0
; COMPUTE_PGM_RSRC2:USER_SGPR: 6
; COMPUTE_PGM_RSRC2:TRAP_HANDLER: 0
; COMPUTE_PGM_RSRC2:TGID_X_EN: 1
; COMPUTE_PGM_RSRC2:TGID_Y_EN: 0
; COMPUTE_PGM_RSRC2:TGID_Z_EN: 0
; COMPUTE_PGM_RSRC2:TIDIG_COMP_CNT: 0
	.section	.text._ZN7rocprim17ROCPRIM_400000_NS6detail30init_device_scan_by_key_kernelINS1_19lookback_scan_stateINS0_5tupleIJlbEEELb0ELb0EEEN6thrust23THRUST_200600_302600_NS16reverse_iteratorIPKlEEjNS1_16block_id_wrapperIjLb0EEEEEvT_jjPNSF_10value_typeET0_PNSt15iterator_traitsISI_E10value_typeEmT1_T2_,"axG",@progbits,_ZN7rocprim17ROCPRIM_400000_NS6detail30init_device_scan_by_key_kernelINS1_19lookback_scan_stateINS0_5tupleIJlbEEELb0ELb0EEEN6thrust23THRUST_200600_302600_NS16reverse_iteratorIPKlEEjNS1_16block_id_wrapperIjLb0EEEEEvT_jjPNSF_10value_typeET0_PNSt15iterator_traitsISI_E10value_typeEmT1_T2_,comdat
	.protected	_ZN7rocprim17ROCPRIM_400000_NS6detail30init_device_scan_by_key_kernelINS1_19lookback_scan_stateINS0_5tupleIJlbEEELb0ELb0EEEN6thrust23THRUST_200600_302600_NS16reverse_iteratorIPKlEEjNS1_16block_id_wrapperIjLb0EEEEEvT_jjPNSF_10value_typeET0_PNSt15iterator_traitsISI_E10value_typeEmT1_T2_ ; -- Begin function _ZN7rocprim17ROCPRIM_400000_NS6detail30init_device_scan_by_key_kernelINS1_19lookback_scan_stateINS0_5tupleIJlbEEELb0ELb0EEEN6thrust23THRUST_200600_302600_NS16reverse_iteratorIPKlEEjNS1_16block_id_wrapperIjLb0EEEEEvT_jjPNSF_10value_typeET0_PNSt15iterator_traitsISI_E10value_typeEmT1_T2_
	.globl	_ZN7rocprim17ROCPRIM_400000_NS6detail30init_device_scan_by_key_kernelINS1_19lookback_scan_stateINS0_5tupleIJlbEEELb0ELb0EEEN6thrust23THRUST_200600_302600_NS16reverse_iteratorIPKlEEjNS1_16block_id_wrapperIjLb0EEEEEvT_jjPNSF_10value_typeET0_PNSt15iterator_traitsISI_E10value_typeEmT1_T2_
	.p2align	8
	.type	_ZN7rocprim17ROCPRIM_400000_NS6detail30init_device_scan_by_key_kernelINS1_19lookback_scan_stateINS0_5tupleIJlbEEELb0ELb0EEEN6thrust23THRUST_200600_302600_NS16reverse_iteratorIPKlEEjNS1_16block_id_wrapperIjLb0EEEEEvT_jjPNSF_10value_typeET0_PNSt15iterator_traitsISI_E10value_typeEmT1_T2_,@function
_ZN7rocprim17ROCPRIM_400000_NS6detail30init_device_scan_by_key_kernelINS1_19lookback_scan_stateINS0_5tupleIJlbEEELb0ELb0EEEN6thrust23THRUST_200600_302600_NS16reverse_iteratorIPKlEEjNS1_16block_id_wrapperIjLb0EEEEEvT_jjPNSF_10value_typeET0_PNSt15iterator_traitsISI_E10value_typeEmT1_T2_: ; @_ZN7rocprim17ROCPRIM_400000_NS6detail30init_device_scan_by_key_kernelINS1_19lookback_scan_stateINS0_5tupleIJlbEEELb0ELb0EEEN6thrust23THRUST_200600_302600_NS16reverse_iteratorIPKlEEjNS1_16block_id_wrapperIjLb0EEEEEvT_jjPNSF_10value_typeET0_PNSt15iterator_traitsISI_E10value_typeEmT1_T2_
; %bb.0:
	s_clause 0x2
	s_load_dword s0, s[4:5], 0x54
	s_load_dwordx8 s[8:15], s[4:5], 0x10
	s_load_dword s18, s[4:5], 0x48
	s_waitcnt lgkmcnt(0)
	s_and_b32 s19, s0, 0xffff
	s_cmp_eq_u64 s[12:13], 0
	v_mad_u64_u32 v[0:1], null, s6, s19, v[0:1]
	s_cbranch_scc1 .LBB136_6
; %bb.1:
	s_cmp_lt_u32 s11, s10
	s_mov_b32 s7, 0
	s_cselect_b32 s0, s11, 0
	s_mov_b32 s20, exec_lo
	v_cmpx_eq_u32_e64 s0, v0
	s_cbranch_execz .LBB136_5
; %bb.2:
	s_add_i32 s6, s11, 32
	s_load_dwordx4 s[0:3], s[4:5], 0x0
	v_mov_b32_e32 v1, s6
	s_add_u32 s16, s8, s6
	s_addc_u32 s17, s9, 0
	global_load_ubyte v2, v1, s[8:9] glc dlc
	v_mov_b32_e32 v1, 0
	s_waitcnt vmcnt(0)
	v_cmp_ne_u32_sdwa s21, v2, v1 src0_sel:WORD_0 src1_sel:DWORD
	v_readfirstlane_b32 s11, v2
	s_and_b32 vcc_lo, exec_lo, s21
	s_cbranch_vccnz .LBB136_4
.LBB136_3:                              ; =>This Inner Loop Header: Depth=1
	global_load_ubyte v2, v1, s[16:17] glc dlc
	s_waitcnt vmcnt(0)
	v_cmp_eq_u32_sdwa s21, v2, v1 src0_sel:WORD_0 src1_sel:DWORD
	v_readfirstlane_b32 s11, v2
	s_and_b32 vcc_lo, exec_lo, s21
	s_cbranch_vccnz .LBB136_3
.LBB136_4:
	s_and_b32 s11, 0xffff, s11
	v_mov_b32_e32 v3, 0
	s_cmp_eq_u32 s11, 1
	s_waitcnt lgkmcnt(0)
	buffer_gl1_inv
	buffer_gl0_inv
	s_cselect_b32 s3, s1, s3
	s_cselect_b32 s2, s0, s2
	s_lshl_b64 s[0:1], s[6:7], 4
	s_add_u32 s0, s2, s0
	s_addc_u32 s1, s3, s1
	s_clause 0x1
	global_load_dwordx2 v[1:2], v3, s[0:1]
	global_load_ubyte v4, v3, s[0:1] offset:8
	s_waitcnt vmcnt(1)
	global_store_dwordx2 v3, v[1:2], s[12:13]
	s_waitcnt vmcnt(0)
	global_store_byte v3, v4, s[12:13] offset:8
.LBB136_5:
	s_or_b32 exec_lo, exec_lo, s20
.LBB136_6:
	s_mov_b32 s0, exec_lo
	v_cmpx_gt_u32_e64 s10, v0
	s_cbranch_execz .LBB136_8
; %bb.7:
	v_add_nc_u32_e32 v1, 32, v0
	v_mov_b32_e32 v2, 0
	global_store_byte v1, v2, s[8:9]
.LBB136_8:
	s_or_b32 exec_lo, exec_lo, s0
	v_mov_b32_e32 v1, 0
	s_mov_b32 s0, exec_lo
	v_cmpx_gt_u32_e32 32, v0
	s_cbranch_execz .LBB136_10
; %bb.9:
	v_add_co_u32 v2, s1, s8, v0
	v_add_co_ci_u32_e64 v3, null, s9, 0, s1
	v_mov_b32_e32 v4, 0xff
	global_store_byte v[2:3], v4, off
.LBB136_10:
	s_or_b32 exec_lo, exec_lo, s0
	s_load_dwordx2 s[2:3], s[4:5], 0x38
	s_mov_b32 s0, exec_lo
	s_waitcnt lgkmcnt(0)
	v_cmpx_gt_u64_e64 s[2:3], v[0:1]
	s_cbranch_execz .LBB136_13
; %bb.11:
	s_clause 0x1
	s_load_dword s8, s[4:5], 0x40
	s_load_dwordx2 s[6:7], s[4:5], 0x30
	s_mov_b32 s1, 0
	v_lshlrev_b64 v[4:5], 3, v[0:1]
	s_mul_i32 s4, s18, s19
	s_mov_b32 s5, s1
	s_waitcnt lgkmcnt(0)
	s_add_i32 s0, s8, -1
	s_mul_hi_u32 s9, s8, s4
	v_mad_u64_u32 v[2:3], null, s8, v0, s[0:1]
	s_mul_i32 s8, s8, s4
	s_lshl_b64 s[8:9], s[8:9], 3
	s_sub_u32 s8, 0, s8
	s_subb_u32 s9, 0, s9
	v_not_b32_e32 v3, v3
	v_not_b32_e32 v2, v2
	v_lshlrev_b64 v[2:3], 3, v[2:3]
	v_add_co_u32 v2, vcc_lo, s14, v2
	v_add_co_ci_u32_e64 v3, null, s15, v3, vcc_lo
	v_add_co_u32 v4, vcc_lo, s6, v4
	v_add_co_ci_u32_e64 v5, null, s7, v5, vcc_lo
	s_lshl_b64 s[6:7], s[4:5], 3
	.p2align	6
.LBB136_12:                             ; =>This Inner Loop Header: Depth=1
	global_load_dwordx2 v[6:7], v[2:3], off
	v_add_co_u32 v0, vcc_lo, v0, s4
	v_add_co_ci_u32_e64 v1, null, 0, v1, vcc_lo
	v_add_co_u32 v2, vcc_lo, v2, s8
	v_add_co_ci_u32_e64 v3, null, s9, v3, vcc_lo
	v_cmp_le_u64_e32 vcc_lo, s[2:3], v[0:1]
	s_or_b32 s1, vcc_lo, s1
	s_waitcnt vmcnt(0)
	global_store_dwordx2 v[4:5], v[6:7], off
	v_add_co_u32 v4, s0, v4, s6
	v_add_co_ci_u32_e64 v5, null, s7, v5, s0
	s_andn2_b32 exec_lo, exec_lo, s1
	s_cbranch_execnz .LBB136_12
.LBB136_13:
	s_endpgm
	.section	.rodata,"a",@progbits
	.p2align	6, 0x0
	.amdhsa_kernel _ZN7rocprim17ROCPRIM_400000_NS6detail30init_device_scan_by_key_kernelINS1_19lookback_scan_stateINS0_5tupleIJlbEEELb0ELb0EEEN6thrust23THRUST_200600_302600_NS16reverse_iteratorIPKlEEjNS1_16block_id_wrapperIjLb0EEEEEvT_jjPNSF_10value_typeET0_PNSt15iterator_traitsISI_E10value_typeEmT1_T2_
		.amdhsa_group_segment_fixed_size 0
		.amdhsa_private_segment_fixed_size 0
		.amdhsa_kernarg_size 328
		.amdhsa_user_sgpr_count 6
		.amdhsa_user_sgpr_private_segment_buffer 1
		.amdhsa_user_sgpr_dispatch_ptr 0
		.amdhsa_user_sgpr_queue_ptr 0
		.amdhsa_user_sgpr_kernarg_segment_ptr 1
		.amdhsa_user_sgpr_dispatch_id 0
		.amdhsa_user_sgpr_flat_scratch_init 0
		.amdhsa_user_sgpr_private_segment_size 0
		.amdhsa_wavefront_size32 1
		.amdhsa_uses_dynamic_stack 0
		.amdhsa_system_sgpr_private_segment_wavefront_offset 0
		.amdhsa_system_sgpr_workgroup_id_x 1
		.amdhsa_system_sgpr_workgroup_id_y 0
		.amdhsa_system_sgpr_workgroup_id_z 0
		.amdhsa_system_sgpr_workgroup_info 0
		.amdhsa_system_vgpr_workitem_id 0
		.amdhsa_next_free_vgpr 8
		.amdhsa_next_free_sgpr 22
		.amdhsa_reserve_vcc 1
		.amdhsa_reserve_flat_scratch 0
		.amdhsa_float_round_mode_32 0
		.amdhsa_float_round_mode_16_64 0
		.amdhsa_float_denorm_mode_32 3
		.amdhsa_float_denorm_mode_16_64 3
		.amdhsa_dx10_clamp 1
		.amdhsa_ieee_mode 1
		.amdhsa_fp16_overflow 0
		.amdhsa_workgroup_processor_mode 1
		.amdhsa_memory_ordered 1
		.amdhsa_forward_progress 1
		.amdhsa_shared_vgpr_count 0
		.amdhsa_exception_fp_ieee_invalid_op 0
		.amdhsa_exception_fp_denorm_src 0
		.amdhsa_exception_fp_ieee_div_zero 0
		.amdhsa_exception_fp_ieee_overflow 0
		.amdhsa_exception_fp_ieee_underflow 0
		.amdhsa_exception_fp_ieee_inexact 0
		.amdhsa_exception_int_div_zero 0
	.end_amdhsa_kernel
	.section	.text._ZN7rocprim17ROCPRIM_400000_NS6detail30init_device_scan_by_key_kernelINS1_19lookback_scan_stateINS0_5tupleIJlbEEELb0ELb0EEEN6thrust23THRUST_200600_302600_NS16reverse_iteratorIPKlEEjNS1_16block_id_wrapperIjLb0EEEEEvT_jjPNSF_10value_typeET0_PNSt15iterator_traitsISI_E10value_typeEmT1_T2_,"axG",@progbits,_ZN7rocprim17ROCPRIM_400000_NS6detail30init_device_scan_by_key_kernelINS1_19lookback_scan_stateINS0_5tupleIJlbEEELb0ELb0EEEN6thrust23THRUST_200600_302600_NS16reverse_iteratorIPKlEEjNS1_16block_id_wrapperIjLb0EEEEEvT_jjPNSF_10value_typeET0_PNSt15iterator_traitsISI_E10value_typeEmT1_T2_,comdat
.Lfunc_end136:
	.size	_ZN7rocprim17ROCPRIM_400000_NS6detail30init_device_scan_by_key_kernelINS1_19lookback_scan_stateINS0_5tupleIJlbEEELb0ELb0EEEN6thrust23THRUST_200600_302600_NS16reverse_iteratorIPKlEEjNS1_16block_id_wrapperIjLb0EEEEEvT_jjPNSF_10value_typeET0_PNSt15iterator_traitsISI_E10value_typeEmT1_T2_, .Lfunc_end136-_ZN7rocprim17ROCPRIM_400000_NS6detail30init_device_scan_by_key_kernelINS1_19lookback_scan_stateINS0_5tupleIJlbEEELb0ELb0EEEN6thrust23THRUST_200600_302600_NS16reverse_iteratorIPKlEEjNS1_16block_id_wrapperIjLb0EEEEEvT_jjPNSF_10value_typeET0_PNSt15iterator_traitsISI_E10value_typeEmT1_T2_
                                        ; -- End function
	.set _ZN7rocprim17ROCPRIM_400000_NS6detail30init_device_scan_by_key_kernelINS1_19lookback_scan_stateINS0_5tupleIJlbEEELb0ELb0EEEN6thrust23THRUST_200600_302600_NS16reverse_iteratorIPKlEEjNS1_16block_id_wrapperIjLb0EEEEEvT_jjPNSF_10value_typeET0_PNSt15iterator_traitsISI_E10value_typeEmT1_T2_.num_vgpr, 8
	.set _ZN7rocprim17ROCPRIM_400000_NS6detail30init_device_scan_by_key_kernelINS1_19lookback_scan_stateINS0_5tupleIJlbEEELb0ELb0EEEN6thrust23THRUST_200600_302600_NS16reverse_iteratorIPKlEEjNS1_16block_id_wrapperIjLb0EEEEEvT_jjPNSF_10value_typeET0_PNSt15iterator_traitsISI_E10value_typeEmT1_T2_.num_agpr, 0
	.set _ZN7rocprim17ROCPRIM_400000_NS6detail30init_device_scan_by_key_kernelINS1_19lookback_scan_stateINS0_5tupleIJlbEEELb0ELb0EEEN6thrust23THRUST_200600_302600_NS16reverse_iteratorIPKlEEjNS1_16block_id_wrapperIjLb0EEEEEvT_jjPNSF_10value_typeET0_PNSt15iterator_traitsISI_E10value_typeEmT1_T2_.numbered_sgpr, 22
	.set _ZN7rocprim17ROCPRIM_400000_NS6detail30init_device_scan_by_key_kernelINS1_19lookback_scan_stateINS0_5tupleIJlbEEELb0ELb0EEEN6thrust23THRUST_200600_302600_NS16reverse_iteratorIPKlEEjNS1_16block_id_wrapperIjLb0EEEEEvT_jjPNSF_10value_typeET0_PNSt15iterator_traitsISI_E10value_typeEmT1_T2_.num_named_barrier, 0
	.set _ZN7rocprim17ROCPRIM_400000_NS6detail30init_device_scan_by_key_kernelINS1_19lookback_scan_stateINS0_5tupleIJlbEEELb0ELb0EEEN6thrust23THRUST_200600_302600_NS16reverse_iteratorIPKlEEjNS1_16block_id_wrapperIjLb0EEEEEvT_jjPNSF_10value_typeET0_PNSt15iterator_traitsISI_E10value_typeEmT1_T2_.private_seg_size, 0
	.set _ZN7rocprim17ROCPRIM_400000_NS6detail30init_device_scan_by_key_kernelINS1_19lookback_scan_stateINS0_5tupleIJlbEEELb0ELb0EEEN6thrust23THRUST_200600_302600_NS16reverse_iteratorIPKlEEjNS1_16block_id_wrapperIjLb0EEEEEvT_jjPNSF_10value_typeET0_PNSt15iterator_traitsISI_E10value_typeEmT1_T2_.uses_vcc, 1
	.set _ZN7rocprim17ROCPRIM_400000_NS6detail30init_device_scan_by_key_kernelINS1_19lookback_scan_stateINS0_5tupleIJlbEEELb0ELb0EEEN6thrust23THRUST_200600_302600_NS16reverse_iteratorIPKlEEjNS1_16block_id_wrapperIjLb0EEEEEvT_jjPNSF_10value_typeET0_PNSt15iterator_traitsISI_E10value_typeEmT1_T2_.uses_flat_scratch, 0
	.set _ZN7rocprim17ROCPRIM_400000_NS6detail30init_device_scan_by_key_kernelINS1_19lookback_scan_stateINS0_5tupleIJlbEEELb0ELb0EEEN6thrust23THRUST_200600_302600_NS16reverse_iteratorIPKlEEjNS1_16block_id_wrapperIjLb0EEEEEvT_jjPNSF_10value_typeET0_PNSt15iterator_traitsISI_E10value_typeEmT1_T2_.has_dyn_sized_stack, 0
	.set _ZN7rocprim17ROCPRIM_400000_NS6detail30init_device_scan_by_key_kernelINS1_19lookback_scan_stateINS0_5tupleIJlbEEELb0ELb0EEEN6thrust23THRUST_200600_302600_NS16reverse_iteratorIPKlEEjNS1_16block_id_wrapperIjLb0EEEEEvT_jjPNSF_10value_typeET0_PNSt15iterator_traitsISI_E10value_typeEmT1_T2_.has_recursion, 0
	.set _ZN7rocprim17ROCPRIM_400000_NS6detail30init_device_scan_by_key_kernelINS1_19lookback_scan_stateINS0_5tupleIJlbEEELb0ELb0EEEN6thrust23THRUST_200600_302600_NS16reverse_iteratorIPKlEEjNS1_16block_id_wrapperIjLb0EEEEEvT_jjPNSF_10value_typeET0_PNSt15iterator_traitsISI_E10value_typeEmT1_T2_.has_indirect_call, 0
	.section	.AMDGPU.csdata,"",@progbits
; Kernel info:
; codeLenInByte = 664
; TotalNumSgprs: 24
; NumVgprs: 8
; ScratchSize: 0
; MemoryBound: 0
; FloatMode: 240
; IeeeMode: 1
; LDSByteSize: 0 bytes/workgroup (compile time only)
; SGPRBlocks: 0
; VGPRBlocks: 0
; NumSGPRsForWavesPerEU: 24
; NumVGPRsForWavesPerEU: 8
; Occupancy: 16
; WaveLimiterHint : 0
; COMPUTE_PGM_RSRC2:SCRATCH_EN: 0
; COMPUTE_PGM_RSRC2:USER_SGPR: 6
; COMPUTE_PGM_RSRC2:TRAP_HANDLER: 0
; COMPUTE_PGM_RSRC2:TGID_X_EN: 1
; COMPUTE_PGM_RSRC2:TGID_Y_EN: 0
; COMPUTE_PGM_RSRC2:TGID_Z_EN: 0
; COMPUTE_PGM_RSRC2:TIDIG_COMP_CNT: 0
	.section	.text._ZN7rocprim17ROCPRIM_400000_NS6detail17trampoline_kernelINS0_14default_configENS1_27scan_by_key_config_selectorIllEEZZNS1_16scan_by_key_implILNS1_25lookback_scan_determinismE0ELb0ES3_N6thrust23THRUST_200600_302600_NS16reverse_iteratorIPKlEESD_NSA_IPlEElN6hipcub16HIPCUB_304000_NS3MaxENSH_8EqualityElEE10hipError_tPvRmT2_T3_T4_T5_mT6_T7_P12ihipStream_tbENKUlT_T0_E_clISt17integral_constantIbLb0EES10_EEDaSV_SW_EUlSV_E_NS1_11comp_targetILNS1_3genE0ELNS1_11target_archE4294967295ELNS1_3gpuE0ELNS1_3repE0EEENS1_30default_config_static_selectorELNS0_4arch9wavefront6targetE0EEEvT1_,"axG",@progbits,_ZN7rocprim17ROCPRIM_400000_NS6detail17trampoline_kernelINS0_14default_configENS1_27scan_by_key_config_selectorIllEEZZNS1_16scan_by_key_implILNS1_25lookback_scan_determinismE0ELb0ES3_N6thrust23THRUST_200600_302600_NS16reverse_iteratorIPKlEESD_NSA_IPlEElN6hipcub16HIPCUB_304000_NS3MaxENSH_8EqualityElEE10hipError_tPvRmT2_T3_T4_T5_mT6_T7_P12ihipStream_tbENKUlT_T0_E_clISt17integral_constantIbLb0EES10_EEDaSV_SW_EUlSV_E_NS1_11comp_targetILNS1_3genE0ELNS1_11target_archE4294967295ELNS1_3gpuE0ELNS1_3repE0EEENS1_30default_config_static_selectorELNS0_4arch9wavefront6targetE0EEEvT1_,comdat
	.protected	_ZN7rocprim17ROCPRIM_400000_NS6detail17trampoline_kernelINS0_14default_configENS1_27scan_by_key_config_selectorIllEEZZNS1_16scan_by_key_implILNS1_25lookback_scan_determinismE0ELb0ES3_N6thrust23THRUST_200600_302600_NS16reverse_iteratorIPKlEESD_NSA_IPlEElN6hipcub16HIPCUB_304000_NS3MaxENSH_8EqualityElEE10hipError_tPvRmT2_T3_T4_T5_mT6_T7_P12ihipStream_tbENKUlT_T0_E_clISt17integral_constantIbLb0EES10_EEDaSV_SW_EUlSV_E_NS1_11comp_targetILNS1_3genE0ELNS1_11target_archE4294967295ELNS1_3gpuE0ELNS1_3repE0EEENS1_30default_config_static_selectorELNS0_4arch9wavefront6targetE0EEEvT1_ ; -- Begin function _ZN7rocprim17ROCPRIM_400000_NS6detail17trampoline_kernelINS0_14default_configENS1_27scan_by_key_config_selectorIllEEZZNS1_16scan_by_key_implILNS1_25lookback_scan_determinismE0ELb0ES3_N6thrust23THRUST_200600_302600_NS16reverse_iteratorIPKlEESD_NSA_IPlEElN6hipcub16HIPCUB_304000_NS3MaxENSH_8EqualityElEE10hipError_tPvRmT2_T3_T4_T5_mT6_T7_P12ihipStream_tbENKUlT_T0_E_clISt17integral_constantIbLb0EES10_EEDaSV_SW_EUlSV_E_NS1_11comp_targetILNS1_3genE0ELNS1_11target_archE4294967295ELNS1_3gpuE0ELNS1_3repE0EEENS1_30default_config_static_selectorELNS0_4arch9wavefront6targetE0EEEvT1_
	.globl	_ZN7rocprim17ROCPRIM_400000_NS6detail17trampoline_kernelINS0_14default_configENS1_27scan_by_key_config_selectorIllEEZZNS1_16scan_by_key_implILNS1_25lookback_scan_determinismE0ELb0ES3_N6thrust23THRUST_200600_302600_NS16reverse_iteratorIPKlEESD_NSA_IPlEElN6hipcub16HIPCUB_304000_NS3MaxENSH_8EqualityElEE10hipError_tPvRmT2_T3_T4_T5_mT6_T7_P12ihipStream_tbENKUlT_T0_E_clISt17integral_constantIbLb0EES10_EEDaSV_SW_EUlSV_E_NS1_11comp_targetILNS1_3genE0ELNS1_11target_archE4294967295ELNS1_3gpuE0ELNS1_3repE0EEENS1_30default_config_static_selectorELNS0_4arch9wavefront6targetE0EEEvT1_
	.p2align	8
	.type	_ZN7rocprim17ROCPRIM_400000_NS6detail17trampoline_kernelINS0_14default_configENS1_27scan_by_key_config_selectorIllEEZZNS1_16scan_by_key_implILNS1_25lookback_scan_determinismE0ELb0ES3_N6thrust23THRUST_200600_302600_NS16reverse_iteratorIPKlEESD_NSA_IPlEElN6hipcub16HIPCUB_304000_NS3MaxENSH_8EqualityElEE10hipError_tPvRmT2_T3_T4_T5_mT6_T7_P12ihipStream_tbENKUlT_T0_E_clISt17integral_constantIbLb0EES10_EEDaSV_SW_EUlSV_E_NS1_11comp_targetILNS1_3genE0ELNS1_11target_archE4294967295ELNS1_3gpuE0ELNS1_3repE0EEENS1_30default_config_static_selectorELNS0_4arch9wavefront6targetE0EEEvT1_,@function
_ZN7rocprim17ROCPRIM_400000_NS6detail17trampoline_kernelINS0_14default_configENS1_27scan_by_key_config_selectorIllEEZZNS1_16scan_by_key_implILNS1_25lookback_scan_determinismE0ELb0ES3_N6thrust23THRUST_200600_302600_NS16reverse_iteratorIPKlEESD_NSA_IPlEElN6hipcub16HIPCUB_304000_NS3MaxENSH_8EqualityElEE10hipError_tPvRmT2_T3_T4_T5_mT6_T7_P12ihipStream_tbENKUlT_T0_E_clISt17integral_constantIbLb0EES10_EEDaSV_SW_EUlSV_E_NS1_11comp_targetILNS1_3genE0ELNS1_11target_archE4294967295ELNS1_3gpuE0ELNS1_3repE0EEENS1_30default_config_static_selectorELNS0_4arch9wavefront6targetE0EEEvT1_: ; @_ZN7rocprim17ROCPRIM_400000_NS6detail17trampoline_kernelINS0_14default_configENS1_27scan_by_key_config_selectorIllEEZZNS1_16scan_by_key_implILNS1_25lookback_scan_determinismE0ELb0ES3_N6thrust23THRUST_200600_302600_NS16reverse_iteratorIPKlEESD_NSA_IPlEElN6hipcub16HIPCUB_304000_NS3MaxENSH_8EqualityElEE10hipError_tPvRmT2_T3_T4_T5_mT6_T7_P12ihipStream_tbENKUlT_T0_E_clISt17integral_constantIbLb0EES10_EEDaSV_SW_EUlSV_E_NS1_11comp_targetILNS1_3genE0ELNS1_11target_archE4294967295ELNS1_3gpuE0ELNS1_3repE0EEENS1_30default_config_static_selectorELNS0_4arch9wavefront6targetE0EEEvT1_
; %bb.0:
	.section	.rodata,"a",@progbits
	.p2align	6, 0x0
	.amdhsa_kernel _ZN7rocprim17ROCPRIM_400000_NS6detail17trampoline_kernelINS0_14default_configENS1_27scan_by_key_config_selectorIllEEZZNS1_16scan_by_key_implILNS1_25lookback_scan_determinismE0ELb0ES3_N6thrust23THRUST_200600_302600_NS16reverse_iteratorIPKlEESD_NSA_IPlEElN6hipcub16HIPCUB_304000_NS3MaxENSH_8EqualityElEE10hipError_tPvRmT2_T3_T4_T5_mT6_T7_P12ihipStream_tbENKUlT_T0_E_clISt17integral_constantIbLb0EES10_EEDaSV_SW_EUlSV_E_NS1_11comp_targetILNS1_3genE0ELNS1_11target_archE4294967295ELNS1_3gpuE0ELNS1_3repE0EEENS1_30default_config_static_selectorELNS0_4arch9wavefront6targetE0EEEvT1_
		.amdhsa_group_segment_fixed_size 0
		.amdhsa_private_segment_fixed_size 0
		.amdhsa_kernarg_size 136
		.amdhsa_user_sgpr_count 6
		.amdhsa_user_sgpr_private_segment_buffer 1
		.amdhsa_user_sgpr_dispatch_ptr 0
		.amdhsa_user_sgpr_queue_ptr 0
		.amdhsa_user_sgpr_kernarg_segment_ptr 1
		.amdhsa_user_sgpr_dispatch_id 0
		.amdhsa_user_sgpr_flat_scratch_init 0
		.amdhsa_user_sgpr_private_segment_size 0
		.amdhsa_wavefront_size32 1
		.amdhsa_uses_dynamic_stack 0
		.amdhsa_system_sgpr_private_segment_wavefront_offset 0
		.amdhsa_system_sgpr_workgroup_id_x 1
		.amdhsa_system_sgpr_workgroup_id_y 0
		.amdhsa_system_sgpr_workgroup_id_z 0
		.amdhsa_system_sgpr_workgroup_info 0
		.amdhsa_system_vgpr_workitem_id 0
		.amdhsa_next_free_vgpr 1
		.amdhsa_next_free_sgpr 1
		.amdhsa_reserve_vcc 0
		.amdhsa_reserve_flat_scratch 0
		.amdhsa_float_round_mode_32 0
		.amdhsa_float_round_mode_16_64 0
		.amdhsa_float_denorm_mode_32 3
		.amdhsa_float_denorm_mode_16_64 3
		.amdhsa_dx10_clamp 1
		.amdhsa_ieee_mode 1
		.amdhsa_fp16_overflow 0
		.amdhsa_workgroup_processor_mode 1
		.amdhsa_memory_ordered 1
		.amdhsa_forward_progress 1
		.amdhsa_shared_vgpr_count 0
		.amdhsa_exception_fp_ieee_invalid_op 0
		.amdhsa_exception_fp_denorm_src 0
		.amdhsa_exception_fp_ieee_div_zero 0
		.amdhsa_exception_fp_ieee_overflow 0
		.amdhsa_exception_fp_ieee_underflow 0
		.amdhsa_exception_fp_ieee_inexact 0
		.amdhsa_exception_int_div_zero 0
	.end_amdhsa_kernel
	.section	.text._ZN7rocprim17ROCPRIM_400000_NS6detail17trampoline_kernelINS0_14default_configENS1_27scan_by_key_config_selectorIllEEZZNS1_16scan_by_key_implILNS1_25lookback_scan_determinismE0ELb0ES3_N6thrust23THRUST_200600_302600_NS16reverse_iteratorIPKlEESD_NSA_IPlEElN6hipcub16HIPCUB_304000_NS3MaxENSH_8EqualityElEE10hipError_tPvRmT2_T3_T4_T5_mT6_T7_P12ihipStream_tbENKUlT_T0_E_clISt17integral_constantIbLb0EES10_EEDaSV_SW_EUlSV_E_NS1_11comp_targetILNS1_3genE0ELNS1_11target_archE4294967295ELNS1_3gpuE0ELNS1_3repE0EEENS1_30default_config_static_selectorELNS0_4arch9wavefront6targetE0EEEvT1_,"axG",@progbits,_ZN7rocprim17ROCPRIM_400000_NS6detail17trampoline_kernelINS0_14default_configENS1_27scan_by_key_config_selectorIllEEZZNS1_16scan_by_key_implILNS1_25lookback_scan_determinismE0ELb0ES3_N6thrust23THRUST_200600_302600_NS16reverse_iteratorIPKlEESD_NSA_IPlEElN6hipcub16HIPCUB_304000_NS3MaxENSH_8EqualityElEE10hipError_tPvRmT2_T3_T4_T5_mT6_T7_P12ihipStream_tbENKUlT_T0_E_clISt17integral_constantIbLb0EES10_EEDaSV_SW_EUlSV_E_NS1_11comp_targetILNS1_3genE0ELNS1_11target_archE4294967295ELNS1_3gpuE0ELNS1_3repE0EEENS1_30default_config_static_selectorELNS0_4arch9wavefront6targetE0EEEvT1_,comdat
.Lfunc_end137:
	.size	_ZN7rocprim17ROCPRIM_400000_NS6detail17trampoline_kernelINS0_14default_configENS1_27scan_by_key_config_selectorIllEEZZNS1_16scan_by_key_implILNS1_25lookback_scan_determinismE0ELb0ES3_N6thrust23THRUST_200600_302600_NS16reverse_iteratorIPKlEESD_NSA_IPlEElN6hipcub16HIPCUB_304000_NS3MaxENSH_8EqualityElEE10hipError_tPvRmT2_T3_T4_T5_mT6_T7_P12ihipStream_tbENKUlT_T0_E_clISt17integral_constantIbLb0EES10_EEDaSV_SW_EUlSV_E_NS1_11comp_targetILNS1_3genE0ELNS1_11target_archE4294967295ELNS1_3gpuE0ELNS1_3repE0EEENS1_30default_config_static_selectorELNS0_4arch9wavefront6targetE0EEEvT1_, .Lfunc_end137-_ZN7rocprim17ROCPRIM_400000_NS6detail17trampoline_kernelINS0_14default_configENS1_27scan_by_key_config_selectorIllEEZZNS1_16scan_by_key_implILNS1_25lookback_scan_determinismE0ELb0ES3_N6thrust23THRUST_200600_302600_NS16reverse_iteratorIPKlEESD_NSA_IPlEElN6hipcub16HIPCUB_304000_NS3MaxENSH_8EqualityElEE10hipError_tPvRmT2_T3_T4_T5_mT6_T7_P12ihipStream_tbENKUlT_T0_E_clISt17integral_constantIbLb0EES10_EEDaSV_SW_EUlSV_E_NS1_11comp_targetILNS1_3genE0ELNS1_11target_archE4294967295ELNS1_3gpuE0ELNS1_3repE0EEENS1_30default_config_static_selectorELNS0_4arch9wavefront6targetE0EEEvT1_
                                        ; -- End function
	.set _ZN7rocprim17ROCPRIM_400000_NS6detail17trampoline_kernelINS0_14default_configENS1_27scan_by_key_config_selectorIllEEZZNS1_16scan_by_key_implILNS1_25lookback_scan_determinismE0ELb0ES3_N6thrust23THRUST_200600_302600_NS16reverse_iteratorIPKlEESD_NSA_IPlEElN6hipcub16HIPCUB_304000_NS3MaxENSH_8EqualityElEE10hipError_tPvRmT2_T3_T4_T5_mT6_T7_P12ihipStream_tbENKUlT_T0_E_clISt17integral_constantIbLb0EES10_EEDaSV_SW_EUlSV_E_NS1_11comp_targetILNS1_3genE0ELNS1_11target_archE4294967295ELNS1_3gpuE0ELNS1_3repE0EEENS1_30default_config_static_selectorELNS0_4arch9wavefront6targetE0EEEvT1_.num_vgpr, 0
	.set _ZN7rocprim17ROCPRIM_400000_NS6detail17trampoline_kernelINS0_14default_configENS1_27scan_by_key_config_selectorIllEEZZNS1_16scan_by_key_implILNS1_25lookback_scan_determinismE0ELb0ES3_N6thrust23THRUST_200600_302600_NS16reverse_iteratorIPKlEESD_NSA_IPlEElN6hipcub16HIPCUB_304000_NS3MaxENSH_8EqualityElEE10hipError_tPvRmT2_T3_T4_T5_mT6_T7_P12ihipStream_tbENKUlT_T0_E_clISt17integral_constantIbLb0EES10_EEDaSV_SW_EUlSV_E_NS1_11comp_targetILNS1_3genE0ELNS1_11target_archE4294967295ELNS1_3gpuE0ELNS1_3repE0EEENS1_30default_config_static_selectorELNS0_4arch9wavefront6targetE0EEEvT1_.num_agpr, 0
	.set _ZN7rocprim17ROCPRIM_400000_NS6detail17trampoline_kernelINS0_14default_configENS1_27scan_by_key_config_selectorIllEEZZNS1_16scan_by_key_implILNS1_25lookback_scan_determinismE0ELb0ES3_N6thrust23THRUST_200600_302600_NS16reverse_iteratorIPKlEESD_NSA_IPlEElN6hipcub16HIPCUB_304000_NS3MaxENSH_8EqualityElEE10hipError_tPvRmT2_T3_T4_T5_mT6_T7_P12ihipStream_tbENKUlT_T0_E_clISt17integral_constantIbLb0EES10_EEDaSV_SW_EUlSV_E_NS1_11comp_targetILNS1_3genE0ELNS1_11target_archE4294967295ELNS1_3gpuE0ELNS1_3repE0EEENS1_30default_config_static_selectorELNS0_4arch9wavefront6targetE0EEEvT1_.numbered_sgpr, 0
	.set _ZN7rocprim17ROCPRIM_400000_NS6detail17trampoline_kernelINS0_14default_configENS1_27scan_by_key_config_selectorIllEEZZNS1_16scan_by_key_implILNS1_25lookback_scan_determinismE0ELb0ES3_N6thrust23THRUST_200600_302600_NS16reverse_iteratorIPKlEESD_NSA_IPlEElN6hipcub16HIPCUB_304000_NS3MaxENSH_8EqualityElEE10hipError_tPvRmT2_T3_T4_T5_mT6_T7_P12ihipStream_tbENKUlT_T0_E_clISt17integral_constantIbLb0EES10_EEDaSV_SW_EUlSV_E_NS1_11comp_targetILNS1_3genE0ELNS1_11target_archE4294967295ELNS1_3gpuE0ELNS1_3repE0EEENS1_30default_config_static_selectorELNS0_4arch9wavefront6targetE0EEEvT1_.num_named_barrier, 0
	.set _ZN7rocprim17ROCPRIM_400000_NS6detail17trampoline_kernelINS0_14default_configENS1_27scan_by_key_config_selectorIllEEZZNS1_16scan_by_key_implILNS1_25lookback_scan_determinismE0ELb0ES3_N6thrust23THRUST_200600_302600_NS16reverse_iteratorIPKlEESD_NSA_IPlEElN6hipcub16HIPCUB_304000_NS3MaxENSH_8EqualityElEE10hipError_tPvRmT2_T3_T4_T5_mT6_T7_P12ihipStream_tbENKUlT_T0_E_clISt17integral_constantIbLb0EES10_EEDaSV_SW_EUlSV_E_NS1_11comp_targetILNS1_3genE0ELNS1_11target_archE4294967295ELNS1_3gpuE0ELNS1_3repE0EEENS1_30default_config_static_selectorELNS0_4arch9wavefront6targetE0EEEvT1_.private_seg_size, 0
	.set _ZN7rocprim17ROCPRIM_400000_NS6detail17trampoline_kernelINS0_14default_configENS1_27scan_by_key_config_selectorIllEEZZNS1_16scan_by_key_implILNS1_25lookback_scan_determinismE0ELb0ES3_N6thrust23THRUST_200600_302600_NS16reverse_iteratorIPKlEESD_NSA_IPlEElN6hipcub16HIPCUB_304000_NS3MaxENSH_8EqualityElEE10hipError_tPvRmT2_T3_T4_T5_mT6_T7_P12ihipStream_tbENKUlT_T0_E_clISt17integral_constantIbLb0EES10_EEDaSV_SW_EUlSV_E_NS1_11comp_targetILNS1_3genE0ELNS1_11target_archE4294967295ELNS1_3gpuE0ELNS1_3repE0EEENS1_30default_config_static_selectorELNS0_4arch9wavefront6targetE0EEEvT1_.uses_vcc, 0
	.set _ZN7rocprim17ROCPRIM_400000_NS6detail17trampoline_kernelINS0_14default_configENS1_27scan_by_key_config_selectorIllEEZZNS1_16scan_by_key_implILNS1_25lookback_scan_determinismE0ELb0ES3_N6thrust23THRUST_200600_302600_NS16reverse_iteratorIPKlEESD_NSA_IPlEElN6hipcub16HIPCUB_304000_NS3MaxENSH_8EqualityElEE10hipError_tPvRmT2_T3_T4_T5_mT6_T7_P12ihipStream_tbENKUlT_T0_E_clISt17integral_constantIbLb0EES10_EEDaSV_SW_EUlSV_E_NS1_11comp_targetILNS1_3genE0ELNS1_11target_archE4294967295ELNS1_3gpuE0ELNS1_3repE0EEENS1_30default_config_static_selectorELNS0_4arch9wavefront6targetE0EEEvT1_.uses_flat_scratch, 0
	.set _ZN7rocprim17ROCPRIM_400000_NS6detail17trampoline_kernelINS0_14default_configENS1_27scan_by_key_config_selectorIllEEZZNS1_16scan_by_key_implILNS1_25lookback_scan_determinismE0ELb0ES3_N6thrust23THRUST_200600_302600_NS16reverse_iteratorIPKlEESD_NSA_IPlEElN6hipcub16HIPCUB_304000_NS3MaxENSH_8EqualityElEE10hipError_tPvRmT2_T3_T4_T5_mT6_T7_P12ihipStream_tbENKUlT_T0_E_clISt17integral_constantIbLb0EES10_EEDaSV_SW_EUlSV_E_NS1_11comp_targetILNS1_3genE0ELNS1_11target_archE4294967295ELNS1_3gpuE0ELNS1_3repE0EEENS1_30default_config_static_selectorELNS0_4arch9wavefront6targetE0EEEvT1_.has_dyn_sized_stack, 0
	.set _ZN7rocprim17ROCPRIM_400000_NS6detail17trampoline_kernelINS0_14default_configENS1_27scan_by_key_config_selectorIllEEZZNS1_16scan_by_key_implILNS1_25lookback_scan_determinismE0ELb0ES3_N6thrust23THRUST_200600_302600_NS16reverse_iteratorIPKlEESD_NSA_IPlEElN6hipcub16HIPCUB_304000_NS3MaxENSH_8EqualityElEE10hipError_tPvRmT2_T3_T4_T5_mT6_T7_P12ihipStream_tbENKUlT_T0_E_clISt17integral_constantIbLb0EES10_EEDaSV_SW_EUlSV_E_NS1_11comp_targetILNS1_3genE0ELNS1_11target_archE4294967295ELNS1_3gpuE0ELNS1_3repE0EEENS1_30default_config_static_selectorELNS0_4arch9wavefront6targetE0EEEvT1_.has_recursion, 0
	.set _ZN7rocprim17ROCPRIM_400000_NS6detail17trampoline_kernelINS0_14default_configENS1_27scan_by_key_config_selectorIllEEZZNS1_16scan_by_key_implILNS1_25lookback_scan_determinismE0ELb0ES3_N6thrust23THRUST_200600_302600_NS16reverse_iteratorIPKlEESD_NSA_IPlEElN6hipcub16HIPCUB_304000_NS3MaxENSH_8EqualityElEE10hipError_tPvRmT2_T3_T4_T5_mT6_T7_P12ihipStream_tbENKUlT_T0_E_clISt17integral_constantIbLb0EES10_EEDaSV_SW_EUlSV_E_NS1_11comp_targetILNS1_3genE0ELNS1_11target_archE4294967295ELNS1_3gpuE0ELNS1_3repE0EEENS1_30default_config_static_selectorELNS0_4arch9wavefront6targetE0EEEvT1_.has_indirect_call, 0
	.section	.AMDGPU.csdata,"",@progbits
; Kernel info:
; codeLenInByte = 0
; TotalNumSgprs: 0
; NumVgprs: 0
; ScratchSize: 0
; MemoryBound: 0
; FloatMode: 240
; IeeeMode: 1
; LDSByteSize: 0 bytes/workgroup (compile time only)
; SGPRBlocks: 0
; VGPRBlocks: 0
; NumSGPRsForWavesPerEU: 1
; NumVGPRsForWavesPerEU: 1
; Occupancy: 16
; WaveLimiterHint : 0
; COMPUTE_PGM_RSRC2:SCRATCH_EN: 0
; COMPUTE_PGM_RSRC2:USER_SGPR: 6
; COMPUTE_PGM_RSRC2:TRAP_HANDLER: 0
; COMPUTE_PGM_RSRC2:TGID_X_EN: 1
; COMPUTE_PGM_RSRC2:TGID_Y_EN: 0
; COMPUTE_PGM_RSRC2:TGID_Z_EN: 0
; COMPUTE_PGM_RSRC2:TIDIG_COMP_CNT: 0
	.section	.text._ZN7rocprim17ROCPRIM_400000_NS6detail17trampoline_kernelINS0_14default_configENS1_27scan_by_key_config_selectorIllEEZZNS1_16scan_by_key_implILNS1_25lookback_scan_determinismE0ELb0ES3_N6thrust23THRUST_200600_302600_NS16reverse_iteratorIPKlEESD_NSA_IPlEElN6hipcub16HIPCUB_304000_NS3MaxENSH_8EqualityElEE10hipError_tPvRmT2_T3_T4_T5_mT6_T7_P12ihipStream_tbENKUlT_T0_E_clISt17integral_constantIbLb0EES10_EEDaSV_SW_EUlSV_E_NS1_11comp_targetILNS1_3genE10ELNS1_11target_archE1201ELNS1_3gpuE5ELNS1_3repE0EEENS1_30default_config_static_selectorELNS0_4arch9wavefront6targetE0EEEvT1_,"axG",@progbits,_ZN7rocprim17ROCPRIM_400000_NS6detail17trampoline_kernelINS0_14default_configENS1_27scan_by_key_config_selectorIllEEZZNS1_16scan_by_key_implILNS1_25lookback_scan_determinismE0ELb0ES3_N6thrust23THRUST_200600_302600_NS16reverse_iteratorIPKlEESD_NSA_IPlEElN6hipcub16HIPCUB_304000_NS3MaxENSH_8EqualityElEE10hipError_tPvRmT2_T3_T4_T5_mT6_T7_P12ihipStream_tbENKUlT_T0_E_clISt17integral_constantIbLb0EES10_EEDaSV_SW_EUlSV_E_NS1_11comp_targetILNS1_3genE10ELNS1_11target_archE1201ELNS1_3gpuE5ELNS1_3repE0EEENS1_30default_config_static_selectorELNS0_4arch9wavefront6targetE0EEEvT1_,comdat
	.protected	_ZN7rocprim17ROCPRIM_400000_NS6detail17trampoline_kernelINS0_14default_configENS1_27scan_by_key_config_selectorIllEEZZNS1_16scan_by_key_implILNS1_25lookback_scan_determinismE0ELb0ES3_N6thrust23THRUST_200600_302600_NS16reverse_iteratorIPKlEESD_NSA_IPlEElN6hipcub16HIPCUB_304000_NS3MaxENSH_8EqualityElEE10hipError_tPvRmT2_T3_T4_T5_mT6_T7_P12ihipStream_tbENKUlT_T0_E_clISt17integral_constantIbLb0EES10_EEDaSV_SW_EUlSV_E_NS1_11comp_targetILNS1_3genE10ELNS1_11target_archE1201ELNS1_3gpuE5ELNS1_3repE0EEENS1_30default_config_static_selectorELNS0_4arch9wavefront6targetE0EEEvT1_ ; -- Begin function _ZN7rocprim17ROCPRIM_400000_NS6detail17trampoline_kernelINS0_14default_configENS1_27scan_by_key_config_selectorIllEEZZNS1_16scan_by_key_implILNS1_25lookback_scan_determinismE0ELb0ES3_N6thrust23THRUST_200600_302600_NS16reverse_iteratorIPKlEESD_NSA_IPlEElN6hipcub16HIPCUB_304000_NS3MaxENSH_8EqualityElEE10hipError_tPvRmT2_T3_T4_T5_mT6_T7_P12ihipStream_tbENKUlT_T0_E_clISt17integral_constantIbLb0EES10_EEDaSV_SW_EUlSV_E_NS1_11comp_targetILNS1_3genE10ELNS1_11target_archE1201ELNS1_3gpuE5ELNS1_3repE0EEENS1_30default_config_static_selectorELNS0_4arch9wavefront6targetE0EEEvT1_
	.globl	_ZN7rocprim17ROCPRIM_400000_NS6detail17trampoline_kernelINS0_14default_configENS1_27scan_by_key_config_selectorIllEEZZNS1_16scan_by_key_implILNS1_25lookback_scan_determinismE0ELb0ES3_N6thrust23THRUST_200600_302600_NS16reverse_iteratorIPKlEESD_NSA_IPlEElN6hipcub16HIPCUB_304000_NS3MaxENSH_8EqualityElEE10hipError_tPvRmT2_T3_T4_T5_mT6_T7_P12ihipStream_tbENKUlT_T0_E_clISt17integral_constantIbLb0EES10_EEDaSV_SW_EUlSV_E_NS1_11comp_targetILNS1_3genE10ELNS1_11target_archE1201ELNS1_3gpuE5ELNS1_3repE0EEENS1_30default_config_static_selectorELNS0_4arch9wavefront6targetE0EEEvT1_
	.p2align	8
	.type	_ZN7rocprim17ROCPRIM_400000_NS6detail17trampoline_kernelINS0_14default_configENS1_27scan_by_key_config_selectorIllEEZZNS1_16scan_by_key_implILNS1_25lookback_scan_determinismE0ELb0ES3_N6thrust23THRUST_200600_302600_NS16reverse_iteratorIPKlEESD_NSA_IPlEElN6hipcub16HIPCUB_304000_NS3MaxENSH_8EqualityElEE10hipError_tPvRmT2_T3_T4_T5_mT6_T7_P12ihipStream_tbENKUlT_T0_E_clISt17integral_constantIbLb0EES10_EEDaSV_SW_EUlSV_E_NS1_11comp_targetILNS1_3genE10ELNS1_11target_archE1201ELNS1_3gpuE5ELNS1_3repE0EEENS1_30default_config_static_selectorELNS0_4arch9wavefront6targetE0EEEvT1_,@function
_ZN7rocprim17ROCPRIM_400000_NS6detail17trampoline_kernelINS0_14default_configENS1_27scan_by_key_config_selectorIllEEZZNS1_16scan_by_key_implILNS1_25lookback_scan_determinismE0ELb0ES3_N6thrust23THRUST_200600_302600_NS16reverse_iteratorIPKlEESD_NSA_IPlEElN6hipcub16HIPCUB_304000_NS3MaxENSH_8EqualityElEE10hipError_tPvRmT2_T3_T4_T5_mT6_T7_P12ihipStream_tbENKUlT_T0_E_clISt17integral_constantIbLb0EES10_EEDaSV_SW_EUlSV_E_NS1_11comp_targetILNS1_3genE10ELNS1_11target_archE1201ELNS1_3gpuE5ELNS1_3repE0EEENS1_30default_config_static_selectorELNS0_4arch9wavefront6targetE0EEEvT1_: ; @_ZN7rocprim17ROCPRIM_400000_NS6detail17trampoline_kernelINS0_14default_configENS1_27scan_by_key_config_selectorIllEEZZNS1_16scan_by_key_implILNS1_25lookback_scan_determinismE0ELb0ES3_N6thrust23THRUST_200600_302600_NS16reverse_iteratorIPKlEESD_NSA_IPlEElN6hipcub16HIPCUB_304000_NS3MaxENSH_8EqualityElEE10hipError_tPvRmT2_T3_T4_T5_mT6_T7_P12ihipStream_tbENKUlT_T0_E_clISt17integral_constantIbLb0EES10_EEDaSV_SW_EUlSV_E_NS1_11comp_targetILNS1_3genE10ELNS1_11target_archE1201ELNS1_3gpuE5ELNS1_3repE0EEENS1_30default_config_static_selectorELNS0_4arch9wavefront6targetE0EEEvT1_
; %bb.0:
	.section	.rodata,"a",@progbits
	.p2align	6, 0x0
	.amdhsa_kernel _ZN7rocprim17ROCPRIM_400000_NS6detail17trampoline_kernelINS0_14default_configENS1_27scan_by_key_config_selectorIllEEZZNS1_16scan_by_key_implILNS1_25lookback_scan_determinismE0ELb0ES3_N6thrust23THRUST_200600_302600_NS16reverse_iteratorIPKlEESD_NSA_IPlEElN6hipcub16HIPCUB_304000_NS3MaxENSH_8EqualityElEE10hipError_tPvRmT2_T3_T4_T5_mT6_T7_P12ihipStream_tbENKUlT_T0_E_clISt17integral_constantIbLb0EES10_EEDaSV_SW_EUlSV_E_NS1_11comp_targetILNS1_3genE10ELNS1_11target_archE1201ELNS1_3gpuE5ELNS1_3repE0EEENS1_30default_config_static_selectorELNS0_4arch9wavefront6targetE0EEEvT1_
		.amdhsa_group_segment_fixed_size 0
		.amdhsa_private_segment_fixed_size 0
		.amdhsa_kernarg_size 136
		.amdhsa_user_sgpr_count 6
		.amdhsa_user_sgpr_private_segment_buffer 1
		.amdhsa_user_sgpr_dispatch_ptr 0
		.amdhsa_user_sgpr_queue_ptr 0
		.amdhsa_user_sgpr_kernarg_segment_ptr 1
		.amdhsa_user_sgpr_dispatch_id 0
		.amdhsa_user_sgpr_flat_scratch_init 0
		.amdhsa_user_sgpr_private_segment_size 0
		.amdhsa_wavefront_size32 1
		.amdhsa_uses_dynamic_stack 0
		.amdhsa_system_sgpr_private_segment_wavefront_offset 0
		.amdhsa_system_sgpr_workgroup_id_x 1
		.amdhsa_system_sgpr_workgroup_id_y 0
		.amdhsa_system_sgpr_workgroup_id_z 0
		.amdhsa_system_sgpr_workgroup_info 0
		.amdhsa_system_vgpr_workitem_id 0
		.amdhsa_next_free_vgpr 1
		.amdhsa_next_free_sgpr 1
		.amdhsa_reserve_vcc 0
		.amdhsa_reserve_flat_scratch 0
		.amdhsa_float_round_mode_32 0
		.amdhsa_float_round_mode_16_64 0
		.amdhsa_float_denorm_mode_32 3
		.amdhsa_float_denorm_mode_16_64 3
		.amdhsa_dx10_clamp 1
		.amdhsa_ieee_mode 1
		.amdhsa_fp16_overflow 0
		.amdhsa_workgroup_processor_mode 1
		.amdhsa_memory_ordered 1
		.amdhsa_forward_progress 1
		.amdhsa_shared_vgpr_count 0
		.amdhsa_exception_fp_ieee_invalid_op 0
		.amdhsa_exception_fp_denorm_src 0
		.amdhsa_exception_fp_ieee_div_zero 0
		.amdhsa_exception_fp_ieee_overflow 0
		.amdhsa_exception_fp_ieee_underflow 0
		.amdhsa_exception_fp_ieee_inexact 0
		.amdhsa_exception_int_div_zero 0
	.end_amdhsa_kernel
	.section	.text._ZN7rocprim17ROCPRIM_400000_NS6detail17trampoline_kernelINS0_14default_configENS1_27scan_by_key_config_selectorIllEEZZNS1_16scan_by_key_implILNS1_25lookback_scan_determinismE0ELb0ES3_N6thrust23THRUST_200600_302600_NS16reverse_iteratorIPKlEESD_NSA_IPlEElN6hipcub16HIPCUB_304000_NS3MaxENSH_8EqualityElEE10hipError_tPvRmT2_T3_T4_T5_mT6_T7_P12ihipStream_tbENKUlT_T0_E_clISt17integral_constantIbLb0EES10_EEDaSV_SW_EUlSV_E_NS1_11comp_targetILNS1_3genE10ELNS1_11target_archE1201ELNS1_3gpuE5ELNS1_3repE0EEENS1_30default_config_static_selectorELNS0_4arch9wavefront6targetE0EEEvT1_,"axG",@progbits,_ZN7rocprim17ROCPRIM_400000_NS6detail17trampoline_kernelINS0_14default_configENS1_27scan_by_key_config_selectorIllEEZZNS1_16scan_by_key_implILNS1_25lookback_scan_determinismE0ELb0ES3_N6thrust23THRUST_200600_302600_NS16reverse_iteratorIPKlEESD_NSA_IPlEElN6hipcub16HIPCUB_304000_NS3MaxENSH_8EqualityElEE10hipError_tPvRmT2_T3_T4_T5_mT6_T7_P12ihipStream_tbENKUlT_T0_E_clISt17integral_constantIbLb0EES10_EEDaSV_SW_EUlSV_E_NS1_11comp_targetILNS1_3genE10ELNS1_11target_archE1201ELNS1_3gpuE5ELNS1_3repE0EEENS1_30default_config_static_selectorELNS0_4arch9wavefront6targetE0EEEvT1_,comdat
.Lfunc_end138:
	.size	_ZN7rocprim17ROCPRIM_400000_NS6detail17trampoline_kernelINS0_14default_configENS1_27scan_by_key_config_selectorIllEEZZNS1_16scan_by_key_implILNS1_25lookback_scan_determinismE0ELb0ES3_N6thrust23THRUST_200600_302600_NS16reverse_iteratorIPKlEESD_NSA_IPlEElN6hipcub16HIPCUB_304000_NS3MaxENSH_8EqualityElEE10hipError_tPvRmT2_T3_T4_T5_mT6_T7_P12ihipStream_tbENKUlT_T0_E_clISt17integral_constantIbLb0EES10_EEDaSV_SW_EUlSV_E_NS1_11comp_targetILNS1_3genE10ELNS1_11target_archE1201ELNS1_3gpuE5ELNS1_3repE0EEENS1_30default_config_static_selectorELNS0_4arch9wavefront6targetE0EEEvT1_, .Lfunc_end138-_ZN7rocprim17ROCPRIM_400000_NS6detail17trampoline_kernelINS0_14default_configENS1_27scan_by_key_config_selectorIllEEZZNS1_16scan_by_key_implILNS1_25lookback_scan_determinismE0ELb0ES3_N6thrust23THRUST_200600_302600_NS16reverse_iteratorIPKlEESD_NSA_IPlEElN6hipcub16HIPCUB_304000_NS3MaxENSH_8EqualityElEE10hipError_tPvRmT2_T3_T4_T5_mT6_T7_P12ihipStream_tbENKUlT_T0_E_clISt17integral_constantIbLb0EES10_EEDaSV_SW_EUlSV_E_NS1_11comp_targetILNS1_3genE10ELNS1_11target_archE1201ELNS1_3gpuE5ELNS1_3repE0EEENS1_30default_config_static_selectorELNS0_4arch9wavefront6targetE0EEEvT1_
                                        ; -- End function
	.set _ZN7rocprim17ROCPRIM_400000_NS6detail17trampoline_kernelINS0_14default_configENS1_27scan_by_key_config_selectorIllEEZZNS1_16scan_by_key_implILNS1_25lookback_scan_determinismE0ELb0ES3_N6thrust23THRUST_200600_302600_NS16reverse_iteratorIPKlEESD_NSA_IPlEElN6hipcub16HIPCUB_304000_NS3MaxENSH_8EqualityElEE10hipError_tPvRmT2_T3_T4_T5_mT6_T7_P12ihipStream_tbENKUlT_T0_E_clISt17integral_constantIbLb0EES10_EEDaSV_SW_EUlSV_E_NS1_11comp_targetILNS1_3genE10ELNS1_11target_archE1201ELNS1_3gpuE5ELNS1_3repE0EEENS1_30default_config_static_selectorELNS0_4arch9wavefront6targetE0EEEvT1_.num_vgpr, 0
	.set _ZN7rocprim17ROCPRIM_400000_NS6detail17trampoline_kernelINS0_14default_configENS1_27scan_by_key_config_selectorIllEEZZNS1_16scan_by_key_implILNS1_25lookback_scan_determinismE0ELb0ES3_N6thrust23THRUST_200600_302600_NS16reverse_iteratorIPKlEESD_NSA_IPlEElN6hipcub16HIPCUB_304000_NS3MaxENSH_8EqualityElEE10hipError_tPvRmT2_T3_T4_T5_mT6_T7_P12ihipStream_tbENKUlT_T0_E_clISt17integral_constantIbLb0EES10_EEDaSV_SW_EUlSV_E_NS1_11comp_targetILNS1_3genE10ELNS1_11target_archE1201ELNS1_3gpuE5ELNS1_3repE0EEENS1_30default_config_static_selectorELNS0_4arch9wavefront6targetE0EEEvT1_.num_agpr, 0
	.set _ZN7rocprim17ROCPRIM_400000_NS6detail17trampoline_kernelINS0_14default_configENS1_27scan_by_key_config_selectorIllEEZZNS1_16scan_by_key_implILNS1_25lookback_scan_determinismE0ELb0ES3_N6thrust23THRUST_200600_302600_NS16reverse_iteratorIPKlEESD_NSA_IPlEElN6hipcub16HIPCUB_304000_NS3MaxENSH_8EqualityElEE10hipError_tPvRmT2_T3_T4_T5_mT6_T7_P12ihipStream_tbENKUlT_T0_E_clISt17integral_constantIbLb0EES10_EEDaSV_SW_EUlSV_E_NS1_11comp_targetILNS1_3genE10ELNS1_11target_archE1201ELNS1_3gpuE5ELNS1_3repE0EEENS1_30default_config_static_selectorELNS0_4arch9wavefront6targetE0EEEvT1_.numbered_sgpr, 0
	.set _ZN7rocprim17ROCPRIM_400000_NS6detail17trampoline_kernelINS0_14default_configENS1_27scan_by_key_config_selectorIllEEZZNS1_16scan_by_key_implILNS1_25lookback_scan_determinismE0ELb0ES3_N6thrust23THRUST_200600_302600_NS16reverse_iteratorIPKlEESD_NSA_IPlEElN6hipcub16HIPCUB_304000_NS3MaxENSH_8EqualityElEE10hipError_tPvRmT2_T3_T4_T5_mT6_T7_P12ihipStream_tbENKUlT_T0_E_clISt17integral_constantIbLb0EES10_EEDaSV_SW_EUlSV_E_NS1_11comp_targetILNS1_3genE10ELNS1_11target_archE1201ELNS1_3gpuE5ELNS1_3repE0EEENS1_30default_config_static_selectorELNS0_4arch9wavefront6targetE0EEEvT1_.num_named_barrier, 0
	.set _ZN7rocprim17ROCPRIM_400000_NS6detail17trampoline_kernelINS0_14default_configENS1_27scan_by_key_config_selectorIllEEZZNS1_16scan_by_key_implILNS1_25lookback_scan_determinismE0ELb0ES3_N6thrust23THRUST_200600_302600_NS16reverse_iteratorIPKlEESD_NSA_IPlEElN6hipcub16HIPCUB_304000_NS3MaxENSH_8EqualityElEE10hipError_tPvRmT2_T3_T4_T5_mT6_T7_P12ihipStream_tbENKUlT_T0_E_clISt17integral_constantIbLb0EES10_EEDaSV_SW_EUlSV_E_NS1_11comp_targetILNS1_3genE10ELNS1_11target_archE1201ELNS1_3gpuE5ELNS1_3repE0EEENS1_30default_config_static_selectorELNS0_4arch9wavefront6targetE0EEEvT1_.private_seg_size, 0
	.set _ZN7rocprim17ROCPRIM_400000_NS6detail17trampoline_kernelINS0_14default_configENS1_27scan_by_key_config_selectorIllEEZZNS1_16scan_by_key_implILNS1_25lookback_scan_determinismE0ELb0ES3_N6thrust23THRUST_200600_302600_NS16reverse_iteratorIPKlEESD_NSA_IPlEElN6hipcub16HIPCUB_304000_NS3MaxENSH_8EqualityElEE10hipError_tPvRmT2_T3_T4_T5_mT6_T7_P12ihipStream_tbENKUlT_T0_E_clISt17integral_constantIbLb0EES10_EEDaSV_SW_EUlSV_E_NS1_11comp_targetILNS1_3genE10ELNS1_11target_archE1201ELNS1_3gpuE5ELNS1_3repE0EEENS1_30default_config_static_selectorELNS0_4arch9wavefront6targetE0EEEvT1_.uses_vcc, 0
	.set _ZN7rocprim17ROCPRIM_400000_NS6detail17trampoline_kernelINS0_14default_configENS1_27scan_by_key_config_selectorIllEEZZNS1_16scan_by_key_implILNS1_25lookback_scan_determinismE0ELb0ES3_N6thrust23THRUST_200600_302600_NS16reverse_iteratorIPKlEESD_NSA_IPlEElN6hipcub16HIPCUB_304000_NS3MaxENSH_8EqualityElEE10hipError_tPvRmT2_T3_T4_T5_mT6_T7_P12ihipStream_tbENKUlT_T0_E_clISt17integral_constantIbLb0EES10_EEDaSV_SW_EUlSV_E_NS1_11comp_targetILNS1_3genE10ELNS1_11target_archE1201ELNS1_3gpuE5ELNS1_3repE0EEENS1_30default_config_static_selectorELNS0_4arch9wavefront6targetE0EEEvT1_.uses_flat_scratch, 0
	.set _ZN7rocprim17ROCPRIM_400000_NS6detail17trampoline_kernelINS0_14default_configENS1_27scan_by_key_config_selectorIllEEZZNS1_16scan_by_key_implILNS1_25lookback_scan_determinismE0ELb0ES3_N6thrust23THRUST_200600_302600_NS16reverse_iteratorIPKlEESD_NSA_IPlEElN6hipcub16HIPCUB_304000_NS3MaxENSH_8EqualityElEE10hipError_tPvRmT2_T3_T4_T5_mT6_T7_P12ihipStream_tbENKUlT_T0_E_clISt17integral_constantIbLb0EES10_EEDaSV_SW_EUlSV_E_NS1_11comp_targetILNS1_3genE10ELNS1_11target_archE1201ELNS1_3gpuE5ELNS1_3repE0EEENS1_30default_config_static_selectorELNS0_4arch9wavefront6targetE0EEEvT1_.has_dyn_sized_stack, 0
	.set _ZN7rocprim17ROCPRIM_400000_NS6detail17trampoline_kernelINS0_14default_configENS1_27scan_by_key_config_selectorIllEEZZNS1_16scan_by_key_implILNS1_25lookback_scan_determinismE0ELb0ES3_N6thrust23THRUST_200600_302600_NS16reverse_iteratorIPKlEESD_NSA_IPlEElN6hipcub16HIPCUB_304000_NS3MaxENSH_8EqualityElEE10hipError_tPvRmT2_T3_T4_T5_mT6_T7_P12ihipStream_tbENKUlT_T0_E_clISt17integral_constantIbLb0EES10_EEDaSV_SW_EUlSV_E_NS1_11comp_targetILNS1_3genE10ELNS1_11target_archE1201ELNS1_3gpuE5ELNS1_3repE0EEENS1_30default_config_static_selectorELNS0_4arch9wavefront6targetE0EEEvT1_.has_recursion, 0
	.set _ZN7rocprim17ROCPRIM_400000_NS6detail17trampoline_kernelINS0_14default_configENS1_27scan_by_key_config_selectorIllEEZZNS1_16scan_by_key_implILNS1_25lookback_scan_determinismE0ELb0ES3_N6thrust23THRUST_200600_302600_NS16reverse_iteratorIPKlEESD_NSA_IPlEElN6hipcub16HIPCUB_304000_NS3MaxENSH_8EqualityElEE10hipError_tPvRmT2_T3_T4_T5_mT6_T7_P12ihipStream_tbENKUlT_T0_E_clISt17integral_constantIbLb0EES10_EEDaSV_SW_EUlSV_E_NS1_11comp_targetILNS1_3genE10ELNS1_11target_archE1201ELNS1_3gpuE5ELNS1_3repE0EEENS1_30default_config_static_selectorELNS0_4arch9wavefront6targetE0EEEvT1_.has_indirect_call, 0
	.section	.AMDGPU.csdata,"",@progbits
; Kernel info:
; codeLenInByte = 0
; TotalNumSgprs: 0
; NumVgprs: 0
; ScratchSize: 0
; MemoryBound: 0
; FloatMode: 240
; IeeeMode: 1
; LDSByteSize: 0 bytes/workgroup (compile time only)
; SGPRBlocks: 0
; VGPRBlocks: 0
; NumSGPRsForWavesPerEU: 1
; NumVGPRsForWavesPerEU: 1
; Occupancy: 16
; WaveLimiterHint : 0
; COMPUTE_PGM_RSRC2:SCRATCH_EN: 0
; COMPUTE_PGM_RSRC2:USER_SGPR: 6
; COMPUTE_PGM_RSRC2:TRAP_HANDLER: 0
; COMPUTE_PGM_RSRC2:TGID_X_EN: 1
; COMPUTE_PGM_RSRC2:TGID_Y_EN: 0
; COMPUTE_PGM_RSRC2:TGID_Z_EN: 0
; COMPUTE_PGM_RSRC2:TIDIG_COMP_CNT: 0
	.section	.text._ZN7rocprim17ROCPRIM_400000_NS6detail17trampoline_kernelINS0_14default_configENS1_27scan_by_key_config_selectorIllEEZZNS1_16scan_by_key_implILNS1_25lookback_scan_determinismE0ELb0ES3_N6thrust23THRUST_200600_302600_NS16reverse_iteratorIPKlEESD_NSA_IPlEElN6hipcub16HIPCUB_304000_NS3MaxENSH_8EqualityElEE10hipError_tPvRmT2_T3_T4_T5_mT6_T7_P12ihipStream_tbENKUlT_T0_E_clISt17integral_constantIbLb0EES10_EEDaSV_SW_EUlSV_E_NS1_11comp_targetILNS1_3genE5ELNS1_11target_archE942ELNS1_3gpuE9ELNS1_3repE0EEENS1_30default_config_static_selectorELNS0_4arch9wavefront6targetE0EEEvT1_,"axG",@progbits,_ZN7rocprim17ROCPRIM_400000_NS6detail17trampoline_kernelINS0_14default_configENS1_27scan_by_key_config_selectorIllEEZZNS1_16scan_by_key_implILNS1_25lookback_scan_determinismE0ELb0ES3_N6thrust23THRUST_200600_302600_NS16reverse_iteratorIPKlEESD_NSA_IPlEElN6hipcub16HIPCUB_304000_NS3MaxENSH_8EqualityElEE10hipError_tPvRmT2_T3_T4_T5_mT6_T7_P12ihipStream_tbENKUlT_T0_E_clISt17integral_constantIbLb0EES10_EEDaSV_SW_EUlSV_E_NS1_11comp_targetILNS1_3genE5ELNS1_11target_archE942ELNS1_3gpuE9ELNS1_3repE0EEENS1_30default_config_static_selectorELNS0_4arch9wavefront6targetE0EEEvT1_,comdat
	.protected	_ZN7rocprim17ROCPRIM_400000_NS6detail17trampoline_kernelINS0_14default_configENS1_27scan_by_key_config_selectorIllEEZZNS1_16scan_by_key_implILNS1_25lookback_scan_determinismE0ELb0ES3_N6thrust23THRUST_200600_302600_NS16reverse_iteratorIPKlEESD_NSA_IPlEElN6hipcub16HIPCUB_304000_NS3MaxENSH_8EqualityElEE10hipError_tPvRmT2_T3_T4_T5_mT6_T7_P12ihipStream_tbENKUlT_T0_E_clISt17integral_constantIbLb0EES10_EEDaSV_SW_EUlSV_E_NS1_11comp_targetILNS1_3genE5ELNS1_11target_archE942ELNS1_3gpuE9ELNS1_3repE0EEENS1_30default_config_static_selectorELNS0_4arch9wavefront6targetE0EEEvT1_ ; -- Begin function _ZN7rocprim17ROCPRIM_400000_NS6detail17trampoline_kernelINS0_14default_configENS1_27scan_by_key_config_selectorIllEEZZNS1_16scan_by_key_implILNS1_25lookback_scan_determinismE0ELb0ES3_N6thrust23THRUST_200600_302600_NS16reverse_iteratorIPKlEESD_NSA_IPlEElN6hipcub16HIPCUB_304000_NS3MaxENSH_8EqualityElEE10hipError_tPvRmT2_T3_T4_T5_mT6_T7_P12ihipStream_tbENKUlT_T0_E_clISt17integral_constantIbLb0EES10_EEDaSV_SW_EUlSV_E_NS1_11comp_targetILNS1_3genE5ELNS1_11target_archE942ELNS1_3gpuE9ELNS1_3repE0EEENS1_30default_config_static_selectorELNS0_4arch9wavefront6targetE0EEEvT1_
	.globl	_ZN7rocprim17ROCPRIM_400000_NS6detail17trampoline_kernelINS0_14default_configENS1_27scan_by_key_config_selectorIllEEZZNS1_16scan_by_key_implILNS1_25lookback_scan_determinismE0ELb0ES3_N6thrust23THRUST_200600_302600_NS16reverse_iteratorIPKlEESD_NSA_IPlEElN6hipcub16HIPCUB_304000_NS3MaxENSH_8EqualityElEE10hipError_tPvRmT2_T3_T4_T5_mT6_T7_P12ihipStream_tbENKUlT_T0_E_clISt17integral_constantIbLb0EES10_EEDaSV_SW_EUlSV_E_NS1_11comp_targetILNS1_3genE5ELNS1_11target_archE942ELNS1_3gpuE9ELNS1_3repE0EEENS1_30default_config_static_selectorELNS0_4arch9wavefront6targetE0EEEvT1_
	.p2align	8
	.type	_ZN7rocprim17ROCPRIM_400000_NS6detail17trampoline_kernelINS0_14default_configENS1_27scan_by_key_config_selectorIllEEZZNS1_16scan_by_key_implILNS1_25lookback_scan_determinismE0ELb0ES3_N6thrust23THRUST_200600_302600_NS16reverse_iteratorIPKlEESD_NSA_IPlEElN6hipcub16HIPCUB_304000_NS3MaxENSH_8EqualityElEE10hipError_tPvRmT2_T3_T4_T5_mT6_T7_P12ihipStream_tbENKUlT_T0_E_clISt17integral_constantIbLb0EES10_EEDaSV_SW_EUlSV_E_NS1_11comp_targetILNS1_3genE5ELNS1_11target_archE942ELNS1_3gpuE9ELNS1_3repE0EEENS1_30default_config_static_selectorELNS0_4arch9wavefront6targetE0EEEvT1_,@function
_ZN7rocprim17ROCPRIM_400000_NS6detail17trampoline_kernelINS0_14default_configENS1_27scan_by_key_config_selectorIllEEZZNS1_16scan_by_key_implILNS1_25lookback_scan_determinismE0ELb0ES3_N6thrust23THRUST_200600_302600_NS16reverse_iteratorIPKlEESD_NSA_IPlEElN6hipcub16HIPCUB_304000_NS3MaxENSH_8EqualityElEE10hipError_tPvRmT2_T3_T4_T5_mT6_T7_P12ihipStream_tbENKUlT_T0_E_clISt17integral_constantIbLb0EES10_EEDaSV_SW_EUlSV_E_NS1_11comp_targetILNS1_3genE5ELNS1_11target_archE942ELNS1_3gpuE9ELNS1_3repE0EEENS1_30default_config_static_selectorELNS0_4arch9wavefront6targetE0EEEvT1_: ; @_ZN7rocprim17ROCPRIM_400000_NS6detail17trampoline_kernelINS0_14default_configENS1_27scan_by_key_config_selectorIllEEZZNS1_16scan_by_key_implILNS1_25lookback_scan_determinismE0ELb0ES3_N6thrust23THRUST_200600_302600_NS16reverse_iteratorIPKlEESD_NSA_IPlEElN6hipcub16HIPCUB_304000_NS3MaxENSH_8EqualityElEE10hipError_tPvRmT2_T3_T4_T5_mT6_T7_P12ihipStream_tbENKUlT_T0_E_clISt17integral_constantIbLb0EES10_EEDaSV_SW_EUlSV_E_NS1_11comp_targetILNS1_3genE5ELNS1_11target_archE942ELNS1_3gpuE9ELNS1_3repE0EEENS1_30default_config_static_selectorELNS0_4arch9wavefront6targetE0EEEvT1_
; %bb.0:
	.section	.rodata,"a",@progbits
	.p2align	6, 0x0
	.amdhsa_kernel _ZN7rocprim17ROCPRIM_400000_NS6detail17trampoline_kernelINS0_14default_configENS1_27scan_by_key_config_selectorIllEEZZNS1_16scan_by_key_implILNS1_25lookback_scan_determinismE0ELb0ES3_N6thrust23THRUST_200600_302600_NS16reverse_iteratorIPKlEESD_NSA_IPlEElN6hipcub16HIPCUB_304000_NS3MaxENSH_8EqualityElEE10hipError_tPvRmT2_T3_T4_T5_mT6_T7_P12ihipStream_tbENKUlT_T0_E_clISt17integral_constantIbLb0EES10_EEDaSV_SW_EUlSV_E_NS1_11comp_targetILNS1_3genE5ELNS1_11target_archE942ELNS1_3gpuE9ELNS1_3repE0EEENS1_30default_config_static_selectorELNS0_4arch9wavefront6targetE0EEEvT1_
		.amdhsa_group_segment_fixed_size 0
		.amdhsa_private_segment_fixed_size 0
		.amdhsa_kernarg_size 136
		.amdhsa_user_sgpr_count 6
		.amdhsa_user_sgpr_private_segment_buffer 1
		.amdhsa_user_sgpr_dispatch_ptr 0
		.amdhsa_user_sgpr_queue_ptr 0
		.amdhsa_user_sgpr_kernarg_segment_ptr 1
		.amdhsa_user_sgpr_dispatch_id 0
		.amdhsa_user_sgpr_flat_scratch_init 0
		.amdhsa_user_sgpr_private_segment_size 0
		.amdhsa_wavefront_size32 1
		.amdhsa_uses_dynamic_stack 0
		.amdhsa_system_sgpr_private_segment_wavefront_offset 0
		.amdhsa_system_sgpr_workgroup_id_x 1
		.amdhsa_system_sgpr_workgroup_id_y 0
		.amdhsa_system_sgpr_workgroup_id_z 0
		.amdhsa_system_sgpr_workgroup_info 0
		.amdhsa_system_vgpr_workitem_id 0
		.amdhsa_next_free_vgpr 1
		.amdhsa_next_free_sgpr 1
		.amdhsa_reserve_vcc 0
		.amdhsa_reserve_flat_scratch 0
		.amdhsa_float_round_mode_32 0
		.amdhsa_float_round_mode_16_64 0
		.amdhsa_float_denorm_mode_32 3
		.amdhsa_float_denorm_mode_16_64 3
		.amdhsa_dx10_clamp 1
		.amdhsa_ieee_mode 1
		.amdhsa_fp16_overflow 0
		.amdhsa_workgroup_processor_mode 1
		.amdhsa_memory_ordered 1
		.amdhsa_forward_progress 1
		.amdhsa_shared_vgpr_count 0
		.amdhsa_exception_fp_ieee_invalid_op 0
		.amdhsa_exception_fp_denorm_src 0
		.amdhsa_exception_fp_ieee_div_zero 0
		.amdhsa_exception_fp_ieee_overflow 0
		.amdhsa_exception_fp_ieee_underflow 0
		.amdhsa_exception_fp_ieee_inexact 0
		.amdhsa_exception_int_div_zero 0
	.end_amdhsa_kernel
	.section	.text._ZN7rocprim17ROCPRIM_400000_NS6detail17trampoline_kernelINS0_14default_configENS1_27scan_by_key_config_selectorIllEEZZNS1_16scan_by_key_implILNS1_25lookback_scan_determinismE0ELb0ES3_N6thrust23THRUST_200600_302600_NS16reverse_iteratorIPKlEESD_NSA_IPlEElN6hipcub16HIPCUB_304000_NS3MaxENSH_8EqualityElEE10hipError_tPvRmT2_T3_T4_T5_mT6_T7_P12ihipStream_tbENKUlT_T0_E_clISt17integral_constantIbLb0EES10_EEDaSV_SW_EUlSV_E_NS1_11comp_targetILNS1_3genE5ELNS1_11target_archE942ELNS1_3gpuE9ELNS1_3repE0EEENS1_30default_config_static_selectorELNS0_4arch9wavefront6targetE0EEEvT1_,"axG",@progbits,_ZN7rocprim17ROCPRIM_400000_NS6detail17trampoline_kernelINS0_14default_configENS1_27scan_by_key_config_selectorIllEEZZNS1_16scan_by_key_implILNS1_25lookback_scan_determinismE0ELb0ES3_N6thrust23THRUST_200600_302600_NS16reverse_iteratorIPKlEESD_NSA_IPlEElN6hipcub16HIPCUB_304000_NS3MaxENSH_8EqualityElEE10hipError_tPvRmT2_T3_T4_T5_mT6_T7_P12ihipStream_tbENKUlT_T0_E_clISt17integral_constantIbLb0EES10_EEDaSV_SW_EUlSV_E_NS1_11comp_targetILNS1_3genE5ELNS1_11target_archE942ELNS1_3gpuE9ELNS1_3repE0EEENS1_30default_config_static_selectorELNS0_4arch9wavefront6targetE0EEEvT1_,comdat
.Lfunc_end139:
	.size	_ZN7rocprim17ROCPRIM_400000_NS6detail17trampoline_kernelINS0_14default_configENS1_27scan_by_key_config_selectorIllEEZZNS1_16scan_by_key_implILNS1_25lookback_scan_determinismE0ELb0ES3_N6thrust23THRUST_200600_302600_NS16reverse_iteratorIPKlEESD_NSA_IPlEElN6hipcub16HIPCUB_304000_NS3MaxENSH_8EqualityElEE10hipError_tPvRmT2_T3_T4_T5_mT6_T7_P12ihipStream_tbENKUlT_T0_E_clISt17integral_constantIbLb0EES10_EEDaSV_SW_EUlSV_E_NS1_11comp_targetILNS1_3genE5ELNS1_11target_archE942ELNS1_3gpuE9ELNS1_3repE0EEENS1_30default_config_static_selectorELNS0_4arch9wavefront6targetE0EEEvT1_, .Lfunc_end139-_ZN7rocprim17ROCPRIM_400000_NS6detail17trampoline_kernelINS0_14default_configENS1_27scan_by_key_config_selectorIllEEZZNS1_16scan_by_key_implILNS1_25lookback_scan_determinismE0ELb0ES3_N6thrust23THRUST_200600_302600_NS16reverse_iteratorIPKlEESD_NSA_IPlEElN6hipcub16HIPCUB_304000_NS3MaxENSH_8EqualityElEE10hipError_tPvRmT2_T3_T4_T5_mT6_T7_P12ihipStream_tbENKUlT_T0_E_clISt17integral_constantIbLb0EES10_EEDaSV_SW_EUlSV_E_NS1_11comp_targetILNS1_3genE5ELNS1_11target_archE942ELNS1_3gpuE9ELNS1_3repE0EEENS1_30default_config_static_selectorELNS0_4arch9wavefront6targetE0EEEvT1_
                                        ; -- End function
	.set _ZN7rocprim17ROCPRIM_400000_NS6detail17trampoline_kernelINS0_14default_configENS1_27scan_by_key_config_selectorIllEEZZNS1_16scan_by_key_implILNS1_25lookback_scan_determinismE0ELb0ES3_N6thrust23THRUST_200600_302600_NS16reverse_iteratorIPKlEESD_NSA_IPlEElN6hipcub16HIPCUB_304000_NS3MaxENSH_8EqualityElEE10hipError_tPvRmT2_T3_T4_T5_mT6_T7_P12ihipStream_tbENKUlT_T0_E_clISt17integral_constantIbLb0EES10_EEDaSV_SW_EUlSV_E_NS1_11comp_targetILNS1_3genE5ELNS1_11target_archE942ELNS1_3gpuE9ELNS1_3repE0EEENS1_30default_config_static_selectorELNS0_4arch9wavefront6targetE0EEEvT1_.num_vgpr, 0
	.set _ZN7rocprim17ROCPRIM_400000_NS6detail17trampoline_kernelINS0_14default_configENS1_27scan_by_key_config_selectorIllEEZZNS1_16scan_by_key_implILNS1_25lookback_scan_determinismE0ELb0ES3_N6thrust23THRUST_200600_302600_NS16reverse_iteratorIPKlEESD_NSA_IPlEElN6hipcub16HIPCUB_304000_NS3MaxENSH_8EqualityElEE10hipError_tPvRmT2_T3_T4_T5_mT6_T7_P12ihipStream_tbENKUlT_T0_E_clISt17integral_constantIbLb0EES10_EEDaSV_SW_EUlSV_E_NS1_11comp_targetILNS1_3genE5ELNS1_11target_archE942ELNS1_3gpuE9ELNS1_3repE0EEENS1_30default_config_static_selectorELNS0_4arch9wavefront6targetE0EEEvT1_.num_agpr, 0
	.set _ZN7rocprim17ROCPRIM_400000_NS6detail17trampoline_kernelINS0_14default_configENS1_27scan_by_key_config_selectorIllEEZZNS1_16scan_by_key_implILNS1_25lookback_scan_determinismE0ELb0ES3_N6thrust23THRUST_200600_302600_NS16reverse_iteratorIPKlEESD_NSA_IPlEElN6hipcub16HIPCUB_304000_NS3MaxENSH_8EqualityElEE10hipError_tPvRmT2_T3_T4_T5_mT6_T7_P12ihipStream_tbENKUlT_T0_E_clISt17integral_constantIbLb0EES10_EEDaSV_SW_EUlSV_E_NS1_11comp_targetILNS1_3genE5ELNS1_11target_archE942ELNS1_3gpuE9ELNS1_3repE0EEENS1_30default_config_static_selectorELNS0_4arch9wavefront6targetE0EEEvT1_.numbered_sgpr, 0
	.set _ZN7rocprim17ROCPRIM_400000_NS6detail17trampoline_kernelINS0_14default_configENS1_27scan_by_key_config_selectorIllEEZZNS1_16scan_by_key_implILNS1_25lookback_scan_determinismE0ELb0ES3_N6thrust23THRUST_200600_302600_NS16reverse_iteratorIPKlEESD_NSA_IPlEElN6hipcub16HIPCUB_304000_NS3MaxENSH_8EqualityElEE10hipError_tPvRmT2_T3_T4_T5_mT6_T7_P12ihipStream_tbENKUlT_T0_E_clISt17integral_constantIbLb0EES10_EEDaSV_SW_EUlSV_E_NS1_11comp_targetILNS1_3genE5ELNS1_11target_archE942ELNS1_3gpuE9ELNS1_3repE0EEENS1_30default_config_static_selectorELNS0_4arch9wavefront6targetE0EEEvT1_.num_named_barrier, 0
	.set _ZN7rocprim17ROCPRIM_400000_NS6detail17trampoline_kernelINS0_14default_configENS1_27scan_by_key_config_selectorIllEEZZNS1_16scan_by_key_implILNS1_25lookback_scan_determinismE0ELb0ES3_N6thrust23THRUST_200600_302600_NS16reverse_iteratorIPKlEESD_NSA_IPlEElN6hipcub16HIPCUB_304000_NS3MaxENSH_8EqualityElEE10hipError_tPvRmT2_T3_T4_T5_mT6_T7_P12ihipStream_tbENKUlT_T0_E_clISt17integral_constantIbLb0EES10_EEDaSV_SW_EUlSV_E_NS1_11comp_targetILNS1_3genE5ELNS1_11target_archE942ELNS1_3gpuE9ELNS1_3repE0EEENS1_30default_config_static_selectorELNS0_4arch9wavefront6targetE0EEEvT1_.private_seg_size, 0
	.set _ZN7rocprim17ROCPRIM_400000_NS6detail17trampoline_kernelINS0_14default_configENS1_27scan_by_key_config_selectorIllEEZZNS1_16scan_by_key_implILNS1_25lookback_scan_determinismE0ELb0ES3_N6thrust23THRUST_200600_302600_NS16reverse_iteratorIPKlEESD_NSA_IPlEElN6hipcub16HIPCUB_304000_NS3MaxENSH_8EqualityElEE10hipError_tPvRmT2_T3_T4_T5_mT6_T7_P12ihipStream_tbENKUlT_T0_E_clISt17integral_constantIbLb0EES10_EEDaSV_SW_EUlSV_E_NS1_11comp_targetILNS1_3genE5ELNS1_11target_archE942ELNS1_3gpuE9ELNS1_3repE0EEENS1_30default_config_static_selectorELNS0_4arch9wavefront6targetE0EEEvT1_.uses_vcc, 0
	.set _ZN7rocprim17ROCPRIM_400000_NS6detail17trampoline_kernelINS0_14default_configENS1_27scan_by_key_config_selectorIllEEZZNS1_16scan_by_key_implILNS1_25lookback_scan_determinismE0ELb0ES3_N6thrust23THRUST_200600_302600_NS16reverse_iteratorIPKlEESD_NSA_IPlEElN6hipcub16HIPCUB_304000_NS3MaxENSH_8EqualityElEE10hipError_tPvRmT2_T3_T4_T5_mT6_T7_P12ihipStream_tbENKUlT_T0_E_clISt17integral_constantIbLb0EES10_EEDaSV_SW_EUlSV_E_NS1_11comp_targetILNS1_3genE5ELNS1_11target_archE942ELNS1_3gpuE9ELNS1_3repE0EEENS1_30default_config_static_selectorELNS0_4arch9wavefront6targetE0EEEvT1_.uses_flat_scratch, 0
	.set _ZN7rocprim17ROCPRIM_400000_NS6detail17trampoline_kernelINS0_14default_configENS1_27scan_by_key_config_selectorIllEEZZNS1_16scan_by_key_implILNS1_25lookback_scan_determinismE0ELb0ES3_N6thrust23THRUST_200600_302600_NS16reverse_iteratorIPKlEESD_NSA_IPlEElN6hipcub16HIPCUB_304000_NS3MaxENSH_8EqualityElEE10hipError_tPvRmT2_T3_T4_T5_mT6_T7_P12ihipStream_tbENKUlT_T0_E_clISt17integral_constantIbLb0EES10_EEDaSV_SW_EUlSV_E_NS1_11comp_targetILNS1_3genE5ELNS1_11target_archE942ELNS1_3gpuE9ELNS1_3repE0EEENS1_30default_config_static_selectorELNS0_4arch9wavefront6targetE0EEEvT1_.has_dyn_sized_stack, 0
	.set _ZN7rocprim17ROCPRIM_400000_NS6detail17trampoline_kernelINS0_14default_configENS1_27scan_by_key_config_selectorIllEEZZNS1_16scan_by_key_implILNS1_25lookback_scan_determinismE0ELb0ES3_N6thrust23THRUST_200600_302600_NS16reverse_iteratorIPKlEESD_NSA_IPlEElN6hipcub16HIPCUB_304000_NS3MaxENSH_8EqualityElEE10hipError_tPvRmT2_T3_T4_T5_mT6_T7_P12ihipStream_tbENKUlT_T0_E_clISt17integral_constantIbLb0EES10_EEDaSV_SW_EUlSV_E_NS1_11comp_targetILNS1_3genE5ELNS1_11target_archE942ELNS1_3gpuE9ELNS1_3repE0EEENS1_30default_config_static_selectorELNS0_4arch9wavefront6targetE0EEEvT1_.has_recursion, 0
	.set _ZN7rocprim17ROCPRIM_400000_NS6detail17trampoline_kernelINS0_14default_configENS1_27scan_by_key_config_selectorIllEEZZNS1_16scan_by_key_implILNS1_25lookback_scan_determinismE0ELb0ES3_N6thrust23THRUST_200600_302600_NS16reverse_iteratorIPKlEESD_NSA_IPlEElN6hipcub16HIPCUB_304000_NS3MaxENSH_8EqualityElEE10hipError_tPvRmT2_T3_T4_T5_mT6_T7_P12ihipStream_tbENKUlT_T0_E_clISt17integral_constantIbLb0EES10_EEDaSV_SW_EUlSV_E_NS1_11comp_targetILNS1_3genE5ELNS1_11target_archE942ELNS1_3gpuE9ELNS1_3repE0EEENS1_30default_config_static_selectorELNS0_4arch9wavefront6targetE0EEEvT1_.has_indirect_call, 0
	.section	.AMDGPU.csdata,"",@progbits
; Kernel info:
; codeLenInByte = 0
; TotalNumSgprs: 0
; NumVgprs: 0
; ScratchSize: 0
; MemoryBound: 0
; FloatMode: 240
; IeeeMode: 1
; LDSByteSize: 0 bytes/workgroup (compile time only)
; SGPRBlocks: 0
; VGPRBlocks: 0
; NumSGPRsForWavesPerEU: 1
; NumVGPRsForWavesPerEU: 1
; Occupancy: 16
; WaveLimiterHint : 0
; COMPUTE_PGM_RSRC2:SCRATCH_EN: 0
; COMPUTE_PGM_RSRC2:USER_SGPR: 6
; COMPUTE_PGM_RSRC2:TRAP_HANDLER: 0
; COMPUTE_PGM_RSRC2:TGID_X_EN: 1
; COMPUTE_PGM_RSRC2:TGID_Y_EN: 0
; COMPUTE_PGM_RSRC2:TGID_Z_EN: 0
; COMPUTE_PGM_RSRC2:TIDIG_COMP_CNT: 0
	.section	.text._ZN7rocprim17ROCPRIM_400000_NS6detail17trampoline_kernelINS0_14default_configENS1_27scan_by_key_config_selectorIllEEZZNS1_16scan_by_key_implILNS1_25lookback_scan_determinismE0ELb0ES3_N6thrust23THRUST_200600_302600_NS16reverse_iteratorIPKlEESD_NSA_IPlEElN6hipcub16HIPCUB_304000_NS3MaxENSH_8EqualityElEE10hipError_tPvRmT2_T3_T4_T5_mT6_T7_P12ihipStream_tbENKUlT_T0_E_clISt17integral_constantIbLb0EES10_EEDaSV_SW_EUlSV_E_NS1_11comp_targetILNS1_3genE4ELNS1_11target_archE910ELNS1_3gpuE8ELNS1_3repE0EEENS1_30default_config_static_selectorELNS0_4arch9wavefront6targetE0EEEvT1_,"axG",@progbits,_ZN7rocprim17ROCPRIM_400000_NS6detail17trampoline_kernelINS0_14default_configENS1_27scan_by_key_config_selectorIllEEZZNS1_16scan_by_key_implILNS1_25lookback_scan_determinismE0ELb0ES3_N6thrust23THRUST_200600_302600_NS16reverse_iteratorIPKlEESD_NSA_IPlEElN6hipcub16HIPCUB_304000_NS3MaxENSH_8EqualityElEE10hipError_tPvRmT2_T3_T4_T5_mT6_T7_P12ihipStream_tbENKUlT_T0_E_clISt17integral_constantIbLb0EES10_EEDaSV_SW_EUlSV_E_NS1_11comp_targetILNS1_3genE4ELNS1_11target_archE910ELNS1_3gpuE8ELNS1_3repE0EEENS1_30default_config_static_selectorELNS0_4arch9wavefront6targetE0EEEvT1_,comdat
	.protected	_ZN7rocprim17ROCPRIM_400000_NS6detail17trampoline_kernelINS0_14default_configENS1_27scan_by_key_config_selectorIllEEZZNS1_16scan_by_key_implILNS1_25lookback_scan_determinismE0ELb0ES3_N6thrust23THRUST_200600_302600_NS16reverse_iteratorIPKlEESD_NSA_IPlEElN6hipcub16HIPCUB_304000_NS3MaxENSH_8EqualityElEE10hipError_tPvRmT2_T3_T4_T5_mT6_T7_P12ihipStream_tbENKUlT_T0_E_clISt17integral_constantIbLb0EES10_EEDaSV_SW_EUlSV_E_NS1_11comp_targetILNS1_3genE4ELNS1_11target_archE910ELNS1_3gpuE8ELNS1_3repE0EEENS1_30default_config_static_selectorELNS0_4arch9wavefront6targetE0EEEvT1_ ; -- Begin function _ZN7rocprim17ROCPRIM_400000_NS6detail17trampoline_kernelINS0_14default_configENS1_27scan_by_key_config_selectorIllEEZZNS1_16scan_by_key_implILNS1_25lookback_scan_determinismE0ELb0ES3_N6thrust23THRUST_200600_302600_NS16reverse_iteratorIPKlEESD_NSA_IPlEElN6hipcub16HIPCUB_304000_NS3MaxENSH_8EqualityElEE10hipError_tPvRmT2_T3_T4_T5_mT6_T7_P12ihipStream_tbENKUlT_T0_E_clISt17integral_constantIbLb0EES10_EEDaSV_SW_EUlSV_E_NS1_11comp_targetILNS1_3genE4ELNS1_11target_archE910ELNS1_3gpuE8ELNS1_3repE0EEENS1_30default_config_static_selectorELNS0_4arch9wavefront6targetE0EEEvT1_
	.globl	_ZN7rocprim17ROCPRIM_400000_NS6detail17trampoline_kernelINS0_14default_configENS1_27scan_by_key_config_selectorIllEEZZNS1_16scan_by_key_implILNS1_25lookback_scan_determinismE0ELb0ES3_N6thrust23THRUST_200600_302600_NS16reverse_iteratorIPKlEESD_NSA_IPlEElN6hipcub16HIPCUB_304000_NS3MaxENSH_8EqualityElEE10hipError_tPvRmT2_T3_T4_T5_mT6_T7_P12ihipStream_tbENKUlT_T0_E_clISt17integral_constantIbLb0EES10_EEDaSV_SW_EUlSV_E_NS1_11comp_targetILNS1_3genE4ELNS1_11target_archE910ELNS1_3gpuE8ELNS1_3repE0EEENS1_30default_config_static_selectorELNS0_4arch9wavefront6targetE0EEEvT1_
	.p2align	8
	.type	_ZN7rocprim17ROCPRIM_400000_NS6detail17trampoline_kernelINS0_14default_configENS1_27scan_by_key_config_selectorIllEEZZNS1_16scan_by_key_implILNS1_25lookback_scan_determinismE0ELb0ES3_N6thrust23THRUST_200600_302600_NS16reverse_iteratorIPKlEESD_NSA_IPlEElN6hipcub16HIPCUB_304000_NS3MaxENSH_8EqualityElEE10hipError_tPvRmT2_T3_T4_T5_mT6_T7_P12ihipStream_tbENKUlT_T0_E_clISt17integral_constantIbLb0EES10_EEDaSV_SW_EUlSV_E_NS1_11comp_targetILNS1_3genE4ELNS1_11target_archE910ELNS1_3gpuE8ELNS1_3repE0EEENS1_30default_config_static_selectorELNS0_4arch9wavefront6targetE0EEEvT1_,@function
_ZN7rocprim17ROCPRIM_400000_NS6detail17trampoline_kernelINS0_14default_configENS1_27scan_by_key_config_selectorIllEEZZNS1_16scan_by_key_implILNS1_25lookback_scan_determinismE0ELb0ES3_N6thrust23THRUST_200600_302600_NS16reverse_iteratorIPKlEESD_NSA_IPlEElN6hipcub16HIPCUB_304000_NS3MaxENSH_8EqualityElEE10hipError_tPvRmT2_T3_T4_T5_mT6_T7_P12ihipStream_tbENKUlT_T0_E_clISt17integral_constantIbLb0EES10_EEDaSV_SW_EUlSV_E_NS1_11comp_targetILNS1_3genE4ELNS1_11target_archE910ELNS1_3gpuE8ELNS1_3repE0EEENS1_30default_config_static_selectorELNS0_4arch9wavefront6targetE0EEEvT1_: ; @_ZN7rocprim17ROCPRIM_400000_NS6detail17trampoline_kernelINS0_14default_configENS1_27scan_by_key_config_selectorIllEEZZNS1_16scan_by_key_implILNS1_25lookback_scan_determinismE0ELb0ES3_N6thrust23THRUST_200600_302600_NS16reverse_iteratorIPKlEESD_NSA_IPlEElN6hipcub16HIPCUB_304000_NS3MaxENSH_8EqualityElEE10hipError_tPvRmT2_T3_T4_T5_mT6_T7_P12ihipStream_tbENKUlT_T0_E_clISt17integral_constantIbLb0EES10_EEDaSV_SW_EUlSV_E_NS1_11comp_targetILNS1_3genE4ELNS1_11target_archE910ELNS1_3gpuE8ELNS1_3repE0EEENS1_30default_config_static_selectorELNS0_4arch9wavefront6targetE0EEEvT1_
; %bb.0:
	.section	.rodata,"a",@progbits
	.p2align	6, 0x0
	.amdhsa_kernel _ZN7rocprim17ROCPRIM_400000_NS6detail17trampoline_kernelINS0_14default_configENS1_27scan_by_key_config_selectorIllEEZZNS1_16scan_by_key_implILNS1_25lookback_scan_determinismE0ELb0ES3_N6thrust23THRUST_200600_302600_NS16reverse_iteratorIPKlEESD_NSA_IPlEElN6hipcub16HIPCUB_304000_NS3MaxENSH_8EqualityElEE10hipError_tPvRmT2_T3_T4_T5_mT6_T7_P12ihipStream_tbENKUlT_T0_E_clISt17integral_constantIbLb0EES10_EEDaSV_SW_EUlSV_E_NS1_11comp_targetILNS1_3genE4ELNS1_11target_archE910ELNS1_3gpuE8ELNS1_3repE0EEENS1_30default_config_static_selectorELNS0_4arch9wavefront6targetE0EEEvT1_
		.amdhsa_group_segment_fixed_size 0
		.amdhsa_private_segment_fixed_size 0
		.amdhsa_kernarg_size 136
		.amdhsa_user_sgpr_count 6
		.amdhsa_user_sgpr_private_segment_buffer 1
		.amdhsa_user_sgpr_dispatch_ptr 0
		.amdhsa_user_sgpr_queue_ptr 0
		.amdhsa_user_sgpr_kernarg_segment_ptr 1
		.amdhsa_user_sgpr_dispatch_id 0
		.amdhsa_user_sgpr_flat_scratch_init 0
		.amdhsa_user_sgpr_private_segment_size 0
		.amdhsa_wavefront_size32 1
		.amdhsa_uses_dynamic_stack 0
		.amdhsa_system_sgpr_private_segment_wavefront_offset 0
		.amdhsa_system_sgpr_workgroup_id_x 1
		.amdhsa_system_sgpr_workgroup_id_y 0
		.amdhsa_system_sgpr_workgroup_id_z 0
		.amdhsa_system_sgpr_workgroup_info 0
		.amdhsa_system_vgpr_workitem_id 0
		.amdhsa_next_free_vgpr 1
		.amdhsa_next_free_sgpr 1
		.amdhsa_reserve_vcc 0
		.amdhsa_reserve_flat_scratch 0
		.amdhsa_float_round_mode_32 0
		.amdhsa_float_round_mode_16_64 0
		.amdhsa_float_denorm_mode_32 3
		.amdhsa_float_denorm_mode_16_64 3
		.amdhsa_dx10_clamp 1
		.amdhsa_ieee_mode 1
		.amdhsa_fp16_overflow 0
		.amdhsa_workgroup_processor_mode 1
		.amdhsa_memory_ordered 1
		.amdhsa_forward_progress 1
		.amdhsa_shared_vgpr_count 0
		.amdhsa_exception_fp_ieee_invalid_op 0
		.amdhsa_exception_fp_denorm_src 0
		.amdhsa_exception_fp_ieee_div_zero 0
		.amdhsa_exception_fp_ieee_overflow 0
		.amdhsa_exception_fp_ieee_underflow 0
		.amdhsa_exception_fp_ieee_inexact 0
		.amdhsa_exception_int_div_zero 0
	.end_amdhsa_kernel
	.section	.text._ZN7rocprim17ROCPRIM_400000_NS6detail17trampoline_kernelINS0_14default_configENS1_27scan_by_key_config_selectorIllEEZZNS1_16scan_by_key_implILNS1_25lookback_scan_determinismE0ELb0ES3_N6thrust23THRUST_200600_302600_NS16reverse_iteratorIPKlEESD_NSA_IPlEElN6hipcub16HIPCUB_304000_NS3MaxENSH_8EqualityElEE10hipError_tPvRmT2_T3_T4_T5_mT6_T7_P12ihipStream_tbENKUlT_T0_E_clISt17integral_constantIbLb0EES10_EEDaSV_SW_EUlSV_E_NS1_11comp_targetILNS1_3genE4ELNS1_11target_archE910ELNS1_3gpuE8ELNS1_3repE0EEENS1_30default_config_static_selectorELNS0_4arch9wavefront6targetE0EEEvT1_,"axG",@progbits,_ZN7rocprim17ROCPRIM_400000_NS6detail17trampoline_kernelINS0_14default_configENS1_27scan_by_key_config_selectorIllEEZZNS1_16scan_by_key_implILNS1_25lookback_scan_determinismE0ELb0ES3_N6thrust23THRUST_200600_302600_NS16reverse_iteratorIPKlEESD_NSA_IPlEElN6hipcub16HIPCUB_304000_NS3MaxENSH_8EqualityElEE10hipError_tPvRmT2_T3_T4_T5_mT6_T7_P12ihipStream_tbENKUlT_T0_E_clISt17integral_constantIbLb0EES10_EEDaSV_SW_EUlSV_E_NS1_11comp_targetILNS1_3genE4ELNS1_11target_archE910ELNS1_3gpuE8ELNS1_3repE0EEENS1_30default_config_static_selectorELNS0_4arch9wavefront6targetE0EEEvT1_,comdat
.Lfunc_end140:
	.size	_ZN7rocprim17ROCPRIM_400000_NS6detail17trampoline_kernelINS0_14default_configENS1_27scan_by_key_config_selectorIllEEZZNS1_16scan_by_key_implILNS1_25lookback_scan_determinismE0ELb0ES3_N6thrust23THRUST_200600_302600_NS16reverse_iteratorIPKlEESD_NSA_IPlEElN6hipcub16HIPCUB_304000_NS3MaxENSH_8EqualityElEE10hipError_tPvRmT2_T3_T4_T5_mT6_T7_P12ihipStream_tbENKUlT_T0_E_clISt17integral_constantIbLb0EES10_EEDaSV_SW_EUlSV_E_NS1_11comp_targetILNS1_3genE4ELNS1_11target_archE910ELNS1_3gpuE8ELNS1_3repE0EEENS1_30default_config_static_selectorELNS0_4arch9wavefront6targetE0EEEvT1_, .Lfunc_end140-_ZN7rocprim17ROCPRIM_400000_NS6detail17trampoline_kernelINS0_14default_configENS1_27scan_by_key_config_selectorIllEEZZNS1_16scan_by_key_implILNS1_25lookback_scan_determinismE0ELb0ES3_N6thrust23THRUST_200600_302600_NS16reverse_iteratorIPKlEESD_NSA_IPlEElN6hipcub16HIPCUB_304000_NS3MaxENSH_8EqualityElEE10hipError_tPvRmT2_T3_T4_T5_mT6_T7_P12ihipStream_tbENKUlT_T0_E_clISt17integral_constantIbLb0EES10_EEDaSV_SW_EUlSV_E_NS1_11comp_targetILNS1_3genE4ELNS1_11target_archE910ELNS1_3gpuE8ELNS1_3repE0EEENS1_30default_config_static_selectorELNS0_4arch9wavefront6targetE0EEEvT1_
                                        ; -- End function
	.set _ZN7rocprim17ROCPRIM_400000_NS6detail17trampoline_kernelINS0_14default_configENS1_27scan_by_key_config_selectorIllEEZZNS1_16scan_by_key_implILNS1_25lookback_scan_determinismE0ELb0ES3_N6thrust23THRUST_200600_302600_NS16reverse_iteratorIPKlEESD_NSA_IPlEElN6hipcub16HIPCUB_304000_NS3MaxENSH_8EqualityElEE10hipError_tPvRmT2_T3_T4_T5_mT6_T7_P12ihipStream_tbENKUlT_T0_E_clISt17integral_constantIbLb0EES10_EEDaSV_SW_EUlSV_E_NS1_11comp_targetILNS1_3genE4ELNS1_11target_archE910ELNS1_3gpuE8ELNS1_3repE0EEENS1_30default_config_static_selectorELNS0_4arch9wavefront6targetE0EEEvT1_.num_vgpr, 0
	.set _ZN7rocprim17ROCPRIM_400000_NS6detail17trampoline_kernelINS0_14default_configENS1_27scan_by_key_config_selectorIllEEZZNS1_16scan_by_key_implILNS1_25lookback_scan_determinismE0ELb0ES3_N6thrust23THRUST_200600_302600_NS16reverse_iteratorIPKlEESD_NSA_IPlEElN6hipcub16HIPCUB_304000_NS3MaxENSH_8EqualityElEE10hipError_tPvRmT2_T3_T4_T5_mT6_T7_P12ihipStream_tbENKUlT_T0_E_clISt17integral_constantIbLb0EES10_EEDaSV_SW_EUlSV_E_NS1_11comp_targetILNS1_3genE4ELNS1_11target_archE910ELNS1_3gpuE8ELNS1_3repE0EEENS1_30default_config_static_selectorELNS0_4arch9wavefront6targetE0EEEvT1_.num_agpr, 0
	.set _ZN7rocprim17ROCPRIM_400000_NS6detail17trampoline_kernelINS0_14default_configENS1_27scan_by_key_config_selectorIllEEZZNS1_16scan_by_key_implILNS1_25lookback_scan_determinismE0ELb0ES3_N6thrust23THRUST_200600_302600_NS16reverse_iteratorIPKlEESD_NSA_IPlEElN6hipcub16HIPCUB_304000_NS3MaxENSH_8EqualityElEE10hipError_tPvRmT2_T3_T4_T5_mT6_T7_P12ihipStream_tbENKUlT_T0_E_clISt17integral_constantIbLb0EES10_EEDaSV_SW_EUlSV_E_NS1_11comp_targetILNS1_3genE4ELNS1_11target_archE910ELNS1_3gpuE8ELNS1_3repE0EEENS1_30default_config_static_selectorELNS0_4arch9wavefront6targetE0EEEvT1_.numbered_sgpr, 0
	.set _ZN7rocprim17ROCPRIM_400000_NS6detail17trampoline_kernelINS0_14default_configENS1_27scan_by_key_config_selectorIllEEZZNS1_16scan_by_key_implILNS1_25lookback_scan_determinismE0ELb0ES3_N6thrust23THRUST_200600_302600_NS16reverse_iteratorIPKlEESD_NSA_IPlEElN6hipcub16HIPCUB_304000_NS3MaxENSH_8EqualityElEE10hipError_tPvRmT2_T3_T4_T5_mT6_T7_P12ihipStream_tbENKUlT_T0_E_clISt17integral_constantIbLb0EES10_EEDaSV_SW_EUlSV_E_NS1_11comp_targetILNS1_3genE4ELNS1_11target_archE910ELNS1_3gpuE8ELNS1_3repE0EEENS1_30default_config_static_selectorELNS0_4arch9wavefront6targetE0EEEvT1_.num_named_barrier, 0
	.set _ZN7rocprim17ROCPRIM_400000_NS6detail17trampoline_kernelINS0_14default_configENS1_27scan_by_key_config_selectorIllEEZZNS1_16scan_by_key_implILNS1_25lookback_scan_determinismE0ELb0ES3_N6thrust23THRUST_200600_302600_NS16reverse_iteratorIPKlEESD_NSA_IPlEElN6hipcub16HIPCUB_304000_NS3MaxENSH_8EqualityElEE10hipError_tPvRmT2_T3_T4_T5_mT6_T7_P12ihipStream_tbENKUlT_T0_E_clISt17integral_constantIbLb0EES10_EEDaSV_SW_EUlSV_E_NS1_11comp_targetILNS1_3genE4ELNS1_11target_archE910ELNS1_3gpuE8ELNS1_3repE0EEENS1_30default_config_static_selectorELNS0_4arch9wavefront6targetE0EEEvT1_.private_seg_size, 0
	.set _ZN7rocprim17ROCPRIM_400000_NS6detail17trampoline_kernelINS0_14default_configENS1_27scan_by_key_config_selectorIllEEZZNS1_16scan_by_key_implILNS1_25lookback_scan_determinismE0ELb0ES3_N6thrust23THRUST_200600_302600_NS16reverse_iteratorIPKlEESD_NSA_IPlEElN6hipcub16HIPCUB_304000_NS3MaxENSH_8EqualityElEE10hipError_tPvRmT2_T3_T4_T5_mT6_T7_P12ihipStream_tbENKUlT_T0_E_clISt17integral_constantIbLb0EES10_EEDaSV_SW_EUlSV_E_NS1_11comp_targetILNS1_3genE4ELNS1_11target_archE910ELNS1_3gpuE8ELNS1_3repE0EEENS1_30default_config_static_selectorELNS0_4arch9wavefront6targetE0EEEvT1_.uses_vcc, 0
	.set _ZN7rocprim17ROCPRIM_400000_NS6detail17trampoline_kernelINS0_14default_configENS1_27scan_by_key_config_selectorIllEEZZNS1_16scan_by_key_implILNS1_25lookback_scan_determinismE0ELb0ES3_N6thrust23THRUST_200600_302600_NS16reverse_iteratorIPKlEESD_NSA_IPlEElN6hipcub16HIPCUB_304000_NS3MaxENSH_8EqualityElEE10hipError_tPvRmT2_T3_T4_T5_mT6_T7_P12ihipStream_tbENKUlT_T0_E_clISt17integral_constantIbLb0EES10_EEDaSV_SW_EUlSV_E_NS1_11comp_targetILNS1_3genE4ELNS1_11target_archE910ELNS1_3gpuE8ELNS1_3repE0EEENS1_30default_config_static_selectorELNS0_4arch9wavefront6targetE0EEEvT1_.uses_flat_scratch, 0
	.set _ZN7rocprim17ROCPRIM_400000_NS6detail17trampoline_kernelINS0_14default_configENS1_27scan_by_key_config_selectorIllEEZZNS1_16scan_by_key_implILNS1_25lookback_scan_determinismE0ELb0ES3_N6thrust23THRUST_200600_302600_NS16reverse_iteratorIPKlEESD_NSA_IPlEElN6hipcub16HIPCUB_304000_NS3MaxENSH_8EqualityElEE10hipError_tPvRmT2_T3_T4_T5_mT6_T7_P12ihipStream_tbENKUlT_T0_E_clISt17integral_constantIbLb0EES10_EEDaSV_SW_EUlSV_E_NS1_11comp_targetILNS1_3genE4ELNS1_11target_archE910ELNS1_3gpuE8ELNS1_3repE0EEENS1_30default_config_static_selectorELNS0_4arch9wavefront6targetE0EEEvT1_.has_dyn_sized_stack, 0
	.set _ZN7rocprim17ROCPRIM_400000_NS6detail17trampoline_kernelINS0_14default_configENS1_27scan_by_key_config_selectorIllEEZZNS1_16scan_by_key_implILNS1_25lookback_scan_determinismE0ELb0ES3_N6thrust23THRUST_200600_302600_NS16reverse_iteratorIPKlEESD_NSA_IPlEElN6hipcub16HIPCUB_304000_NS3MaxENSH_8EqualityElEE10hipError_tPvRmT2_T3_T4_T5_mT6_T7_P12ihipStream_tbENKUlT_T0_E_clISt17integral_constantIbLb0EES10_EEDaSV_SW_EUlSV_E_NS1_11comp_targetILNS1_3genE4ELNS1_11target_archE910ELNS1_3gpuE8ELNS1_3repE0EEENS1_30default_config_static_selectorELNS0_4arch9wavefront6targetE0EEEvT1_.has_recursion, 0
	.set _ZN7rocprim17ROCPRIM_400000_NS6detail17trampoline_kernelINS0_14default_configENS1_27scan_by_key_config_selectorIllEEZZNS1_16scan_by_key_implILNS1_25lookback_scan_determinismE0ELb0ES3_N6thrust23THRUST_200600_302600_NS16reverse_iteratorIPKlEESD_NSA_IPlEElN6hipcub16HIPCUB_304000_NS3MaxENSH_8EqualityElEE10hipError_tPvRmT2_T3_T4_T5_mT6_T7_P12ihipStream_tbENKUlT_T0_E_clISt17integral_constantIbLb0EES10_EEDaSV_SW_EUlSV_E_NS1_11comp_targetILNS1_3genE4ELNS1_11target_archE910ELNS1_3gpuE8ELNS1_3repE0EEENS1_30default_config_static_selectorELNS0_4arch9wavefront6targetE0EEEvT1_.has_indirect_call, 0
	.section	.AMDGPU.csdata,"",@progbits
; Kernel info:
; codeLenInByte = 0
; TotalNumSgprs: 0
; NumVgprs: 0
; ScratchSize: 0
; MemoryBound: 0
; FloatMode: 240
; IeeeMode: 1
; LDSByteSize: 0 bytes/workgroup (compile time only)
; SGPRBlocks: 0
; VGPRBlocks: 0
; NumSGPRsForWavesPerEU: 1
; NumVGPRsForWavesPerEU: 1
; Occupancy: 16
; WaveLimiterHint : 0
; COMPUTE_PGM_RSRC2:SCRATCH_EN: 0
; COMPUTE_PGM_RSRC2:USER_SGPR: 6
; COMPUTE_PGM_RSRC2:TRAP_HANDLER: 0
; COMPUTE_PGM_RSRC2:TGID_X_EN: 1
; COMPUTE_PGM_RSRC2:TGID_Y_EN: 0
; COMPUTE_PGM_RSRC2:TGID_Z_EN: 0
; COMPUTE_PGM_RSRC2:TIDIG_COMP_CNT: 0
	.section	.text._ZN7rocprim17ROCPRIM_400000_NS6detail17trampoline_kernelINS0_14default_configENS1_27scan_by_key_config_selectorIllEEZZNS1_16scan_by_key_implILNS1_25lookback_scan_determinismE0ELb0ES3_N6thrust23THRUST_200600_302600_NS16reverse_iteratorIPKlEESD_NSA_IPlEElN6hipcub16HIPCUB_304000_NS3MaxENSH_8EqualityElEE10hipError_tPvRmT2_T3_T4_T5_mT6_T7_P12ihipStream_tbENKUlT_T0_E_clISt17integral_constantIbLb0EES10_EEDaSV_SW_EUlSV_E_NS1_11comp_targetILNS1_3genE3ELNS1_11target_archE908ELNS1_3gpuE7ELNS1_3repE0EEENS1_30default_config_static_selectorELNS0_4arch9wavefront6targetE0EEEvT1_,"axG",@progbits,_ZN7rocprim17ROCPRIM_400000_NS6detail17trampoline_kernelINS0_14default_configENS1_27scan_by_key_config_selectorIllEEZZNS1_16scan_by_key_implILNS1_25lookback_scan_determinismE0ELb0ES3_N6thrust23THRUST_200600_302600_NS16reverse_iteratorIPKlEESD_NSA_IPlEElN6hipcub16HIPCUB_304000_NS3MaxENSH_8EqualityElEE10hipError_tPvRmT2_T3_T4_T5_mT6_T7_P12ihipStream_tbENKUlT_T0_E_clISt17integral_constantIbLb0EES10_EEDaSV_SW_EUlSV_E_NS1_11comp_targetILNS1_3genE3ELNS1_11target_archE908ELNS1_3gpuE7ELNS1_3repE0EEENS1_30default_config_static_selectorELNS0_4arch9wavefront6targetE0EEEvT1_,comdat
	.protected	_ZN7rocprim17ROCPRIM_400000_NS6detail17trampoline_kernelINS0_14default_configENS1_27scan_by_key_config_selectorIllEEZZNS1_16scan_by_key_implILNS1_25lookback_scan_determinismE0ELb0ES3_N6thrust23THRUST_200600_302600_NS16reverse_iteratorIPKlEESD_NSA_IPlEElN6hipcub16HIPCUB_304000_NS3MaxENSH_8EqualityElEE10hipError_tPvRmT2_T3_T4_T5_mT6_T7_P12ihipStream_tbENKUlT_T0_E_clISt17integral_constantIbLb0EES10_EEDaSV_SW_EUlSV_E_NS1_11comp_targetILNS1_3genE3ELNS1_11target_archE908ELNS1_3gpuE7ELNS1_3repE0EEENS1_30default_config_static_selectorELNS0_4arch9wavefront6targetE0EEEvT1_ ; -- Begin function _ZN7rocprim17ROCPRIM_400000_NS6detail17trampoline_kernelINS0_14default_configENS1_27scan_by_key_config_selectorIllEEZZNS1_16scan_by_key_implILNS1_25lookback_scan_determinismE0ELb0ES3_N6thrust23THRUST_200600_302600_NS16reverse_iteratorIPKlEESD_NSA_IPlEElN6hipcub16HIPCUB_304000_NS3MaxENSH_8EqualityElEE10hipError_tPvRmT2_T3_T4_T5_mT6_T7_P12ihipStream_tbENKUlT_T0_E_clISt17integral_constantIbLb0EES10_EEDaSV_SW_EUlSV_E_NS1_11comp_targetILNS1_3genE3ELNS1_11target_archE908ELNS1_3gpuE7ELNS1_3repE0EEENS1_30default_config_static_selectorELNS0_4arch9wavefront6targetE0EEEvT1_
	.globl	_ZN7rocprim17ROCPRIM_400000_NS6detail17trampoline_kernelINS0_14default_configENS1_27scan_by_key_config_selectorIllEEZZNS1_16scan_by_key_implILNS1_25lookback_scan_determinismE0ELb0ES3_N6thrust23THRUST_200600_302600_NS16reverse_iteratorIPKlEESD_NSA_IPlEElN6hipcub16HIPCUB_304000_NS3MaxENSH_8EqualityElEE10hipError_tPvRmT2_T3_T4_T5_mT6_T7_P12ihipStream_tbENKUlT_T0_E_clISt17integral_constantIbLb0EES10_EEDaSV_SW_EUlSV_E_NS1_11comp_targetILNS1_3genE3ELNS1_11target_archE908ELNS1_3gpuE7ELNS1_3repE0EEENS1_30default_config_static_selectorELNS0_4arch9wavefront6targetE0EEEvT1_
	.p2align	8
	.type	_ZN7rocprim17ROCPRIM_400000_NS6detail17trampoline_kernelINS0_14default_configENS1_27scan_by_key_config_selectorIllEEZZNS1_16scan_by_key_implILNS1_25lookback_scan_determinismE0ELb0ES3_N6thrust23THRUST_200600_302600_NS16reverse_iteratorIPKlEESD_NSA_IPlEElN6hipcub16HIPCUB_304000_NS3MaxENSH_8EqualityElEE10hipError_tPvRmT2_T3_T4_T5_mT6_T7_P12ihipStream_tbENKUlT_T0_E_clISt17integral_constantIbLb0EES10_EEDaSV_SW_EUlSV_E_NS1_11comp_targetILNS1_3genE3ELNS1_11target_archE908ELNS1_3gpuE7ELNS1_3repE0EEENS1_30default_config_static_selectorELNS0_4arch9wavefront6targetE0EEEvT1_,@function
_ZN7rocprim17ROCPRIM_400000_NS6detail17trampoline_kernelINS0_14default_configENS1_27scan_by_key_config_selectorIllEEZZNS1_16scan_by_key_implILNS1_25lookback_scan_determinismE0ELb0ES3_N6thrust23THRUST_200600_302600_NS16reverse_iteratorIPKlEESD_NSA_IPlEElN6hipcub16HIPCUB_304000_NS3MaxENSH_8EqualityElEE10hipError_tPvRmT2_T3_T4_T5_mT6_T7_P12ihipStream_tbENKUlT_T0_E_clISt17integral_constantIbLb0EES10_EEDaSV_SW_EUlSV_E_NS1_11comp_targetILNS1_3genE3ELNS1_11target_archE908ELNS1_3gpuE7ELNS1_3repE0EEENS1_30default_config_static_selectorELNS0_4arch9wavefront6targetE0EEEvT1_: ; @_ZN7rocprim17ROCPRIM_400000_NS6detail17trampoline_kernelINS0_14default_configENS1_27scan_by_key_config_selectorIllEEZZNS1_16scan_by_key_implILNS1_25lookback_scan_determinismE0ELb0ES3_N6thrust23THRUST_200600_302600_NS16reverse_iteratorIPKlEESD_NSA_IPlEElN6hipcub16HIPCUB_304000_NS3MaxENSH_8EqualityElEE10hipError_tPvRmT2_T3_T4_T5_mT6_T7_P12ihipStream_tbENKUlT_T0_E_clISt17integral_constantIbLb0EES10_EEDaSV_SW_EUlSV_E_NS1_11comp_targetILNS1_3genE3ELNS1_11target_archE908ELNS1_3gpuE7ELNS1_3repE0EEENS1_30default_config_static_selectorELNS0_4arch9wavefront6targetE0EEEvT1_
; %bb.0:
	.section	.rodata,"a",@progbits
	.p2align	6, 0x0
	.amdhsa_kernel _ZN7rocprim17ROCPRIM_400000_NS6detail17trampoline_kernelINS0_14default_configENS1_27scan_by_key_config_selectorIllEEZZNS1_16scan_by_key_implILNS1_25lookback_scan_determinismE0ELb0ES3_N6thrust23THRUST_200600_302600_NS16reverse_iteratorIPKlEESD_NSA_IPlEElN6hipcub16HIPCUB_304000_NS3MaxENSH_8EqualityElEE10hipError_tPvRmT2_T3_T4_T5_mT6_T7_P12ihipStream_tbENKUlT_T0_E_clISt17integral_constantIbLb0EES10_EEDaSV_SW_EUlSV_E_NS1_11comp_targetILNS1_3genE3ELNS1_11target_archE908ELNS1_3gpuE7ELNS1_3repE0EEENS1_30default_config_static_selectorELNS0_4arch9wavefront6targetE0EEEvT1_
		.amdhsa_group_segment_fixed_size 0
		.amdhsa_private_segment_fixed_size 0
		.amdhsa_kernarg_size 136
		.amdhsa_user_sgpr_count 6
		.amdhsa_user_sgpr_private_segment_buffer 1
		.amdhsa_user_sgpr_dispatch_ptr 0
		.amdhsa_user_sgpr_queue_ptr 0
		.amdhsa_user_sgpr_kernarg_segment_ptr 1
		.amdhsa_user_sgpr_dispatch_id 0
		.amdhsa_user_sgpr_flat_scratch_init 0
		.amdhsa_user_sgpr_private_segment_size 0
		.amdhsa_wavefront_size32 1
		.amdhsa_uses_dynamic_stack 0
		.amdhsa_system_sgpr_private_segment_wavefront_offset 0
		.amdhsa_system_sgpr_workgroup_id_x 1
		.amdhsa_system_sgpr_workgroup_id_y 0
		.amdhsa_system_sgpr_workgroup_id_z 0
		.amdhsa_system_sgpr_workgroup_info 0
		.amdhsa_system_vgpr_workitem_id 0
		.amdhsa_next_free_vgpr 1
		.amdhsa_next_free_sgpr 1
		.amdhsa_reserve_vcc 0
		.amdhsa_reserve_flat_scratch 0
		.amdhsa_float_round_mode_32 0
		.amdhsa_float_round_mode_16_64 0
		.amdhsa_float_denorm_mode_32 3
		.amdhsa_float_denorm_mode_16_64 3
		.amdhsa_dx10_clamp 1
		.amdhsa_ieee_mode 1
		.amdhsa_fp16_overflow 0
		.amdhsa_workgroup_processor_mode 1
		.amdhsa_memory_ordered 1
		.amdhsa_forward_progress 1
		.amdhsa_shared_vgpr_count 0
		.amdhsa_exception_fp_ieee_invalid_op 0
		.amdhsa_exception_fp_denorm_src 0
		.amdhsa_exception_fp_ieee_div_zero 0
		.amdhsa_exception_fp_ieee_overflow 0
		.amdhsa_exception_fp_ieee_underflow 0
		.amdhsa_exception_fp_ieee_inexact 0
		.amdhsa_exception_int_div_zero 0
	.end_amdhsa_kernel
	.section	.text._ZN7rocprim17ROCPRIM_400000_NS6detail17trampoline_kernelINS0_14default_configENS1_27scan_by_key_config_selectorIllEEZZNS1_16scan_by_key_implILNS1_25lookback_scan_determinismE0ELb0ES3_N6thrust23THRUST_200600_302600_NS16reverse_iteratorIPKlEESD_NSA_IPlEElN6hipcub16HIPCUB_304000_NS3MaxENSH_8EqualityElEE10hipError_tPvRmT2_T3_T4_T5_mT6_T7_P12ihipStream_tbENKUlT_T0_E_clISt17integral_constantIbLb0EES10_EEDaSV_SW_EUlSV_E_NS1_11comp_targetILNS1_3genE3ELNS1_11target_archE908ELNS1_3gpuE7ELNS1_3repE0EEENS1_30default_config_static_selectorELNS0_4arch9wavefront6targetE0EEEvT1_,"axG",@progbits,_ZN7rocprim17ROCPRIM_400000_NS6detail17trampoline_kernelINS0_14default_configENS1_27scan_by_key_config_selectorIllEEZZNS1_16scan_by_key_implILNS1_25lookback_scan_determinismE0ELb0ES3_N6thrust23THRUST_200600_302600_NS16reverse_iteratorIPKlEESD_NSA_IPlEElN6hipcub16HIPCUB_304000_NS3MaxENSH_8EqualityElEE10hipError_tPvRmT2_T3_T4_T5_mT6_T7_P12ihipStream_tbENKUlT_T0_E_clISt17integral_constantIbLb0EES10_EEDaSV_SW_EUlSV_E_NS1_11comp_targetILNS1_3genE3ELNS1_11target_archE908ELNS1_3gpuE7ELNS1_3repE0EEENS1_30default_config_static_selectorELNS0_4arch9wavefront6targetE0EEEvT1_,comdat
.Lfunc_end141:
	.size	_ZN7rocprim17ROCPRIM_400000_NS6detail17trampoline_kernelINS0_14default_configENS1_27scan_by_key_config_selectorIllEEZZNS1_16scan_by_key_implILNS1_25lookback_scan_determinismE0ELb0ES3_N6thrust23THRUST_200600_302600_NS16reverse_iteratorIPKlEESD_NSA_IPlEElN6hipcub16HIPCUB_304000_NS3MaxENSH_8EqualityElEE10hipError_tPvRmT2_T3_T4_T5_mT6_T7_P12ihipStream_tbENKUlT_T0_E_clISt17integral_constantIbLb0EES10_EEDaSV_SW_EUlSV_E_NS1_11comp_targetILNS1_3genE3ELNS1_11target_archE908ELNS1_3gpuE7ELNS1_3repE0EEENS1_30default_config_static_selectorELNS0_4arch9wavefront6targetE0EEEvT1_, .Lfunc_end141-_ZN7rocprim17ROCPRIM_400000_NS6detail17trampoline_kernelINS0_14default_configENS1_27scan_by_key_config_selectorIllEEZZNS1_16scan_by_key_implILNS1_25lookback_scan_determinismE0ELb0ES3_N6thrust23THRUST_200600_302600_NS16reverse_iteratorIPKlEESD_NSA_IPlEElN6hipcub16HIPCUB_304000_NS3MaxENSH_8EqualityElEE10hipError_tPvRmT2_T3_T4_T5_mT6_T7_P12ihipStream_tbENKUlT_T0_E_clISt17integral_constantIbLb0EES10_EEDaSV_SW_EUlSV_E_NS1_11comp_targetILNS1_3genE3ELNS1_11target_archE908ELNS1_3gpuE7ELNS1_3repE0EEENS1_30default_config_static_selectorELNS0_4arch9wavefront6targetE0EEEvT1_
                                        ; -- End function
	.set _ZN7rocprim17ROCPRIM_400000_NS6detail17trampoline_kernelINS0_14default_configENS1_27scan_by_key_config_selectorIllEEZZNS1_16scan_by_key_implILNS1_25lookback_scan_determinismE0ELb0ES3_N6thrust23THRUST_200600_302600_NS16reverse_iteratorIPKlEESD_NSA_IPlEElN6hipcub16HIPCUB_304000_NS3MaxENSH_8EqualityElEE10hipError_tPvRmT2_T3_T4_T5_mT6_T7_P12ihipStream_tbENKUlT_T0_E_clISt17integral_constantIbLb0EES10_EEDaSV_SW_EUlSV_E_NS1_11comp_targetILNS1_3genE3ELNS1_11target_archE908ELNS1_3gpuE7ELNS1_3repE0EEENS1_30default_config_static_selectorELNS0_4arch9wavefront6targetE0EEEvT1_.num_vgpr, 0
	.set _ZN7rocprim17ROCPRIM_400000_NS6detail17trampoline_kernelINS0_14default_configENS1_27scan_by_key_config_selectorIllEEZZNS1_16scan_by_key_implILNS1_25lookback_scan_determinismE0ELb0ES3_N6thrust23THRUST_200600_302600_NS16reverse_iteratorIPKlEESD_NSA_IPlEElN6hipcub16HIPCUB_304000_NS3MaxENSH_8EqualityElEE10hipError_tPvRmT2_T3_T4_T5_mT6_T7_P12ihipStream_tbENKUlT_T0_E_clISt17integral_constantIbLb0EES10_EEDaSV_SW_EUlSV_E_NS1_11comp_targetILNS1_3genE3ELNS1_11target_archE908ELNS1_3gpuE7ELNS1_3repE0EEENS1_30default_config_static_selectorELNS0_4arch9wavefront6targetE0EEEvT1_.num_agpr, 0
	.set _ZN7rocprim17ROCPRIM_400000_NS6detail17trampoline_kernelINS0_14default_configENS1_27scan_by_key_config_selectorIllEEZZNS1_16scan_by_key_implILNS1_25lookback_scan_determinismE0ELb0ES3_N6thrust23THRUST_200600_302600_NS16reverse_iteratorIPKlEESD_NSA_IPlEElN6hipcub16HIPCUB_304000_NS3MaxENSH_8EqualityElEE10hipError_tPvRmT2_T3_T4_T5_mT6_T7_P12ihipStream_tbENKUlT_T0_E_clISt17integral_constantIbLb0EES10_EEDaSV_SW_EUlSV_E_NS1_11comp_targetILNS1_3genE3ELNS1_11target_archE908ELNS1_3gpuE7ELNS1_3repE0EEENS1_30default_config_static_selectorELNS0_4arch9wavefront6targetE0EEEvT1_.numbered_sgpr, 0
	.set _ZN7rocprim17ROCPRIM_400000_NS6detail17trampoline_kernelINS0_14default_configENS1_27scan_by_key_config_selectorIllEEZZNS1_16scan_by_key_implILNS1_25lookback_scan_determinismE0ELb0ES3_N6thrust23THRUST_200600_302600_NS16reverse_iteratorIPKlEESD_NSA_IPlEElN6hipcub16HIPCUB_304000_NS3MaxENSH_8EqualityElEE10hipError_tPvRmT2_T3_T4_T5_mT6_T7_P12ihipStream_tbENKUlT_T0_E_clISt17integral_constantIbLb0EES10_EEDaSV_SW_EUlSV_E_NS1_11comp_targetILNS1_3genE3ELNS1_11target_archE908ELNS1_3gpuE7ELNS1_3repE0EEENS1_30default_config_static_selectorELNS0_4arch9wavefront6targetE0EEEvT1_.num_named_barrier, 0
	.set _ZN7rocprim17ROCPRIM_400000_NS6detail17trampoline_kernelINS0_14default_configENS1_27scan_by_key_config_selectorIllEEZZNS1_16scan_by_key_implILNS1_25lookback_scan_determinismE0ELb0ES3_N6thrust23THRUST_200600_302600_NS16reverse_iteratorIPKlEESD_NSA_IPlEElN6hipcub16HIPCUB_304000_NS3MaxENSH_8EqualityElEE10hipError_tPvRmT2_T3_T4_T5_mT6_T7_P12ihipStream_tbENKUlT_T0_E_clISt17integral_constantIbLb0EES10_EEDaSV_SW_EUlSV_E_NS1_11comp_targetILNS1_3genE3ELNS1_11target_archE908ELNS1_3gpuE7ELNS1_3repE0EEENS1_30default_config_static_selectorELNS0_4arch9wavefront6targetE0EEEvT1_.private_seg_size, 0
	.set _ZN7rocprim17ROCPRIM_400000_NS6detail17trampoline_kernelINS0_14default_configENS1_27scan_by_key_config_selectorIllEEZZNS1_16scan_by_key_implILNS1_25lookback_scan_determinismE0ELb0ES3_N6thrust23THRUST_200600_302600_NS16reverse_iteratorIPKlEESD_NSA_IPlEElN6hipcub16HIPCUB_304000_NS3MaxENSH_8EqualityElEE10hipError_tPvRmT2_T3_T4_T5_mT6_T7_P12ihipStream_tbENKUlT_T0_E_clISt17integral_constantIbLb0EES10_EEDaSV_SW_EUlSV_E_NS1_11comp_targetILNS1_3genE3ELNS1_11target_archE908ELNS1_3gpuE7ELNS1_3repE0EEENS1_30default_config_static_selectorELNS0_4arch9wavefront6targetE0EEEvT1_.uses_vcc, 0
	.set _ZN7rocprim17ROCPRIM_400000_NS6detail17trampoline_kernelINS0_14default_configENS1_27scan_by_key_config_selectorIllEEZZNS1_16scan_by_key_implILNS1_25lookback_scan_determinismE0ELb0ES3_N6thrust23THRUST_200600_302600_NS16reverse_iteratorIPKlEESD_NSA_IPlEElN6hipcub16HIPCUB_304000_NS3MaxENSH_8EqualityElEE10hipError_tPvRmT2_T3_T4_T5_mT6_T7_P12ihipStream_tbENKUlT_T0_E_clISt17integral_constantIbLb0EES10_EEDaSV_SW_EUlSV_E_NS1_11comp_targetILNS1_3genE3ELNS1_11target_archE908ELNS1_3gpuE7ELNS1_3repE0EEENS1_30default_config_static_selectorELNS0_4arch9wavefront6targetE0EEEvT1_.uses_flat_scratch, 0
	.set _ZN7rocprim17ROCPRIM_400000_NS6detail17trampoline_kernelINS0_14default_configENS1_27scan_by_key_config_selectorIllEEZZNS1_16scan_by_key_implILNS1_25lookback_scan_determinismE0ELb0ES3_N6thrust23THRUST_200600_302600_NS16reverse_iteratorIPKlEESD_NSA_IPlEElN6hipcub16HIPCUB_304000_NS3MaxENSH_8EqualityElEE10hipError_tPvRmT2_T3_T4_T5_mT6_T7_P12ihipStream_tbENKUlT_T0_E_clISt17integral_constantIbLb0EES10_EEDaSV_SW_EUlSV_E_NS1_11comp_targetILNS1_3genE3ELNS1_11target_archE908ELNS1_3gpuE7ELNS1_3repE0EEENS1_30default_config_static_selectorELNS0_4arch9wavefront6targetE0EEEvT1_.has_dyn_sized_stack, 0
	.set _ZN7rocprim17ROCPRIM_400000_NS6detail17trampoline_kernelINS0_14default_configENS1_27scan_by_key_config_selectorIllEEZZNS1_16scan_by_key_implILNS1_25lookback_scan_determinismE0ELb0ES3_N6thrust23THRUST_200600_302600_NS16reverse_iteratorIPKlEESD_NSA_IPlEElN6hipcub16HIPCUB_304000_NS3MaxENSH_8EqualityElEE10hipError_tPvRmT2_T3_T4_T5_mT6_T7_P12ihipStream_tbENKUlT_T0_E_clISt17integral_constantIbLb0EES10_EEDaSV_SW_EUlSV_E_NS1_11comp_targetILNS1_3genE3ELNS1_11target_archE908ELNS1_3gpuE7ELNS1_3repE0EEENS1_30default_config_static_selectorELNS0_4arch9wavefront6targetE0EEEvT1_.has_recursion, 0
	.set _ZN7rocprim17ROCPRIM_400000_NS6detail17trampoline_kernelINS0_14default_configENS1_27scan_by_key_config_selectorIllEEZZNS1_16scan_by_key_implILNS1_25lookback_scan_determinismE0ELb0ES3_N6thrust23THRUST_200600_302600_NS16reverse_iteratorIPKlEESD_NSA_IPlEElN6hipcub16HIPCUB_304000_NS3MaxENSH_8EqualityElEE10hipError_tPvRmT2_T3_T4_T5_mT6_T7_P12ihipStream_tbENKUlT_T0_E_clISt17integral_constantIbLb0EES10_EEDaSV_SW_EUlSV_E_NS1_11comp_targetILNS1_3genE3ELNS1_11target_archE908ELNS1_3gpuE7ELNS1_3repE0EEENS1_30default_config_static_selectorELNS0_4arch9wavefront6targetE0EEEvT1_.has_indirect_call, 0
	.section	.AMDGPU.csdata,"",@progbits
; Kernel info:
; codeLenInByte = 0
; TotalNumSgprs: 0
; NumVgprs: 0
; ScratchSize: 0
; MemoryBound: 0
; FloatMode: 240
; IeeeMode: 1
; LDSByteSize: 0 bytes/workgroup (compile time only)
; SGPRBlocks: 0
; VGPRBlocks: 0
; NumSGPRsForWavesPerEU: 1
; NumVGPRsForWavesPerEU: 1
; Occupancy: 16
; WaveLimiterHint : 0
; COMPUTE_PGM_RSRC2:SCRATCH_EN: 0
; COMPUTE_PGM_RSRC2:USER_SGPR: 6
; COMPUTE_PGM_RSRC2:TRAP_HANDLER: 0
; COMPUTE_PGM_RSRC2:TGID_X_EN: 1
; COMPUTE_PGM_RSRC2:TGID_Y_EN: 0
; COMPUTE_PGM_RSRC2:TGID_Z_EN: 0
; COMPUTE_PGM_RSRC2:TIDIG_COMP_CNT: 0
	.section	.text._ZN7rocprim17ROCPRIM_400000_NS6detail17trampoline_kernelINS0_14default_configENS1_27scan_by_key_config_selectorIllEEZZNS1_16scan_by_key_implILNS1_25lookback_scan_determinismE0ELb0ES3_N6thrust23THRUST_200600_302600_NS16reverse_iteratorIPKlEESD_NSA_IPlEElN6hipcub16HIPCUB_304000_NS3MaxENSH_8EqualityElEE10hipError_tPvRmT2_T3_T4_T5_mT6_T7_P12ihipStream_tbENKUlT_T0_E_clISt17integral_constantIbLb0EES10_EEDaSV_SW_EUlSV_E_NS1_11comp_targetILNS1_3genE2ELNS1_11target_archE906ELNS1_3gpuE6ELNS1_3repE0EEENS1_30default_config_static_selectorELNS0_4arch9wavefront6targetE0EEEvT1_,"axG",@progbits,_ZN7rocprim17ROCPRIM_400000_NS6detail17trampoline_kernelINS0_14default_configENS1_27scan_by_key_config_selectorIllEEZZNS1_16scan_by_key_implILNS1_25lookback_scan_determinismE0ELb0ES3_N6thrust23THRUST_200600_302600_NS16reverse_iteratorIPKlEESD_NSA_IPlEElN6hipcub16HIPCUB_304000_NS3MaxENSH_8EqualityElEE10hipError_tPvRmT2_T3_T4_T5_mT6_T7_P12ihipStream_tbENKUlT_T0_E_clISt17integral_constantIbLb0EES10_EEDaSV_SW_EUlSV_E_NS1_11comp_targetILNS1_3genE2ELNS1_11target_archE906ELNS1_3gpuE6ELNS1_3repE0EEENS1_30default_config_static_selectorELNS0_4arch9wavefront6targetE0EEEvT1_,comdat
	.protected	_ZN7rocprim17ROCPRIM_400000_NS6detail17trampoline_kernelINS0_14default_configENS1_27scan_by_key_config_selectorIllEEZZNS1_16scan_by_key_implILNS1_25lookback_scan_determinismE0ELb0ES3_N6thrust23THRUST_200600_302600_NS16reverse_iteratorIPKlEESD_NSA_IPlEElN6hipcub16HIPCUB_304000_NS3MaxENSH_8EqualityElEE10hipError_tPvRmT2_T3_T4_T5_mT6_T7_P12ihipStream_tbENKUlT_T0_E_clISt17integral_constantIbLb0EES10_EEDaSV_SW_EUlSV_E_NS1_11comp_targetILNS1_3genE2ELNS1_11target_archE906ELNS1_3gpuE6ELNS1_3repE0EEENS1_30default_config_static_selectorELNS0_4arch9wavefront6targetE0EEEvT1_ ; -- Begin function _ZN7rocprim17ROCPRIM_400000_NS6detail17trampoline_kernelINS0_14default_configENS1_27scan_by_key_config_selectorIllEEZZNS1_16scan_by_key_implILNS1_25lookback_scan_determinismE0ELb0ES3_N6thrust23THRUST_200600_302600_NS16reverse_iteratorIPKlEESD_NSA_IPlEElN6hipcub16HIPCUB_304000_NS3MaxENSH_8EqualityElEE10hipError_tPvRmT2_T3_T4_T5_mT6_T7_P12ihipStream_tbENKUlT_T0_E_clISt17integral_constantIbLb0EES10_EEDaSV_SW_EUlSV_E_NS1_11comp_targetILNS1_3genE2ELNS1_11target_archE906ELNS1_3gpuE6ELNS1_3repE0EEENS1_30default_config_static_selectorELNS0_4arch9wavefront6targetE0EEEvT1_
	.globl	_ZN7rocprim17ROCPRIM_400000_NS6detail17trampoline_kernelINS0_14default_configENS1_27scan_by_key_config_selectorIllEEZZNS1_16scan_by_key_implILNS1_25lookback_scan_determinismE0ELb0ES3_N6thrust23THRUST_200600_302600_NS16reverse_iteratorIPKlEESD_NSA_IPlEElN6hipcub16HIPCUB_304000_NS3MaxENSH_8EqualityElEE10hipError_tPvRmT2_T3_T4_T5_mT6_T7_P12ihipStream_tbENKUlT_T0_E_clISt17integral_constantIbLb0EES10_EEDaSV_SW_EUlSV_E_NS1_11comp_targetILNS1_3genE2ELNS1_11target_archE906ELNS1_3gpuE6ELNS1_3repE0EEENS1_30default_config_static_selectorELNS0_4arch9wavefront6targetE0EEEvT1_
	.p2align	8
	.type	_ZN7rocprim17ROCPRIM_400000_NS6detail17trampoline_kernelINS0_14default_configENS1_27scan_by_key_config_selectorIllEEZZNS1_16scan_by_key_implILNS1_25lookback_scan_determinismE0ELb0ES3_N6thrust23THRUST_200600_302600_NS16reverse_iteratorIPKlEESD_NSA_IPlEElN6hipcub16HIPCUB_304000_NS3MaxENSH_8EqualityElEE10hipError_tPvRmT2_T3_T4_T5_mT6_T7_P12ihipStream_tbENKUlT_T0_E_clISt17integral_constantIbLb0EES10_EEDaSV_SW_EUlSV_E_NS1_11comp_targetILNS1_3genE2ELNS1_11target_archE906ELNS1_3gpuE6ELNS1_3repE0EEENS1_30default_config_static_selectorELNS0_4arch9wavefront6targetE0EEEvT1_,@function
_ZN7rocprim17ROCPRIM_400000_NS6detail17trampoline_kernelINS0_14default_configENS1_27scan_by_key_config_selectorIllEEZZNS1_16scan_by_key_implILNS1_25lookback_scan_determinismE0ELb0ES3_N6thrust23THRUST_200600_302600_NS16reverse_iteratorIPKlEESD_NSA_IPlEElN6hipcub16HIPCUB_304000_NS3MaxENSH_8EqualityElEE10hipError_tPvRmT2_T3_T4_T5_mT6_T7_P12ihipStream_tbENKUlT_T0_E_clISt17integral_constantIbLb0EES10_EEDaSV_SW_EUlSV_E_NS1_11comp_targetILNS1_3genE2ELNS1_11target_archE906ELNS1_3gpuE6ELNS1_3repE0EEENS1_30default_config_static_selectorELNS0_4arch9wavefront6targetE0EEEvT1_: ; @_ZN7rocprim17ROCPRIM_400000_NS6detail17trampoline_kernelINS0_14default_configENS1_27scan_by_key_config_selectorIllEEZZNS1_16scan_by_key_implILNS1_25lookback_scan_determinismE0ELb0ES3_N6thrust23THRUST_200600_302600_NS16reverse_iteratorIPKlEESD_NSA_IPlEElN6hipcub16HIPCUB_304000_NS3MaxENSH_8EqualityElEE10hipError_tPvRmT2_T3_T4_T5_mT6_T7_P12ihipStream_tbENKUlT_T0_E_clISt17integral_constantIbLb0EES10_EEDaSV_SW_EUlSV_E_NS1_11comp_targetILNS1_3genE2ELNS1_11target_archE906ELNS1_3gpuE6ELNS1_3repE0EEENS1_30default_config_static_selectorELNS0_4arch9wavefront6targetE0EEEvT1_
; %bb.0:
	.section	.rodata,"a",@progbits
	.p2align	6, 0x0
	.amdhsa_kernel _ZN7rocprim17ROCPRIM_400000_NS6detail17trampoline_kernelINS0_14default_configENS1_27scan_by_key_config_selectorIllEEZZNS1_16scan_by_key_implILNS1_25lookback_scan_determinismE0ELb0ES3_N6thrust23THRUST_200600_302600_NS16reverse_iteratorIPKlEESD_NSA_IPlEElN6hipcub16HIPCUB_304000_NS3MaxENSH_8EqualityElEE10hipError_tPvRmT2_T3_T4_T5_mT6_T7_P12ihipStream_tbENKUlT_T0_E_clISt17integral_constantIbLb0EES10_EEDaSV_SW_EUlSV_E_NS1_11comp_targetILNS1_3genE2ELNS1_11target_archE906ELNS1_3gpuE6ELNS1_3repE0EEENS1_30default_config_static_selectorELNS0_4arch9wavefront6targetE0EEEvT1_
		.amdhsa_group_segment_fixed_size 0
		.amdhsa_private_segment_fixed_size 0
		.amdhsa_kernarg_size 136
		.amdhsa_user_sgpr_count 6
		.amdhsa_user_sgpr_private_segment_buffer 1
		.amdhsa_user_sgpr_dispatch_ptr 0
		.amdhsa_user_sgpr_queue_ptr 0
		.amdhsa_user_sgpr_kernarg_segment_ptr 1
		.amdhsa_user_sgpr_dispatch_id 0
		.amdhsa_user_sgpr_flat_scratch_init 0
		.amdhsa_user_sgpr_private_segment_size 0
		.amdhsa_wavefront_size32 1
		.amdhsa_uses_dynamic_stack 0
		.amdhsa_system_sgpr_private_segment_wavefront_offset 0
		.amdhsa_system_sgpr_workgroup_id_x 1
		.amdhsa_system_sgpr_workgroup_id_y 0
		.amdhsa_system_sgpr_workgroup_id_z 0
		.amdhsa_system_sgpr_workgroup_info 0
		.amdhsa_system_vgpr_workitem_id 0
		.amdhsa_next_free_vgpr 1
		.amdhsa_next_free_sgpr 1
		.amdhsa_reserve_vcc 0
		.amdhsa_reserve_flat_scratch 0
		.amdhsa_float_round_mode_32 0
		.amdhsa_float_round_mode_16_64 0
		.amdhsa_float_denorm_mode_32 3
		.amdhsa_float_denorm_mode_16_64 3
		.amdhsa_dx10_clamp 1
		.amdhsa_ieee_mode 1
		.amdhsa_fp16_overflow 0
		.amdhsa_workgroup_processor_mode 1
		.amdhsa_memory_ordered 1
		.amdhsa_forward_progress 1
		.amdhsa_shared_vgpr_count 0
		.amdhsa_exception_fp_ieee_invalid_op 0
		.amdhsa_exception_fp_denorm_src 0
		.amdhsa_exception_fp_ieee_div_zero 0
		.amdhsa_exception_fp_ieee_overflow 0
		.amdhsa_exception_fp_ieee_underflow 0
		.amdhsa_exception_fp_ieee_inexact 0
		.amdhsa_exception_int_div_zero 0
	.end_amdhsa_kernel
	.section	.text._ZN7rocprim17ROCPRIM_400000_NS6detail17trampoline_kernelINS0_14default_configENS1_27scan_by_key_config_selectorIllEEZZNS1_16scan_by_key_implILNS1_25lookback_scan_determinismE0ELb0ES3_N6thrust23THRUST_200600_302600_NS16reverse_iteratorIPKlEESD_NSA_IPlEElN6hipcub16HIPCUB_304000_NS3MaxENSH_8EqualityElEE10hipError_tPvRmT2_T3_T4_T5_mT6_T7_P12ihipStream_tbENKUlT_T0_E_clISt17integral_constantIbLb0EES10_EEDaSV_SW_EUlSV_E_NS1_11comp_targetILNS1_3genE2ELNS1_11target_archE906ELNS1_3gpuE6ELNS1_3repE0EEENS1_30default_config_static_selectorELNS0_4arch9wavefront6targetE0EEEvT1_,"axG",@progbits,_ZN7rocprim17ROCPRIM_400000_NS6detail17trampoline_kernelINS0_14default_configENS1_27scan_by_key_config_selectorIllEEZZNS1_16scan_by_key_implILNS1_25lookback_scan_determinismE0ELb0ES3_N6thrust23THRUST_200600_302600_NS16reverse_iteratorIPKlEESD_NSA_IPlEElN6hipcub16HIPCUB_304000_NS3MaxENSH_8EqualityElEE10hipError_tPvRmT2_T3_T4_T5_mT6_T7_P12ihipStream_tbENKUlT_T0_E_clISt17integral_constantIbLb0EES10_EEDaSV_SW_EUlSV_E_NS1_11comp_targetILNS1_3genE2ELNS1_11target_archE906ELNS1_3gpuE6ELNS1_3repE0EEENS1_30default_config_static_selectorELNS0_4arch9wavefront6targetE0EEEvT1_,comdat
.Lfunc_end142:
	.size	_ZN7rocprim17ROCPRIM_400000_NS6detail17trampoline_kernelINS0_14default_configENS1_27scan_by_key_config_selectorIllEEZZNS1_16scan_by_key_implILNS1_25lookback_scan_determinismE0ELb0ES3_N6thrust23THRUST_200600_302600_NS16reverse_iteratorIPKlEESD_NSA_IPlEElN6hipcub16HIPCUB_304000_NS3MaxENSH_8EqualityElEE10hipError_tPvRmT2_T3_T4_T5_mT6_T7_P12ihipStream_tbENKUlT_T0_E_clISt17integral_constantIbLb0EES10_EEDaSV_SW_EUlSV_E_NS1_11comp_targetILNS1_3genE2ELNS1_11target_archE906ELNS1_3gpuE6ELNS1_3repE0EEENS1_30default_config_static_selectorELNS0_4arch9wavefront6targetE0EEEvT1_, .Lfunc_end142-_ZN7rocprim17ROCPRIM_400000_NS6detail17trampoline_kernelINS0_14default_configENS1_27scan_by_key_config_selectorIllEEZZNS1_16scan_by_key_implILNS1_25lookback_scan_determinismE0ELb0ES3_N6thrust23THRUST_200600_302600_NS16reverse_iteratorIPKlEESD_NSA_IPlEElN6hipcub16HIPCUB_304000_NS3MaxENSH_8EqualityElEE10hipError_tPvRmT2_T3_T4_T5_mT6_T7_P12ihipStream_tbENKUlT_T0_E_clISt17integral_constantIbLb0EES10_EEDaSV_SW_EUlSV_E_NS1_11comp_targetILNS1_3genE2ELNS1_11target_archE906ELNS1_3gpuE6ELNS1_3repE0EEENS1_30default_config_static_selectorELNS0_4arch9wavefront6targetE0EEEvT1_
                                        ; -- End function
	.set _ZN7rocprim17ROCPRIM_400000_NS6detail17trampoline_kernelINS0_14default_configENS1_27scan_by_key_config_selectorIllEEZZNS1_16scan_by_key_implILNS1_25lookback_scan_determinismE0ELb0ES3_N6thrust23THRUST_200600_302600_NS16reverse_iteratorIPKlEESD_NSA_IPlEElN6hipcub16HIPCUB_304000_NS3MaxENSH_8EqualityElEE10hipError_tPvRmT2_T3_T4_T5_mT6_T7_P12ihipStream_tbENKUlT_T0_E_clISt17integral_constantIbLb0EES10_EEDaSV_SW_EUlSV_E_NS1_11comp_targetILNS1_3genE2ELNS1_11target_archE906ELNS1_3gpuE6ELNS1_3repE0EEENS1_30default_config_static_selectorELNS0_4arch9wavefront6targetE0EEEvT1_.num_vgpr, 0
	.set _ZN7rocprim17ROCPRIM_400000_NS6detail17trampoline_kernelINS0_14default_configENS1_27scan_by_key_config_selectorIllEEZZNS1_16scan_by_key_implILNS1_25lookback_scan_determinismE0ELb0ES3_N6thrust23THRUST_200600_302600_NS16reverse_iteratorIPKlEESD_NSA_IPlEElN6hipcub16HIPCUB_304000_NS3MaxENSH_8EqualityElEE10hipError_tPvRmT2_T3_T4_T5_mT6_T7_P12ihipStream_tbENKUlT_T0_E_clISt17integral_constantIbLb0EES10_EEDaSV_SW_EUlSV_E_NS1_11comp_targetILNS1_3genE2ELNS1_11target_archE906ELNS1_3gpuE6ELNS1_3repE0EEENS1_30default_config_static_selectorELNS0_4arch9wavefront6targetE0EEEvT1_.num_agpr, 0
	.set _ZN7rocprim17ROCPRIM_400000_NS6detail17trampoline_kernelINS0_14default_configENS1_27scan_by_key_config_selectorIllEEZZNS1_16scan_by_key_implILNS1_25lookback_scan_determinismE0ELb0ES3_N6thrust23THRUST_200600_302600_NS16reverse_iteratorIPKlEESD_NSA_IPlEElN6hipcub16HIPCUB_304000_NS3MaxENSH_8EqualityElEE10hipError_tPvRmT2_T3_T4_T5_mT6_T7_P12ihipStream_tbENKUlT_T0_E_clISt17integral_constantIbLb0EES10_EEDaSV_SW_EUlSV_E_NS1_11comp_targetILNS1_3genE2ELNS1_11target_archE906ELNS1_3gpuE6ELNS1_3repE0EEENS1_30default_config_static_selectorELNS0_4arch9wavefront6targetE0EEEvT1_.numbered_sgpr, 0
	.set _ZN7rocprim17ROCPRIM_400000_NS6detail17trampoline_kernelINS0_14default_configENS1_27scan_by_key_config_selectorIllEEZZNS1_16scan_by_key_implILNS1_25lookback_scan_determinismE0ELb0ES3_N6thrust23THRUST_200600_302600_NS16reverse_iteratorIPKlEESD_NSA_IPlEElN6hipcub16HIPCUB_304000_NS3MaxENSH_8EqualityElEE10hipError_tPvRmT2_T3_T4_T5_mT6_T7_P12ihipStream_tbENKUlT_T0_E_clISt17integral_constantIbLb0EES10_EEDaSV_SW_EUlSV_E_NS1_11comp_targetILNS1_3genE2ELNS1_11target_archE906ELNS1_3gpuE6ELNS1_3repE0EEENS1_30default_config_static_selectorELNS0_4arch9wavefront6targetE0EEEvT1_.num_named_barrier, 0
	.set _ZN7rocprim17ROCPRIM_400000_NS6detail17trampoline_kernelINS0_14default_configENS1_27scan_by_key_config_selectorIllEEZZNS1_16scan_by_key_implILNS1_25lookback_scan_determinismE0ELb0ES3_N6thrust23THRUST_200600_302600_NS16reverse_iteratorIPKlEESD_NSA_IPlEElN6hipcub16HIPCUB_304000_NS3MaxENSH_8EqualityElEE10hipError_tPvRmT2_T3_T4_T5_mT6_T7_P12ihipStream_tbENKUlT_T0_E_clISt17integral_constantIbLb0EES10_EEDaSV_SW_EUlSV_E_NS1_11comp_targetILNS1_3genE2ELNS1_11target_archE906ELNS1_3gpuE6ELNS1_3repE0EEENS1_30default_config_static_selectorELNS0_4arch9wavefront6targetE0EEEvT1_.private_seg_size, 0
	.set _ZN7rocprim17ROCPRIM_400000_NS6detail17trampoline_kernelINS0_14default_configENS1_27scan_by_key_config_selectorIllEEZZNS1_16scan_by_key_implILNS1_25lookback_scan_determinismE0ELb0ES3_N6thrust23THRUST_200600_302600_NS16reverse_iteratorIPKlEESD_NSA_IPlEElN6hipcub16HIPCUB_304000_NS3MaxENSH_8EqualityElEE10hipError_tPvRmT2_T3_T4_T5_mT6_T7_P12ihipStream_tbENKUlT_T0_E_clISt17integral_constantIbLb0EES10_EEDaSV_SW_EUlSV_E_NS1_11comp_targetILNS1_3genE2ELNS1_11target_archE906ELNS1_3gpuE6ELNS1_3repE0EEENS1_30default_config_static_selectorELNS0_4arch9wavefront6targetE0EEEvT1_.uses_vcc, 0
	.set _ZN7rocprim17ROCPRIM_400000_NS6detail17trampoline_kernelINS0_14default_configENS1_27scan_by_key_config_selectorIllEEZZNS1_16scan_by_key_implILNS1_25lookback_scan_determinismE0ELb0ES3_N6thrust23THRUST_200600_302600_NS16reverse_iteratorIPKlEESD_NSA_IPlEElN6hipcub16HIPCUB_304000_NS3MaxENSH_8EqualityElEE10hipError_tPvRmT2_T3_T4_T5_mT6_T7_P12ihipStream_tbENKUlT_T0_E_clISt17integral_constantIbLb0EES10_EEDaSV_SW_EUlSV_E_NS1_11comp_targetILNS1_3genE2ELNS1_11target_archE906ELNS1_3gpuE6ELNS1_3repE0EEENS1_30default_config_static_selectorELNS0_4arch9wavefront6targetE0EEEvT1_.uses_flat_scratch, 0
	.set _ZN7rocprim17ROCPRIM_400000_NS6detail17trampoline_kernelINS0_14default_configENS1_27scan_by_key_config_selectorIllEEZZNS1_16scan_by_key_implILNS1_25lookback_scan_determinismE0ELb0ES3_N6thrust23THRUST_200600_302600_NS16reverse_iteratorIPKlEESD_NSA_IPlEElN6hipcub16HIPCUB_304000_NS3MaxENSH_8EqualityElEE10hipError_tPvRmT2_T3_T4_T5_mT6_T7_P12ihipStream_tbENKUlT_T0_E_clISt17integral_constantIbLb0EES10_EEDaSV_SW_EUlSV_E_NS1_11comp_targetILNS1_3genE2ELNS1_11target_archE906ELNS1_3gpuE6ELNS1_3repE0EEENS1_30default_config_static_selectorELNS0_4arch9wavefront6targetE0EEEvT1_.has_dyn_sized_stack, 0
	.set _ZN7rocprim17ROCPRIM_400000_NS6detail17trampoline_kernelINS0_14default_configENS1_27scan_by_key_config_selectorIllEEZZNS1_16scan_by_key_implILNS1_25lookback_scan_determinismE0ELb0ES3_N6thrust23THRUST_200600_302600_NS16reverse_iteratorIPKlEESD_NSA_IPlEElN6hipcub16HIPCUB_304000_NS3MaxENSH_8EqualityElEE10hipError_tPvRmT2_T3_T4_T5_mT6_T7_P12ihipStream_tbENKUlT_T0_E_clISt17integral_constantIbLb0EES10_EEDaSV_SW_EUlSV_E_NS1_11comp_targetILNS1_3genE2ELNS1_11target_archE906ELNS1_3gpuE6ELNS1_3repE0EEENS1_30default_config_static_selectorELNS0_4arch9wavefront6targetE0EEEvT1_.has_recursion, 0
	.set _ZN7rocprim17ROCPRIM_400000_NS6detail17trampoline_kernelINS0_14default_configENS1_27scan_by_key_config_selectorIllEEZZNS1_16scan_by_key_implILNS1_25lookback_scan_determinismE0ELb0ES3_N6thrust23THRUST_200600_302600_NS16reverse_iteratorIPKlEESD_NSA_IPlEElN6hipcub16HIPCUB_304000_NS3MaxENSH_8EqualityElEE10hipError_tPvRmT2_T3_T4_T5_mT6_T7_P12ihipStream_tbENKUlT_T0_E_clISt17integral_constantIbLb0EES10_EEDaSV_SW_EUlSV_E_NS1_11comp_targetILNS1_3genE2ELNS1_11target_archE906ELNS1_3gpuE6ELNS1_3repE0EEENS1_30default_config_static_selectorELNS0_4arch9wavefront6targetE0EEEvT1_.has_indirect_call, 0
	.section	.AMDGPU.csdata,"",@progbits
; Kernel info:
; codeLenInByte = 0
; TotalNumSgprs: 0
; NumVgprs: 0
; ScratchSize: 0
; MemoryBound: 0
; FloatMode: 240
; IeeeMode: 1
; LDSByteSize: 0 bytes/workgroup (compile time only)
; SGPRBlocks: 0
; VGPRBlocks: 0
; NumSGPRsForWavesPerEU: 1
; NumVGPRsForWavesPerEU: 1
; Occupancy: 16
; WaveLimiterHint : 0
; COMPUTE_PGM_RSRC2:SCRATCH_EN: 0
; COMPUTE_PGM_RSRC2:USER_SGPR: 6
; COMPUTE_PGM_RSRC2:TRAP_HANDLER: 0
; COMPUTE_PGM_RSRC2:TGID_X_EN: 1
; COMPUTE_PGM_RSRC2:TGID_Y_EN: 0
; COMPUTE_PGM_RSRC2:TGID_Z_EN: 0
; COMPUTE_PGM_RSRC2:TIDIG_COMP_CNT: 0
	.section	.text._ZN7rocprim17ROCPRIM_400000_NS6detail17trampoline_kernelINS0_14default_configENS1_27scan_by_key_config_selectorIllEEZZNS1_16scan_by_key_implILNS1_25lookback_scan_determinismE0ELb0ES3_N6thrust23THRUST_200600_302600_NS16reverse_iteratorIPKlEESD_NSA_IPlEElN6hipcub16HIPCUB_304000_NS3MaxENSH_8EqualityElEE10hipError_tPvRmT2_T3_T4_T5_mT6_T7_P12ihipStream_tbENKUlT_T0_E_clISt17integral_constantIbLb0EES10_EEDaSV_SW_EUlSV_E_NS1_11comp_targetILNS1_3genE10ELNS1_11target_archE1200ELNS1_3gpuE4ELNS1_3repE0EEENS1_30default_config_static_selectorELNS0_4arch9wavefront6targetE0EEEvT1_,"axG",@progbits,_ZN7rocprim17ROCPRIM_400000_NS6detail17trampoline_kernelINS0_14default_configENS1_27scan_by_key_config_selectorIllEEZZNS1_16scan_by_key_implILNS1_25lookback_scan_determinismE0ELb0ES3_N6thrust23THRUST_200600_302600_NS16reverse_iteratorIPKlEESD_NSA_IPlEElN6hipcub16HIPCUB_304000_NS3MaxENSH_8EqualityElEE10hipError_tPvRmT2_T3_T4_T5_mT6_T7_P12ihipStream_tbENKUlT_T0_E_clISt17integral_constantIbLb0EES10_EEDaSV_SW_EUlSV_E_NS1_11comp_targetILNS1_3genE10ELNS1_11target_archE1200ELNS1_3gpuE4ELNS1_3repE0EEENS1_30default_config_static_selectorELNS0_4arch9wavefront6targetE0EEEvT1_,comdat
	.protected	_ZN7rocprim17ROCPRIM_400000_NS6detail17trampoline_kernelINS0_14default_configENS1_27scan_by_key_config_selectorIllEEZZNS1_16scan_by_key_implILNS1_25lookback_scan_determinismE0ELb0ES3_N6thrust23THRUST_200600_302600_NS16reverse_iteratorIPKlEESD_NSA_IPlEElN6hipcub16HIPCUB_304000_NS3MaxENSH_8EqualityElEE10hipError_tPvRmT2_T3_T4_T5_mT6_T7_P12ihipStream_tbENKUlT_T0_E_clISt17integral_constantIbLb0EES10_EEDaSV_SW_EUlSV_E_NS1_11comp_targetILNS1_3genE10ELNS1_11target_archE1200ELNS1_3gpuE4ELNS1_3repE0EEENS1_30default_config_static_selectorELNS0_4arch9wavefront6targetE0EEEvT1_ ; -- Begin function _ZN7rocprim17ROCPRIM_400000_NS6detail17trampoline_kernelINS0_14default_configENS1_27scan_by_key_config_selectorIllEEZZNS1_16scan_by_key_implILNS1_25lookback_scan_determinismE0ELb0ES3_N6thrust23THRUST_200600_302600_NS16reverse_iteratorIPKlEESD_NSA_IPlEElN6hipcub16HIPCUB_304000_NS3MaxENSH_8EqualityElEE10hipError_tPvRmT2_T3_T4_T5_mT6_T7_P12ihipStream_tbENKUlT_T0_E_clISt17integral_constantIbLb0EES10_EEDaSV_SW_EUlSV_E_NS1_11comp_targetILNS1_3genE10ELNS1_11target_archE1200ELNS1_3gpuE4ELNS1_3repE0EEENS1_30default_config_static_selectorELNS0_4arch9wavefront6targetE0EEEvT1_
	.globl	_ZN7rocprim17ROCPRIM_400000_NS6detail17trampoline_kernelINS0_14default_configENS1_27scan_by_key_config_selectorIllEEZZNS1_16scan_by_key_implILNS1_25lookback_scan_determinismE0ELb0ES3_N6thrust23THRUST_200600_302600_NS16reverse_iteratorIPKlEESD_NSA_IPlEElN6hipcub16HIPCUB_304000_NS3MaxENSH_8EqualityElEE10hipError_tPvRmT2_T3_T4_T5_mT6_T7_P12ihipStream_tbENKUlT_T0_E_clISt17integral_constantIbLb0EES10_EEDaSV_SW_EUlSV_E_NS1_11comp_targetILNS1_3genE10ELNS1_11target_archE1200ELNS1_3gpuE4ELNS1_3repE0EEENS1_30default_config_static_selectorELNS0_4arch9wavefront6targetE0EEEvT1_
	.p2align	8
	.type	_ZN7rocprim17ROCPRIM_400000_NS6detail17trampoline_kernelINS0_14default_configENS1_27scan_by_key_config_selectorIllEEZZNS1_16scan_by_key_implILNS1_25lookback_scan_determinismE0ELb0ES3_N6thrust23THRUST_200600_302600_NS16reverse_iteratorIPKlEESD_NSA_IPlEElN6hipcub16HIPCUB_304000_NS3MaxENSH_8EqualityElEE10hipError_tPvRmT2_T3_T4_T5_mT6_T7_P12ihipStream_tbENKUlT_T0_E_clISt17integral_constantIbLb0EES10_EEDaSV_SW_EUlSV_E_NS1_11comp_targetILNS1_3genE10ELNS1_11target_archE1200ELNS1_3gpuE4ELNS1_3repE0EEENS1_30default_config_static_selectorELNS0_4arch9wavefront6targetE0EEEvT1_,@function
_ZN7rocprim17ROCPRIM_400000_NS6detail17trampoline_kernelINS0_14default_configENS1_27scan_by_key_config_selectorIllEEZZNS1_16scan_by_key_implILNS1_25lookback_scan_determinismE0ELb0ES3_N6thrust23THRUST_200600_302600_NS16reverse_iteratorIPKlEESD_NSA_IPlEElN6hipcub16HIPCUB_304000_NS3MaxENSH_8EqualityElEE10hipError_tPvRmT2_T3_T4_T5_mT6_T7_P12ihipStream_tbENKUlT_T0_E_clISt17integral_constantIbLb0EES10_EEDaSV_SW_EUlSV_E_NS1_11comp_targetILNS1_3genE10ELNS1_11target_archE1200ELNS1_3gpuE4ELNS1_3repE0EEENS1_30default_config_static_selectorELNS0_4arch9wavefront6targetE0EEEvT1_: ; @_ZN7rocprim17ROCPRIM_400000_NS6detail17trampoline_kernelINS0_14default_configENS1_27scan_by_key_config_selectorIllEEZZNS1_16scan_by_key_implILNS1_25lookback_scan_determinismE0ELb0ES3_N6thrust23THRUST_200600_302600_NS16reverse_iteratorIPKlEESD_NSA_IPlEElN6hipcub16HIPCUB_304000_NS3MaxENSH_8EqualityElEE10hipError_tPvRmT2_T3_T4_T5_mT6_T7_P12ihipStream_tbENKUlT_T0_E_clISt17integral_constantIbLb0EES10_EEDaSV_SW_EUlSV_E_NS1_11comp_targetILNS1_3genE10ELNS1_11target_archE1200ELNS1_3gpuE4ELNS1_3repE0EEENS1_30default_config_static_selectorELNS0_4arch9wavefront6targetE0EEEvT1_
; %bb.0:
	.section	.rodata,"a",@progbits
	.p2align	6, 0x0
	.amdhsa_kernel _ZN7rocprim17ROCPRIM_400000_NS6detail17trampoline_kernelINS0_14default_configENS1_27scan_by_key_config_selectorIllEEZZNS1_16scan_by_key_implILNS1_25lookback_scan_determinismE0ELb0ES3_N6thrust23THRUST_200600_302600_NS16reverse_iteratorIPKlEESD_NSA_IPlEElN6hipcub16HIPCUB_304000_NS3MaxENSH_8EqualityElEE10hipError_tPvRmT2_T3_T4_T5_mT6_T7_P12ihipStream_tbENKUlT_T0_E_clISt17integral_constantIbLb0EES10_EEDaSV_SW_EUlSV_E_NS1_11comp_targetILNS1_3genE10ELNS1_11target_archE1200ELNS1_3gpuE4ELNS1_3repE0EEENS1_30default_config_static_selectorELNS0_4arch9wavefront6targetE0EEEvT1_
		.amdhsa_group_segment_fixed_size 0
		.amdhsa_private_segment_fixed_size 0
		.amdhsa_kernarg_size 136
		.amdhsa_user_sgpr_count 6
		.amdhsa_user_sgpr_private_segment_buffer 1
		.amdhsa_user_sgpr_dispatch_ptr 0
		.amdhsa_user_sgpr_queue_ptr 0
		.amdhsa_user_sgpr_kernarg_segment_ptr 1
		.amdhsa_user_sgpr_dispatch_id 0
		.amdhsa_user_sgpr_flat_scratch_init 0
		.amdhsa_user_sgpr_private_segment_size 0
		.amdhsa_wavefront_size32 1
		.amdhsa_uses_dynamic_stack 0
		.amdhsa_system_sgpr_private_segment_wavefront_offset 0
		.amdhsa_system_sgpr_workgroup_id_x 1
		.amdhsa_system_sgpr_workgroup_id_y 0
		.amdhsa_system_sgpr_workgroup_id_z 0
		.amdhsa_system_sgpr_workgroup_info 0
		.amdhsa_system_vgpr_workitem_id 0
		.amdhsa_next_free_vgpr 1
		.amdhsa_next_free_sgpr 1
		.amdhsa_reserve_vcc 0
		.amdhsa_reserve_flat_scratch 0
		.amdhsa_float_round_mode_32 0
		.amdhsa_float_round_mode_16_64 0
		.amdhsa_float_denorm_mode_32 3
		.amdhsa_float_denorm_mode_16_64 3
		.amdhsa_dx10_clamp 1
		.amdhsa_ieee_mode 1
		.amdhsa_fp16_overflow 0
		.amdhsa_workgroup_processor_mode 1
		.amdhsa_memory_ordered 1
		.amdhsa_forward_progress 1
		.amdhsa_shared_vgpr_count 0
		.amdhsa_exception_fp_ieee_invalid_op 0
		.amdhsa_exception_fp_denorm_src 0
		.amdhsa_exception_fp_ieee_div_zero 0
		.amdhsa_exception_fp_ieee_overflow 0
		.amdhsa_exception_fp_ieee_underflow 0
		.amdhsa_exception_fp_ieee_inexact 0
		.amdhsa_exception_int_div_zero 0
	.end_amdhsa_kernel
	.section	.text._ZN7rocprim17ROCPRIM_400000_NS6detail17trampoline_kernelINS0_14default_configENS1_27scan_by_key_config_selectorIllEEZZNS1_16scan_by_key_implILNS1_25lookback_scan_determinismE0ELb0ES3_N6thrust23THRUST_200600_302600_NS16reverse_iteratorIPKlEESD_NSA_IPlEElN6hipcub16HIPCUB_304000_NS3MaxENSH_8EqualityElEE10hipError_tPvRmT2_T3_T4_T5_mT6_T7_P12ihipStream_tbENKUlT_T0_E_clISt17integral_constantIbLb0EES10_EEDaSV_SW_EUlSV_E_NS1_11comp_targetILNS1_3genE10ELNS1_11target_archE1200ELNS1_3gpuE4ELNS1_3repE0EEENS1_30default_config_static_selectorELNS0_4arch9wavefront6targetE0EEEvT1_,"axG",@progbits,_ZN7rocprim17ROCPRIM_400000_NS6detail17trampoline_kernelINS0_14default_configENS1_27scan_by_key_config_selectorIllEEZZNS1_16scan_by_key_implILNS1_25lookback_scan_determinismE0ELb0ES3_N6thrust23THRUST_200600_302600_NS16reverse_iteratorIPKlEESD_NSA_IPlEElN6hipcub16HIPCUB_304000_NS3MaxENSH_8EqualityElEE10hipError_tPvRmT2_T3_T4_T5_mT6_T7_P12ihipStream_tbENKUlT_T0_E_clISt17integral_constantIbLb0EES10_EEDaSV_SW_EUlSV_E_NS1_11comp_targetILNS1_3genE10ELNS1_11target_archE1200ELNS1_3gpuE4ELNS1_3repE0EEENS1_30default_config_static_selectorELNS0_4arch9wavefront6targetE0EEEvT1_,comdat
.Lfunc_end143:
	.size	_ZN7rocprim17ROCPRIM_400000_NS6detail17trampoline_kernelINS0_14default_configENS1_27scan_by_key_config_selectorIllEEZZNS1_16scan_by_key_implILNS1_25lookback_scan_determinismE0ELb0ES3_N6thrust23THRUST_200600_302600_NS16reverse_iteratorIPKlEESD_NSA_IPlEElN6hipcub16HIPCUB_304000_NS3MaxENSH_8EqualityElEE10hipError_tPvRmT2_T3_T4_T5_mT6_T7_P12ihipStream_tbENKUlT_T0_E_clISt17integral_constantIbLb0EES10_EEDaSV_SW_EUlSV_E_NS1_11comp_targetILNS1_3genE10ELNS1_11target_archE1200ELNS1_3gpuE4ELNS1_3repE0EEENS1_30default_config_static_selectorELNS0_4arch9wavefront6targetE0EEEvT1_, .Lfunc_end143-_ZN7rocprim17ROCPRIM_400000_NS6detail17trampoline_kernelINS0_14default_configENS1_27scan_by_key_config_selectorIllEEZZNS1_16scan_by_key_implILNS1_25lookback_scan_determinismE0ELb0ES3_N6thrust23THRUST_200600_302600_NS16reverse_iteratorIPKlEESD_NSA_IPlEElN6hipcub16HIPCUB_304000_NS3MaxENSH_8EqualityElEE10hipError_tPvRmT2_T3_T4_T5_mT6_T7_P12ihipStream_tbENKUlT_T0_E_clISt17integral_constantIbLb0EES10_EEDaSV_SW_EUlSV_E_NS1_11comp_targetILNS1_3genE10ELNS1_11target_archE1200ELNS1_3gpuE4ELNS1_3repE0EEENS1_30default_config_static_selectorELNS0_4arch9wavefront6targetE0EEEvT1_
                                        ; -- End function
	.set _ZN7rocprim17ROCPRIM_400000_NS6detail17trampoline_kernelINS0_14default_configENS1_27scan_by_key_config_selectorIllEEZZNS1_16scan_by_key_implILNS1_25lookback_scan_determinismE0ELb0ES3_N6thrust23THRUST_200600_302600_NS16reverse_iteratorIPKlEESD_NSA_IPlEElN6hipcub16HIPCUB_304000_NS3MaxENSH_8EqualityElEE10hipError_tPvRmT2_T3_T4_T5_mT6_T7_P12ihipStream_tbENKUlT_T0_E_clISt17integral_constantIbLb0EES10_EEDaSV_SW_EUlSV_E_NS1_11comp_targetILNS1_3genE10ELNS1_11target_archE1200ELNS1_3gpuE4ELNS1_3repE0EEENS1_30default_config_static_selectorELNS0_4arch9wavefront6targetE0EEEvT1_.num_vgpr, 0
	.set _ZN7rocprim17ROCPRIM_400000_NS6detail17trampoline_kernelINS0_14default_configENS1_27scan_by_key_config_selectorIllEEZZNS1_16scan_by_key_implILNS1_25lookback_scan_determinismE0ELb0ES3_N6thrust23THRUST_200600_302600_NS16reverse_iteratorIPKlEESD_NSA_IPlEElN6hipcub16HIPCUB_304000_NS3MaxENSH_8EqualityElEE10hipError_tPvRmT2_T3_T4_T5_mT6_T7_P12ihipStream_tbENKUlT_T0_E_clISt17integral_constantIbLb0EES10_EEDaSV_SW_EUlSV_E_NS1_11comp_targetILNS1_3genE10ELNS1_11target_archE1200ELNS1_3gpuE4ELNS1_3repE0EEENS1_30default_config_static_selectorELNS0_4arch9wavefront6targetE0EEEvT1_.num_agpr, 0
	.set _ZN7rocprim17ROCPRIM_400000_NS6detail17trampoline_kernelINS0_14default_configENS1_27scan_by_key_config_selectorIllEEZZNS1_16scan_by_key_implILNS1_25lookback_scan_determinismE0ELb0ES3_N6thrust23THRUST_200600_302600_NS16reverse_iteratorIPKlEESD_NSA_IPlEElN6hipcub16HIPCUB_304000_NS3MaxENSH_8EqualityElEE10hipError_tPvRmT2_T3_T4_T5_mT6_T7_P12ihipStream_tbENKUlT_T0_E_clISt17integral_constantIbLb0EES10_EEDaSV_SW_EUlSV_E_NS1_11comp_targetILNS1_3genE10ELNS1_11target_archE1200ELNS1_3gpuE4ELNS1_3repE0EEENS1_30default_config_static_selectorELNS0_4arch9wavefront6targetE0EEEvT1_.numbered_sgpr, 0
	.set _ZN7rocprim17ROCPRIM_400000_NS6detail17trampoline_kernelINS0_14default_configENS1_27scan_by_key_config_selectorIllEEZZNS1_16scan_by_key_implILNS1_25lookback_scan_determinismE0ELb0ES3_N6thrust23THRUST_200600_302600_NS16reverse_iteratorIPKlEESD_NSA_IPlEElN6hipcub16HIPCUB_304000_NS3MaxENSH_8EqualityElEE10hipError_tPvRmT2_T3_T4_T5_mT6_T7_P12ihipStream_tbENKUlT_T0_E_clISt17integral_constantIbLb0EES10_EEDaSV_SW_EUlSV_E_NS1_11comp_targetILNS1_3genE10ELNS1_11target_archE1200ELNS1_3gpuE4ELNS1_3repE0EEENS1_30default_config_static_selectorELNS0_4arch9wavefront6targetE0EEEvT1_.num_named_barrier, 0
	.set _ZN7rocprim17ROCPRIM_400000_NS6detail17trampoline_kernelINS0_14default_configENS1_27scan_by_key_config_selectorIllEEZZNS1_16scan_by_key_implILNS1_25lookback_scan_determinismE0ELb0ES3_N6thrust23THRUST_200600_302600_NS16reverse_iteratorIPKlEESD_NSA_IPlEElN6hipcub16HIPCUB_304000_NS3MaxENSH_8EqualityElEE10hipError_tPvRmT2_T3_T4_T5_mT6_T7_P12ihipStream_tbENKUlT_T0_E_clISt17integral_constantIbLb0EES10_EEDaSV_SW_EUlSV_E_NS1_11comp_targetILNS1_3genE10ELNS1_11target_archE1200ELNS1_3gpuE4ELNS1_3repE0EEENS1_30default_config_static_selectorELNS0_4arch9wavefront6targetE0EEEvT1_.private_seg_size, 0
	.set _ZN7rocprim17ROCPRIM_400000_NS6detail17trampoline_kernelINS0_14default_configENS1_27scan_by_key_config_selectorIllEEZZNS1_16scan_by_key_implILNS1_25lookback_scan_determinismE0ELb0ES3_N6thrust23THRUST_200600_302600_NS16reverse_iteratorIPKlEESD_NSA_IPlEElN6hipcub16HIPCUB_304000_NS3MaxENSH_8EqualityElEE10hipError_tPvRmT2_T3_T4_T5_mT6_T7_P12ihipStream_tbENKUlT_T0_E_clISt17integral_constantIbLb0EES10_EEDaSV_SW_EUlSV_E_NS1_11comp_targetILNS1_3genE10ELNS1_11target_archE1200ELNS1_3gpuE4ELNS1_3repE0EEENS1_30default_config_static_selectorELNS0_4arch9wavefront6targetE0EEEvT1_.uses_vcc, 0
	.set _ZN7rocprim17ROCPRIM_400000_NS6detail17trampoline_kernelINS0_14default_configENS1_27scan_by_key_config_selectorIllEEZZNS1_16scan_by_key_implILNS1_25lookback_scan_determinismE0ELb0ES3_N6thrust23THRUST_200600_302600_NS16reverse_iteratorIPKlEESD_NSA_IPlEElN6hipcub16HIPCUB_304000_NS3MaxENSH_8EqualityElEE10hipError_tPvRmT2_T3_T4_T5_mT6_T7_P12ihipStream_tbENKUlT_T0_E_clISt17integral_constantIbLb0EES10_EEDaSV_SW_EUlSV_E_NS1_11comp_targetILNS1_3genE10ELNS1_11target_archE1200ELNS1_3gpuE4ELNS1_3repE0EEENS1_30default_config_static_selectorELNS0_4arch9wavefront6targetE0EEEvT1_.uses_flat_scratch, 0
	.set _ZN7rocprim17ROCPRIM_400000_NS6detail17trampoline_kernelINS0_14default_configENS1_27scan_by_key_config_selectorIllEEZZNS1_16scan_by_key_implILNS1_25lookback_scan_determinismE0ELb0ES3_N6thrust23THRUST_200600_302600_NS16reverse_iteratorIPKlEESD_NSA_IPlEElN6hipcub16HIPCUB_304000_NS3MaxENSH_8EqualityElEE10hipError_tPvRmT2_T3_T4_T5_mT6_T7_P12ihipStream_tbENKUlT_T0_E_clISt17integral_constantIbLb0EES10_EEDaSV_SW_EUlSV_E_NS1_11comp_targetILNS1_3genE10ELNS1_11target_archE1200ELNS1_3gpuE4ELNS1_3repE0EEENS1_30default_config_static_selectorELNS0_4arch9wavefront6targetE0EEEvT1_.has_dyn_sized_stack, 0
	.set _ZN7rocprim17ROCPRIM_400000_NS6detail17trampoline_kernelINS0_14default_configENS1_27scan_by_key_config_selectorIllEEZZNS1_16scan_by_key_implILNS1_25lookback_scan_determinismE0ELb0ES3_N6thrust23THRUST_200600_302600_NS16reverse_iteratorIPKlEESD_NSA_IPlEElN6hipcub16HIPCUB_304000_NS3MaxENSH_8EqualityElEE10hipError_tPvRmT2_T3_T4_T5_mT6_T7_P12ihipStream_tbENKUlT_T0_E_clISt17integral_constantIbLb0EES10_EEDaSV_SW_EUlSV_E_NS1_11comp_targetILNS1_3genE10ELNS1_11target_archE1200ELNS1_3gpuE4ELNS1_3repE0EEENS1_30default_config_static_selectorELNS0_4arch9wavefront6targetE0EEEvT1_.has_recursion, 0
	.set _ZN7rocprim17ROCPRIM_400000_NS6detail17trampoline_kernelINS0_14default_configENS1_27scan_by_key_config_selectorIllEEZZNS1_16scan_by_key_implILNS1_25lookback_scan_determinismE0ELb0ES3_N6thrust23THRUST_200600_302600_NS16reverse_iteratorIPKlEESD_NSA_IPlEElN6hipcub16HIPCUB_304000_NS3MaxENSH_8EqualityElEE10hipError_tPvRmT2_T3_T4_T5_mT6_T7_P12ihipStream_tbENKUlT_T0_E_clISt17integral_constantIbLb0EES10_EEDaSV_SW_EUlSV_E_NS1_11comp_targetILNS1_3genE10ELNS1_11target_archE1200ELNS1_3gpuE4ELNS1_3repE0EEENS1_30default_config_static_selectorELNS0_4arch9wavefront6targetE0EEEvT1_.has_indirect_call, 0
	.section	.AMDGPU.csdata,"",@progbits
; Kernel info:
; codeLenInByte = 0
; TotalNumSgprs: 0
; NumVgprs: 0
; ScratchSize: 0
; MemoryBound: 0
; FloatMode: 240
; IeeeMode: 1
; LDSByteSize: 0 bytes/workgroup (compile time only)
; SGPRBlocks: 0
; VGPRBlocks: 0
; NumSGPRsForWavesPerEU: 1
; NumVGPRsForWavesPerEU: 1
; Occupancy: 16
; WaveLimiterHint : 0
; COMPUTE_PGM_RSRC2:SCRATCH_EN: 0
; COMPUTE_PGM_RSRC2:USER_SGPR: 6
; COMPUTE_PGM_RSRC2:TRAP_HANDLER: 0
; COMPUTE_PGM_RSRC2:TGID_X_EN: 1
; COMPUTE_PGM_RSRC2:TGID_Y_EN: 0
; COMPUTE_PGM_RSRC2:TGID_Z_EN: 0
; COMPUTE_PGM_RSRC2:TIDIG_COMP_CNT: 0
	.section	.text._ZN7rocprim17ROCPRIM_400000_NS6detail17trampoline_kernelINS0_14default_configENS1_27scan_by_key_config_selectorIllEEZZNS1_16scan_by_key_implILNS1_25lookback_scan_determinismE0ELb0ES3_N6thrust23THRUST_200600_302600_NS16reverse_iteratorIPKlEESD_NSA_IPlEElN6hipcub16HIPCUB_304000_NS3MaxENSH_8EqualityElEE10hipError_tPvRmT2_T3_T4_T5_mT6_T7_P12ihipStream_tbENKUlT_T0_E_clISt17integral_constantIbLb0EES10_EEDaSV_SW_EUlSV_E_NS1_11comp_targetILNS1_3genE9ELNS1_11target_archE1100ELNS1_3gpuE3ELNS1_3repE0EEENS1_30default_config_static_selectorELNS0_4arch9wavefront6targetE0EEEvT1_,"axG",@progbits,_ZN7rocprim17ROCPRIM_400000_NS6detail17trampoline_kernelINS0_14default_configENS1_27scan_by_key_config_selectorIllEEZZNS1_16scan_by_key_implILNS1_25lookback_scan_determinismE0ELb0ES3_N6thrust23THRUST_200600_302600_NS16reverse_iteratorIPKlEESD_NSA_IPlEElN6hipcub16HIPCUB_304000_NS3MaxENSH_8EqualityElEE10hipError_tPvRmT2_T3_T4_T5_mT6_T7_P12ihipStream_tbENKUlT_T0_E_clISt17integral_constantIbLb0EES10_EEDaSV_SW_EUlSV_E_NS1_11comp_targetILNS1_3genE9ELNS1_11target_archE1100ELNS1_3gpuE3ELNS1_3repE0EEENS1_30default_config_static_selectorELNS0_4arch9wavefront6targetE0EEEvT1_,comdat
	.protected	_ZN7rocprim17ROCPRIM_400000_NS6detail17trampoline_kernelINS0_14default_configENS1_27scan_by_key_config_selectorIllEEZZNS1_16scan_by_key_implILNS1_25lookback_scan_determinismE0ELb0ES3_N6thrust23THRUST_200600_302600_NS16reverse_iteratorIPKlEESD_NSA_IPlEElN6hipcub16HIPCUB_304000_NS3MaxENSH_8EqualityElEE10hipError_tPvRmT2_T3_T4_T5_mT6_T7_P12ihipStream_tbENKUlT_T0_E_clISt17integral_constantIbLb0EES10_EEDaSV_SW_EUlSV_E_NS1_11comp_targetILNS1_3genE9ELNS1_11target_archE1100ELNS1_3gpuE3ELNS1_3repE0EEENS1_30default_config_static_selectorELNS0_4arch9wavefront6targetE0EEEvT1_ ; -- Begin function _ZN7rocprim17ROCPRIM_400000_NS6detail17trampoline_kernelINS0_14default_configENS1_27scan_by_key_config_selectorIllEEZZNS1_16scan_by_key_implILNS1_25lookback_scan_determinismE0ELb0ES3_N6thrust23THRUST_200600_302600_NS16reverse_iteratorIPKlEESD_NSA_IPlEElN6hipcub16HIPCUB_304000_NS3MaxENSH_8EqualityElEE10hipError_tPvRmT2_T3_T4_T5_mT6_T7_P12ihipStream_tbENKUlT_T0_E_clISt17integral_constantIbLb0EES10_EEDaSV_SW_EUlSV_E_NS1_11comp_targetILNS1_3genE9ELNS1_11target_archE1100ELNS1_3gpuE3ELNS1_3repE0EEENS1_30default_config_static_selectorELNS0_4arch9wavefront6targetE0EEEvT1_
	.globl	_ZN7rocprim17ROCPRIM_400000_NS6detail17trampoline_kernelINS0_14default_configENS1_27scan_by_key_config_selectorIllEEZZNS1_16scan_by_key_implILNS1_25lookback_scan_determinismE0ELb0ES3_N6thrust23THRUST_200600_302600_NS16reverse_iteratorIPKlEESD_NSA_IPlEElN6hipcub16HIPCUB_304000_NS3MaxENSH_8EqualityElEE10hipError_tPvRmT2_T3_T4_T5_mT6_T7_P12ihipStream_tbENKUlT_T0_E_clISt17integral_constantIbLb0EES10_EEDaSV_SW_EUlSV_E_NS1_11comp_targetILNS1_3genE9ELNS1_11target_archE1100ELNS1_3gpuE3ELNS1_3repE0EEENS1_30default_config_static_selectorELNS0_4arch9wavefront6targetE0EEEvT1_
	.p2align	8
	.type	_ZN7rocprim17ROCPRIM_400000_NS6detail17trampoline_kernelINS0_14default_configENS1_27scan_by_key_config_selectorIllEEZZNS1_16scan_by_key_implILNS1_25lookback_scan_determinismE0ELb0ES3_N6thrust23THRUST_200600_302600_NS16reverse_iteratorIPKlEESD_NSA_IPlEElN6hipcub16HIPCUB_304000_NS3MaxENSH_8EqualityElEE10hipError_tPvRmT2_T3_T4_T5_mT6_T7_P12ihipStream_tbENKUlT_T0_E_clISt17integral_constantIbLb0EES10_EEDaSV_SW_EUlSV_E_NS1_11comp_targetILNS1_3genE9ELNS1_11target_archE1100ELNS1_3gpuE3ELNS1_3repE0EEENS1_30default_config_static_selectorELNS0_4arch9wavefront6targetE0EEEvT1_,@function
_ZN7rocprim17ROCPRIM_400000_NS6detail17trampoline_kernelINS0_14default_configENS1_27scan_by_key_config_selectorIllEEZZNS1_16scan_by_key_implILNS1_25lookback_scan_determinismE0ELb0ES3_N6thrust23THRUST_200600_302600_NS16reverse_iteratorIPKlEESD_NSA_IPlEElN6hipcub16HIPCUB_304000_NS3MaxENSH_8EqualityElEE10hipError_tPvRmT2_T3_T4_T5_mT6_T7_P12ihipStream_tbENKUlT_T0_E_clISt17integral_constantIbLb0EES10_EEDaSV_SW_EUlSV_E_NS1_11comp_targetILNS1_3genE9ELNS1_11target_archE1100ELNS1_3gpuE3ELNS1_3repE0EEENS1_30default_config_static_selectorELNS0_4arch9wavefront6targetE0EEEvT1_: ; @_ZN7rocprim17ROCPRIM_400000_NS6detail17trampoline_kernelINS0_14default_configENS1_27scan_by_key_config_selectorIllEEZZNS1_16scan_by_key_implILNS1_25lookback_scan_determinismE0ELb0ES3_N6thrust23THRUST_200600_302600_NS16reverse_iteratorIPKlEESD_NSA_IPlEElN6hipcub16HIPCUB_304000_NS3MaxENSH_8EqualityElEE10hipError_tPvRmT2_T3_T4_T5_mT6_T7_P12ihipStream_tbENKUlT_T0_E_clISt17integral_constantIbLb0EES10_EEDaSV_SW_EUlSV_E_NS1_11comp_targetILNS1_3genE9ELNS1_11target_archE1100ELNS1_3gpuE3ELNS1_3repE0EEENS1_30default_config_static_selectorELNS0_4arch9wavefront6targetE0EEEvT1_
; %bb.0:
	.section	.rodata,"a",@progbits
	.p2align	6, 0x0
	.amdhsa_kernel _ZN7rocprim17ROCPRIM_400000_NS6detail17trampoline_kernelINS0_14default_configENS1_27scan_by_key_config_selectorIllEEZZNS1_16scan_by_key_implILNS1_25lookback_scan_determinismE0ELb0ES3_N6thrust23THRUST_200600_302600_NS16reverse_iteratorIPKlEESD_NSA_IPlEElN6hipcub16HIPCUB_304000_NS3MaxENSH_8EqualityElEE10hipError_tPvRmT2_T3_T4_T5_mT6_T7_P12ihipStream_tbENKUlT_T0_E_clISt17integral_constantIbLb0EES10_EEDaSV_SW_EUlSV_E_NS1_11comp_targetILNS1_3genE9ELNS1_11target_archE1100ELNS1_3gpuE3ELNS1_3repE0EEENS1_30default_config_static_selectorELNS0_4arch9wavefront6targetE0EEEvT1_
		.amdhsa_group_segment_fixed_size 0
		.amdhsa_private_segment_fixed_size 0
		.amdhsa_kernarg_size 136
		.amdhsa_user_sgpr_count 6
		.amdhsa_user_sgpr_private_segment_buffer 1
		.amdhsa_user_sgpr_dispatch_ptr 0
		.amdhsa_user_sgpr_queue_ptr 0
		.amdhsa_user_sgpr_kernarg_segment_ptr 1
		.amdhsa_user_sgpr_dispatch_id 0
		.amdhsa_user_sgpr_flat_scratch_init 0
		.amdhsa_user_sgpr_private_segment_size 0
		.amdhsa_wavefront_size32 1
		.amdhsa_uses_dynamic_stack 0
		.amdhsa_system_sgpr_private_segment_wavefront_offset 0
		.amdhsa_system_sgpr_workgroup_id_x 1
		.amdhsa_system_sgpr_workgroup_id_y 0
		.amdhsa_system_sgpr_workgroup_id_z 0
		.amdhsa_system_sgpr_workgroup_info 0
		.amdhsa_system_vgpr_workitem_id 0
		.amdhsa_next_free_vgpr 1
		.amdhsa_next_free_sgpr 1
		.amdhsa_reserve_vcc 0
		.amdhsa_reserve_flat_scratch 0
		.amdhsa_float_round_mode_32 0
		.amdhsa_float_round_mode_16_64 0
		.amdhsa_float_denorm_mode_32 3
		.amdhsa_float_denorm_mode_16_64 3
		.amdhsa_dx10_clamp 1
		.amdhsa_ieee_mode 1
		.amdhsa_fp16_overflow 0
		.amdhsa_workgroup_processor_mode 1
		.amdhsa_memory_ordered 1
		.amdhsa_forward_progress 1
		.amdhsa_shared_vgpr_count 0
		.amdhsa_exception_fp_ieee_invalid_op 0
		.amdhsa_exception_fp_denorm_src 0
		.amdhsa_exception_fp_ieee_div_zero 0
		.amdhsa_exception_fp_ieee_overflow 0
		.amdhsa_exception_fp_ieee_underflow 0
		.amdhsa_exception_fp_ieee_inexact 0
		.amdhsa_exception_int_div_zero 0
	.end_amdhsa_kernel
	.section	.text._ZN7rocprim17ROCPRIM_400000_NS6detail17trampoline_kernelINS0_14default_configENS1_27scan_by_key_config_selectorIllEEZZNS1_16scan_by_key_implILNS1_25lookback_scan_determinismE0ELb0ES3_N6thrust23THRUST_200600_302600_NS16reverse_iteratorIPKlEESD_NSA_IPlEElN6hipcub16HIPCUB_304000_NS3MaxENSH_8EqualityElEE10hipError_tPvRmT2_T3_T4_T5_mT6_T7_P12ihipStream_tbENKUlT_T0_E_clISt17integral_constantIbLb0EES10_EEDaSV_SW_EUlSV_E_NS1_11comp_targetILNS1_3genE9ELNS1_11target_archE1100ELNS1_3gpuE3ELNS1_3repE0EEENS1_30default_config_static_selectorELNS0_4arch9wavefront6targetE0EEEvT1_,"axG",@progbits,_ZN7rocprim17ROCPRIM_400000_NS6detail17trampoline_kernelINS0_14default_configENS1_27scan_by_key_config_selectorIllEEZZNS1_16scan_by_key_implILNS1_25lookback_scan_determinismE0ELb0ES3_N6thrust23THRUST_200600_302600_NS16reverse_iteratorIPKlEESD_NSA_IPlEElN6hipcub16HIPCUB_304000_NS3MaxENSH_8EqualityElEE10hipError_tPvRmT2_T3_T4_T5_mT6_T7_P12ihipStream_tbENKUlT_T0_E_clISt17integral_constantIbLb0EES10_EEDaSV_SW_EUlSV_E_NS1_11comp_targetILNS1_3genE9ELNS1_11target_archE1100ELNS1_3gpuE3ELNS1_3repE0EEENS1_30default_config_static_selectorELNS0_4arch9wavefront6targetE0EEEvT1_,comdat
.Lfunc_end144:
	.size	_ZN7rocprim17ROCPRIM_400000_NS6detail17trampoline_kernelINS0_14default_configENS1_27scan_by_key_config_selectorIllEEZZNS1_16scan_by_key_implILNS1_25lookback_scan_determinismE0ELb0ES3_N6thrust23THRUST_200600_302600_NS16reverse_iteratorIPKlEESD_NSA_IPlEElN6hipcub16HIPCUB_304000_NS3MaxENSH_8EqualityElEE10hipError_tPvRmT2_T3_T4_T5_mT6_T7_P12ihipStream_tbENKUlT_T0_E_clISt17integral_constantIbLb0EES10_EEDaSV_SW_EUlSV_E_NS1_11comp_targetILNS1_3genE9ELNS1_11target_archE1100ELNS1_3gpuE3ELNS1_3repE0EEENS1_30default_config_static_selectorELNS0_4arch9wavefront6targetE0EEEvT1_, .Lfunc_end144-_ZN7rocprim17ROCPRIM_400000_NS6detail17trampoline_kernelINS0_14default_configENS1_27scan_by_key_config_selectorIllEEZZNS1_16scan_by_key_implILNS1_25lookback_scan_determinismE0ELb0ES3_N6thrust23THRUST_200600_302600_NS16reverse_iteratorIPKlEESD_NSA_IPlEElN6hipcub16HIPCUB_304000_NS3MaxENSH_8EqualityElEE10hipError_tPvRmT2_T3_T4_T5_mT6_T7_P12ihipStream_tbENKUlT_T0_E_clISt17integral_constantIbLb0EES10_EEDaSV_SW_EUlSV_E_NS1_11comp_targetILNS1_3genE9ELNS1_11target_archE1100ELNS1_3gpuE3ELNS1_3repE0EEENS1_30default_config_static_selectorELNS0_4arch9wavefront6targetE0EEEvT1_
                                        ; -- End function
	.set _ZN7rocprim17ROCPRIM_400000_NS6detail17trampoline_kernelINS0_14default_configENS1_27scan_by_key_config_selectorIllEEZZNS1_16scan_by_key_implILNS1_25lookback_scan_determinismE0ELb0ES3_N6thrust23THRUST_200600_302600_NS16reverse_iteratorIPKlEESD_NSA_IPlEElN6hipcub16HIPCUB_304000_NS3MaxENSH_8EqualityElEE10hipError_tPvRmT2_T3_T4_T5_mT6_T7_P12ihipStream_tbENKUlT_T0_E_clISt17integral_constantIbLb0EES10_EEDaSV_SW_EUlSV_E_NS1_11comp_targetILNS1_3genE9ELNS1_11target_archE1100ELNS1_3gpuE3ELNS1_3repE0EEENS1_30default_config_static_selectorELNS0_4arch9wavefront6targetE0EEEvT1_.num_vgpr, 0
	.set _ZN7rocprim17ROCPRIM_400000_NS6detail17trampoline_kernelINS0_14default_configENS1_27scan_by_key_config_selectorIllEEZZNS1_16scan_by_key_implILNS1_25lookback_scan_determinismE0ELb0ES3_N6thrust23THRUST_200600_302600_NS16reverse_iteratorIPKlEESD_NSA_IPlEElN6hipcub16HIPCUB_304000_NS3MaxENSH_8EqualityElEE10hipError_tPvRmT2_T3_T4_T5_mT6_T7_P12ihipStream_tbENKUlT_T0_E_clISt17integral_constantIbLb0EES10_EEDaSV_SW_EUlSV_E_NS1_11comp_targetILNS1_3genE9ELNS1_11target_archE1100ELNS1_3gpuE3ELNS1_3repE0EEENS1_30default_config_static_selectorELNS0_4arch9wavefront6targetE0EEEvT1_.num_agpr, 0
	.set _ZN7rocprim17ROCPRIM_400000_NS6detail17trampoline_kernelINS0_14default_configENS1_27scan_by_key_config_selectorIllEEZZNS1_16scan_by_key_implILNS1_25lookback_scan_determinismE0ELb0ES3_N6thrust23THRUST_200600_302600_NS16reverse_iteratorIPKlEESD_NSA_IPlEElN6hipcub16HIPCUB_304000_NS3MaxENSH_8EqualityElEE10hipError_tPvRmT2_T3_T4_T5_mT6_T7_P12ihipStream_tbENKUlT_T0_E_clISt17integral_constantIbLb0EES10_EEDaSV_SW_EUlSV_E_NS1_11comp_targetILNS1_3genE9ELNS1_11target_archE1100ELNS1_3gpuE3ELNS1_3repE0EEENS1_30default_config_static_selectorELNS0_4arch9wavefront6targetE0EEEvT1_.numbered_sgpr, 0
	.set _ZN7rocprim17ROCPRIM_400000_NS6detail17trampoline_kernelINS0_14default_configENS1_27scan_by_key_config_selectorIllEEZZNS1_16scan_by_key_implILNS1_25lookback_scan_determinismE0ELb0ES3_N6thrust23THRUST_200600_302600_NS16reverse_iteratorIPKlEESD_NSA_IPlEElN6hipcub16HIPCUB_304000_NS3MaxENSH_8EqualityElEE10hipError_tPvRmT2_T3_T4_T5_mT6_T7_P12ihipStream_tbENKUlT_T0_E_clISt17integral_constantIbLb0EES10_EEDaSV_SW_EUlSV_E_NS1_11comp_targetILNS1_3genE9ELNS1_11target_archE1100ELNS1_3gpuE3ELNS1_3repE0EEENS1_30default_config_static_selectorELNS0_4arch9wavefront6targetE0EEEvT1_.num_named_barrier, 0
	.set _ZN7rocprim17ROCPRIM_400000_NS6detail17trampoline_kernelINS0_14default_configENS1_27scan_by_key_config_selectorIllEEZZNS1_16scan_by_key_implILNS1_25lookback_scan_determinismE0ELb0ES3_N6thrust23THRUST_200600_302600_NS16reverse_iteratorIPKlEESD_NSA_IPlEElN6hipcub16HIPCUB_304000_NS3MaxENSH_8EqualityElEE10hipError_tPvRmT2_T3_T4_T5_mT6_T7_P12ihipStream_tbENKUlT_T0_E_clISt17integral_constantIbLb0EES10_EEDaSV_SW_EUlSV_E_NS1_11comp_targetILNS1_3genE9ELNS1_11target_archE1100ELNS1_3gpuE3ELNS1_3repE0EEENS1_30default_config_static_selectorELNS0_4arch9wavefront6targetE0EEEvT1_.private_seg_size, 0
	.set _ZN7rocprim17ROCPRIM_400000_NS6detail17trampoline_kernelINS0_14default_configENS1_27scan_by_key_config_selectorIllEEZZNS1_16scan_by_key_implILNS1_25lookback_scan_determinismE0ELb0ES3_N6thrust23THRUST_200600_302600_NS16reverse_iteratorIPKlEESD_NSA_IPlEElN6hipcub16HIPCUB_304000_NS3MaxENSH_8EqualityElEE10hipError_tPvRmT2_T3_T4_T5_mT6_T7_P12ihipStream_tbENKUlT_T0_E_clISt17integral_constantIbLb0EES10_EEDaSV_SW_EUlSV_E_NS1_11comp_targetILNS1_3genE9ELNS1_11target_archE1100ELNS1_3gpuE3ELNS1_3repE0EEENS1_30default_config_static_selectorELNS0_4arch9wavefront6targetE0EEEvT1_.uses_vcc, 0
	.set _ZN7rocprim17ROCPRIM_400000_NS6detail17trampoline_kernelINS0_14default_configENS1_27scan_by_key_config_selectorIllEEZZNS1_16scan_by_key_implILNS1_25lookback_scan_determinismE0ELb0ES3_N6thrust23THRUST_200600_302600_NS16reverse_iteratorIPKlEESD_NSA_IPlEElN6hipcub16HIPCUB_304000_NS3MaxENSH_8EqualityElEE10hipError_tPvRmT2_T3_T4_T5_mT6_T7_P12ihipStream_tbENKUlT_T0_E_clISt17integral_constantIbLb0EES10_EEDaSV_SW_EUlSV_E_NS1_11comp_targetILNS1_3genE9ELNS1_11target_archE1100ELNS1_3gpuE3ELNS1_3repE0EEENS1_30default_config_static_selectorELNS0_4arch9wavefront6targetE0EEEvT1_.uses_flat_scratch, 0
	.set _ZN7rocprim17ROCPRIM_400000_NS6detail17trampoline_kernelINS0_14default_configENS1_27scan_by_key_config_selectorIllEEZZNS1_16scan_by_key_implILNS1_25lookback_scan_determinismE0ELb0ES3_N6thrust23THRUST_200600_302600_NS16reverse_iteratorIPKlEESD_NSA_IPlEElN6hipcub16HIPCUB_304000_NS3MaxENSH_8EqualityElEE10hipError_tPvRmT2_T3_T4_T5_mT6_T7_P12ihipStream_tbENKUlT_T0_E_clISt17integral_constantIbLb0EES10_EEDaSV_SW_EUlSV_E_NS1_11comp_targetILNS1_3genE9ELNS1_11target_archE1100ELNS1_3gpuE3ELNS1_3repE0EEENS1_30default_config_static_selectorELNS0_4arch9wavefront6targetE0EEEvT1_.has_dyn_sized_stack, 0
	.set _ZN7rocprim17ROCPRIM_400000_NS6detail17trampoline_kernelINS0_14default_configENS1_27scan_by_key_config_selectorIllEEZZNS1_16scan_by_key_implILNS1_25lookback_scan_determinismE0ELb0ES3_N6thrust23THRUST_200600_302600_NS16reverse_iteratorIPKlEESD_NSA_IPlEElN6hipcub16HIPCUB_304000_NS3MaxENSH_8EqualityElEE10hipError_tPvRmT2_T3_T4_T5_mT6_T7_P12ihipStream_tbENKUlT_T0_E_clISt17integral_constantIbLb0EES10_EEDaSV_SW_EUlSV_E_NS1_11comp_targetILNS1_3genE9ELNS1_11target_archE1100ELNS1_3gpuE3ELNS1_3repE0EEENS1_30default_config_static_selectorELNS0_4arch9wavefront6targetE0EEEvT1_.has_recursion, 0
	.set _ZN7rocprim17ROCPRIM_400000_NS6detail17trampoline_kernelINS0_14default_configENS1_27scan_by_key_config_selectorIllEEZZNS1_16scan_by_key_implILNS1_25lookback_scan_determinismE0ELb0ES3_N6thrust23THRUST_200600_302600_NS16reverse_iteratorIPKlEESD_NSA_IPlEElN6hipcub16HIPCUB_304000_NS3MaxENSH_8EqualityElEE10hipError_tPvRmT2_T3_T4_T5_mT6_T7_P12ihipStream_tbENKUlT_T0_E_clISt17integral_constantIbLb0EES10_EEDaSV_SW_EUlSV_E_NS1_11comp_targetILNS1_3genE9ELNS1_11target_archE1100ELNS1_3gpuE3ELNS1_3repE0EEENS1_30default_config_static_selectorELNS0_4arch9wavefront6targetE0EEEvT1_.has_indirect_call, 0
	.section	.AMDGPU.csdata,"",@progbits
; Kernel info:
; codeLenInByte = 0
; TotalNumSgprs: 0
; NumVgprs: 0
; ScratchSize: 0
; MemoryBound: 0
; FloatMode: 240
; IeeeMode: 1
; LDSByteSize: 0 bytes/workgroup (compile time only)
; SGPRBlocks: 0
; VGPRBlocks: 0
; NumSGPRsForWavesPerEU: 1
; NumVGPRsForWavesPerEU: 1
; Occupancy: 16
; WaveLimiterHint : 0
; COMPUTE_PGM_RSRC2:SCRATCH_EN: 0
; COMPUTE_PGM_RSRC2:USER_SGPR: 6
; COMPUTE_PGM_RSRC2:TRAP_HANDLER: 0
; COMPUTE_PGM_RSRC2:TGID_X_EN: 1
; COMPUTE_PGM_RSRC2:TGID_Y_EN: 0
; COMPUTE_PGM_RSRC2:TGID_Z_EN: 0
; COMPUTE_PGM_RSRC2:TIDIG_COMP_CNT: 0
	.section	.text._ZN7rocprim17ROCPRIM_400000_NS6detail17trampoline_kernelINS0_14default_configENS1_27scan_by_key_config_selectorIllEEZZNS1_16scan_by_key_implILNS1_25lookback_scan_determinismE0ELb0ES3_N6thrust23THRUST_200600_302600_NS16reverse_iteratorIPKlEESD_NSA_IPlEElN6hipcub16HIPCUB_304000_NS3MaxENSH_8EqualityElEE10hipError_tPvRmT2_T3_T4_T5_mT6_T7_P12ihipStream_tbENKUlT_T0_E_clISt17integral_constantIbLb0EES10_EEDaSV_SW_EUlSV_E_NS1_11comp_targetILNS1_3genE8ELNS1_11target_archE1030ELNS1_3gpuE2ELNS1_3repE0EEENS1_30default_config_static_selectorELNS0_4arch9wavefront6targetE0EEEvT1_,"axG",@progbits,_ZN7rocprim17ROCPRIM_400000_NS6detail17trampoline_kernelINS0_14default_configENS1_27scan_by_key_config_selectorIllEEZZNS1_16scan_by_key_implILNS1_25lookback_scan_determinismE0ELb0ES3_N6thrust23THRUST_200600_302600_NS16reverse_iteratorIPKlEESD_NSA_IPlEElN6hipcub16HIPCUB_304000_NS3MaxENSH_8EqualityElEE10hipError_tPvRmT2_T3_T4_T5_mT6_T7_P12ihipStream_tbENKUlT_T0_E_clISt17integral_constantIbLb0EES10_EEDaSV_SW_EUlSV_E_NS1_11comp_targetILNS1_3genE8ELNS1_11target_archE1030ELNS1_3gpuE2ELNS1_3repE0EEENS1_30default_config_static_selectorELNS0_4arch9wavefront6targetE0EEEvT1_,comdat
	.protected	_ZN7rocprim17ROCPRIM_400000_NS6detail17trampoline_kernelINS0_14default_configENS1_27scan_by_key_config_selectorIllEEZZNS1_16scan_by_key_implILNS1_25lookback_scan_determinismE0ELb0ES3_N6thrust23THRUST_200600_302600_NS16reverse_iteratorIPKlEESD_NSA_IPlEElN6hipcub16HIPCUB_304000_NS3MaxENSH_8EqualityElEE10hipError_tPvRmT2_T3_T4_T5_mT6_T7_P12ihipStream_tbENKUlT_T0_E_clISt17integral_constantIbLb0EES10_EEDaSV_SW_EUlSV_E_NS1_11comp_targetILNS1_3genE8ELNS1_11target_archE1030ELNS1_3gpuE2ELNS1_3repE0EEENS1_30default_config_static_selectorELNS0_4arch9wavefront6targetE0EEEvT1_ ; -- Begin function _ZN7rocprim17ROCPRIM_400000_NS6detail17trampoline_kernelINS0_14default_configENS1_27scan_by_key_config_selectorIllEEZZNS1_16scan_by_key_implILNS1_25lookback_scan_determinismE0ELb0ES3_N6thrust23THRUST_200600_302600_NS16reverse_iteratorIPKlEESD_NSA_IPlEElN6hipcub16HIPCUB_304000_NS3MaxENSH_8EqualityElEE10hipError_tPvRmT2_T3_T4_T5_mT6_T7_P12ihipStream_tbENKUlT_T0_E_clISt17integral_constantIbLb0EES10_EEDaSV_SW_EUlSV_E_NS1_11comp_targetILNS1_3genE8ELNS1_11target_archE1030ELNS1_3gpuE2ELNS1_3repE0EEENS1_30default_config_static_selectorELNS0_4arch9wavefront6targetE0EEEvT1_
	.globl	_ZN7rocprim17ROCPRIM_400000_NS6detail17trampoline_kernelINS0_14default_configENS1_27scan_by_key_config_selectorIllEEZZNS1_16scan_by_key_implILNS1_25lookback_scan_determinismE0ELb0ES3_N6thrust23THRUST_200600_302600_NS16reverse_iteratorIPKlEESD_NSA_IPlEElN6hipcub16HIPCUB_304000_NS3MaxENSH_8EqualityElEE10hipError_tPvRmT2_T3_T4_T5_mT6_T7_P12ihipStream_tbENKUlT_T0_E_clISt17integral_constantIbLb0EES10_EEDaSV_SW_EUlSV_E_NS1_11comp_targetILNS1_3genE8ELNS1_11target_archE1030ELNS1_3gpuE2ELNS1_3repE0EEENS1_30default_config_static_selectorELNS0_4arch9wavefront6targetE0EEEvT1_
	.p2align	8
	.type	_ZN7rocprim17ROCPRIM_400000_NS6detail17trampoline_kernelINS0_14default_configENS1_27scan_by_key_config_selectorIllEEZZNS1_16scan_by_key_implILNS1_25lookback_scan_determinismE0ELb0ES3_N6thrust23THRUST_200600_302600_NS16reverse_iteratorIPKlEESD_NSA_IPlEElN6hipcub16HIPCUB_304000_NS3MaxENSH_8EqualityElEE10hipError_tPvRmT2_T3_T4_T5_mT6_T7_P12ihipStream_tbENKUlT_T0_E_clISt17integral_constantIbLb0EES10_EEDaSV_SW_EUlSV_E_NS1_11comp_targetILNS1_3genE8ELNS1_11target_archE1030ELNS1_3gpuE2ELNS1_3repE0EEENS1_30default_config_static_selectorELNS0_4arch9wavefront6targetE0EEEvT1_,@function
_ZN7rocprim17ROCPRIM_400000_NS6detail17trampoline_kernelINS0_14default_configENS1_27scan_by_key_config_selectorIllEEZZNS1_16scan_by_key_implILNS1_25lookback_scan_determinismE0ELb0ES3_N6thrust23THRUST_200600_302600_NS16reverse_iteratorIPKlEESD_NSA_IPlEElN6hipcub16HIPCUB_304000_NS3MaxENSH_8EqualityElEE10hipError_tPvRmT2_T3_T4_T5_mT6_T7_P12ihipStream_tbENKUlT_T0_E_clISt17integral_constantIbLb0EES10_EEDaSV_SW_EUlSV_E_NS1_11comp_targetILNS1_3genE8ELNS1_11target_archE1030ELNS1_3gpuE2ELNS1_3repE0EEENS1_30default_config_static_selectorELNS0_4arch9wavefront6targetE0EEEvT1_: ; @_ZN7rocprim17ROCPRIM_400000_NS6detail17trampoline_kernelINS0_14default_configENS1_27scan_by_key_config_selectorIllEEZZNS1_16scan_by_key_implILNS1_25lookback_scan_determinismE0ELb0ES3_N6thrust23THRUST_200600_302600_NS16reverse_iteratorIPKlEESD_NSA_IPlEElN6hipcub16HIPCUB_304000_NS3MaxENSH_8EqualityElEE10hipError_tPvRmT2_T3_T4_T5_mT6_T7_P12ihipStream_tbENKUlT_T0_E_clISt17integral_constantIbLb0EES10_EEDaSV_SW_EUlSV_E_NS1_11comp_targetILNS1_3genE8ELNS1_11target_archE1030ELNS1_3gpuE2ELNS1_3repE0EEENS1_30default_config_static_selectorELNS0_4arch9wavefront6targetE0EEEvT1_
; %bb.0:
	s_clause 0x4
	s_load_dwordx8 s[12:19], s[4:5], 0x0
	s_load_dwordx2 s[34:35], s[4:5], 0x50
	s_load_dword s7, s[4:5], 0x58
	s_load_dwordx8 s[36:43], s[4:5], 0x60
	s_load_dwordx8 s[20:27], s[4:5], 0x30
	s_mov_b32 s1, 0
	s_waitcnt lgkmcnt(0)
	s_barrier
	buffer_gl0_inv
	s_sub_u32 s28, 0, s14
	s_subb_u32 s29, 0, s15
	s_lshl_b64 s[2:3], s[14:15], 3
	s_mul_i32 s0, s35, s7
	s_sub_u32 s5, s12, s2
	s_mul_hi_u32 s4, s34, s7
	s_subb_u32 s8, s13, s3
	s_sub_u32 s9, s16, s2
	s_subb_u32 s10, s17, s3
	s_add_i32 s4, s4, s0
	s_cmp_eq_u64 s[40:41], 0
	s_mul_i32 s0, s6, 0xd00
	s_cselect_b32 s40, -1, 0
	s_sub_u32 s30, 0, s0
	s_subb_u32 s31, 0, 0
	s_lshl_b64 s[2:3], s[0:1], 3
	s_mul_i32 s0, s34, s7
	s_sub_u32 s41, s5, s2
	s_subb_u32 s44, s8, s3
	s_sub_u32 s16, s9, s2
	s_subb_u32 s33, s10, s3
	s_add_u32 s14, s0, s6
	s_addc_u32 s15, s4, 0
	s_add_u32 s2, s36, -1
	s_addc_u32 s3, s37, -1
	s_mul_i32 s27, s2, 0xfffff300
	v_cmp_ge_u64_e64 s17, s[14:15], s[2:3]
	s_and_b32 vcc_lo, exec_lo, s17
	s_cbranch_vccz .LBB145_41
; %bb.1:
	v_add_co_u32 v1, s0, -8, s41
	v_add_co_ci_u32_e64 v2, null, -1, s44, s0
	s_add_i32 s45, s27, s26
	s_add_u32 s36, s41, -8
	v_cmp_gt_u32_e32 vcc_lo, s45, v0
	flat_load_dwordx2 v[1:2], v[1:2]
	s_addc_u32 s37, s44, -1
	s_waitcnt vmcnt(0) lgkmcnt(0)
	v_mov_b32_e32 v4, v2
	v_mov_b32_e32 v3, v1
	s_and_saveexec_b32 s1, vcc_lo
	s_cbranch_execz .LBB145_3
; %bb.2:
	v_lshlrev_b32_e32 v3, 3, v0
	v_sub_co_u32 v3, s0, s41, v3
	v_sub_co_ci_u32_e64 v4, null, s44, 0, s0
	v_add_co_u32 v3, s0, -8, v3
	v_add_co_ci_u32_e64 v4, null, -1, v4, s0
	flat_load_dwordx2 v[3:4], v[3:4]
.LBB145_3:
	s_or_b32 exec_lo, exec_lo, s1
	v_or_b32_e32 v5, 0x100, v0
	v_cmp_gt_u32_e64 s0, s45, v5
	v_lshlrev_b32_e32 v27, 3, v5
	v_mov_b32_e32 v6, v2
	v_mov_b32_e32 v5, v1
	s_and_saveexec_b32 s2, s0
	s_cbranch_execz .LBB145_5
; %bb.4:
	v_sub_co_u32 v5, s1, s41, v27
	v_sub_co_ci_u32_e64 v6, null, s44, 0, s1
	v_add_co_u32 v5, s1, -8, v5
	v_add_co_ci_u32_e64 v6, null, -1, v6, s1
	flat_load_dwordx2 v[5:6], v[5:6]
.LBB145_5:
	s_or_b32 exec_lo, exec_lo, s2
	v_or_b32_e32 v7, 0x200, v0
	v_cmp_gt_u32_e64 s1, s45, v7
	v_lshlrev_b32_e32 v28, 3, v7
	v_mov_b32_e32 v8, v2
	v_mov_b32_e32 v7, v1
	s_and_saveexec_b32 s3, s1
	s_cbranch_execz .LBB145_7
; %bb.6:
	v_sub_co_u32 v7, s2, s41, v28
	v_sub_co_ci_u32_e64 v8, null, s44, 0, s2
	v_add_co_u32 v7, s2, -8, v7
	v_add_co_ci_u32_e64 v8, null, -1, v8, s2
	flat_load_dwordx2 v[7:8], v[7:8]
.LBB145_7:
	;; [unrolled: 15-line block ×11, first 2 shown]
	s_or_b32 exec_lo, exec_lo, s13
	v_or_b32_e32 v38, 0xc00, v0
	v_cmp_gt_u32_e64 s12, s45, v38
	v_lshlrev_b32_e32 v38, 3, v38
	s_and_saveexec_b32 s46, s12
	s_cbranch_execz .LBB145_27
; %bb.26:
	v_sub_co_u32 v1, s13, s41, v38
	v_sub_co_ci_u32_e64 v2, null, s44, 0, s13
	v_add_co_u32 v1, s13, -8, v1
	v_add_co_ci_u32_e64 v2, null, -1, v2, s13
	flat_load_dwordx2 v[1:2], v[1:2]
.LBB145_27:
	s_or_b32 exec_lo, exec_lo, s46
	s_lshl_b64 s[46:47], s[14:15], 3
	v_lshlrev_b32_e32 v39, 3, v0
	s_add_u32 s13, s42, s46
	s_addc_u32 s46, s43, s47
	s_add_u32 s13, s13, -8
	s_addc_u32 s46, s46, -1
	s_and_b32 s47, s40, exec_lo
	s_cselect_b32 s13, s41, s13
	s_cselect_b32 s46, s44, s46
	s_cmp_eq_u64 s[14:15], 0
	s_waitcnt vmcnt(0) lgkmcnt(0)
	ds_write2st64_b64 v39, v[3:4], v[5:6] offset1:4
	ds_write2st64_b64 v39, v[7:8], v[9:10] offset0:8 offset1:12
	ds_write2st64_b64 v39, v[11:12], v[13:14] offset0:16 offset1:20
	;; [unrolled: 1-line block ×4, first 2 shown]
	s_cselect_b32 s13, s36, s13
	s_cselect_b32 s36, s37, s46
	v_mov_b32_e32 v3, s13
	v_mov_b32_e32 v4, s36
	ds_write2st64_b64 v39, v[23:24], v[25:26] offset0:40 offset1:44
	ds_write_b64 v39, v[1:2] offset:24576
	s_waitcnt lgkmcnt(0)
	s_barrier
	buffer_gl0_inv
	flat_load_dwordx2 v[11:12], v[3:4]
	v_mad_u32_u24 v95, 0x60, v0, v39
	ds_read2_b64 v[67:70], v95 offset1:1
	ds_read2_b64 v[63:66], v95 offset0:2 offset1:3
	ds_read_b64 v[73:74], v95 offset:96
	ds_read2_b64 v[59:62], v95 offset0:4 offset1:5
	ds_read2_b64 v[55:58], v95 offset0:6 offset1:7
	;; [unrolled: 1-line block ×4, first 2 shown]
	v_mad_i32_i24 v1, 0xffffffa0, v0, v95
	s_mov_b32 s36, exec_lo
	s_waitcnt lgkmcnt(4)
	ds_write_b64 v1, v[73:74] offset:26624
	s_waitcnt vmcnt(0) lgkmcnt(0)
	s_barrier
	buffer_gl0_inv
	v_cmpx_ne_u32_e32 0, v0
; %bb.28:
	v_mul_i32_i24_e32 v1, 0xffffffa0, v0
	v_add_nc_u32_e32 v1, v95, v1
	ds_read_b64 v[11:12], v1 offset:26616
; %bb.29:
	s_or_b32 exec_lo, exec_lo, s36
	s_waitcnt lgkmcnt(0)
	s_barrier
	buffer_gl0_inv
                                        ; implicit-def: $vgpr1_vgpr2
	s_and_saveexec_b32 s13, vcc_lo
	s_cbranch_execz .LBB145_42
; %bb.30:
	v_sub_co_u32 v1, s36, s16, v39
	v_sub_co_ci_u32_e64 v2, null, s33, 0, s36
	v_add_co_u32 v1, vcc_lo, -8, v1
	v_add_co_ci_u32_e64 v2, null, -1, v2, vcc_lo
	flat_load_dwordx2 v[1:2], v[1:2]
	s_or_b32 exec_lo, exec_lo, s13
                                        ; implicit-def: $vgpr3_vgpr4
	s_and_saveexec_b32 s13, s0
	s_cbranch_execnz .LBB145_43
.LBB145_31:
	s_or_b32 exec_lo, exec_lo, s13
                                        ; implicit-def: $vgpr5_vgpr6
	s_and_saveexec_b32 s0, s1
	s_cbranch_execz .LBB145_44
.LBB145_32:
	v_sub_co_u32 v5, s1, s16, v28
	v_sub_co_ci_u32_e64 v6, null, s33, 0, s1
	v_add_co_u32 v5, vcc_lo, -8, v5
	v_add_co_ci_u32_e64 v6, null, -1, v6, vcc_lo
	flat_load_dwordx2 v[5:6], v[5:6]
	s_or_b32 exec_lo, exec_lo, s0
                                        ; implicit-def: $vgpr7_vgpr8
	s_and_saveexec_b32 s0, s2
	s_cbranch_execnz .LBB145_45
.LBB145_33:
	s_or_b32 exec_lo, exec_lo, s0
                                        ; implicit-def: $vgpr9_vgpr10
	s_and_saveexec_b32 s0, s3
	s_cbranch_execz .LBB145_46
.LBB145_34:
	v_sub_co_u32 v9, s1, s16, v30
	v_sub_co_ci_u32_e64 v10, null, s33, 0, s1
	v_add_co_u32 v9, vcc_lo, -8, v9
	v_add_co_ci_u32_e64 v10, null, -1, v10, vcc_lo
	flat_load_dwordx2 v[9:10], v[9:10]
	s_or_b32 exec_lo, exec_lo, s0
                                        ; implicit-def: $vgpr13_vgpr14
	s_and_saveexec_b32 s0, s4
	s_cbranch_execnz .LBB145_47
.LBB145_35:
	s_or_b32 exec_lo, exec_lo, s0
                                        ; implicit-def: $vgpr15_vgpr16
	s_and_saveexec_b32 s0, s5
	s_cbranch_execz .LBB145_48
.LBB145_36:
	v_sub_co_u32 v15, s1, s16, v32
	v_sub_co_ci_u32_e64 v16, null, s33, 0, s1
	v_add_co_u32 v15, vcc_lo, -8, v15
	v_add_co_ci_u32_e64 v16, null, -1, v16, vcc_lo
	flat_load_dwordx2 v[15:16], v[15:16]
	s_or_b32 exec_lo, exec_lo, s0
                                        ; implicit-def: $vgpr17_vgpr18
	s_and_saveexec_b32 s0, s7
	s_cbranch_execnz .LBB145_49
.LBB145_37:
	s_or_b32 exec_lo, exec_lo, s0
                                        ; implicit-def: $vgpr19_vgpr20
	s_and_saveexec_b32 s0, s8
	s_cbranch_execz .LBB145_50
.LBB145_38:
	v_sub_co_u32 v19, s1, s16, v34
	v_sub_co_ci_u32_e64 v20, null, s33, 0, s1
	v_add_co_u32 v19, vcc_lo, -8, v19
	v_add_co_ci_u32_e64 v20, null, -1, v20, vcc_lo
	flat_load_dwordx2 v[19:20], v[19:20]
	s_or_b32 exec_lo, exec_lo, s0
                                        ; implicit-def: $vgpr21_vgpr22
	s_and_saveexec_b32 s0, s9
	s_cbranch_execnz .LBB145_51
.LBB145_39:
	s_or_b32 exec_lo, exec_lo, s0
                                        ; implicit-def: $vgpr23_vgpr24
	s_and_saveexec_b32 s0, s10
	s_cbranch_execz .LBB145_52
.LBB145_40:
	v_sub_co_u32 v23, s1, s16, v36
	v_sub_co_ci_u32_e64 v24, null, s33, 0, s1
	v_add_co_u32 v23, vcc_lo, -8, v23
	v_add_co_ci_u32_e64 v24, null, -1, v24, vcc_lo
	flat_load_dwordx2 v[23:24], v[23:24]
	s_or_b32 exec_lo, exec_lo, s0
                                        ; implicit-def: $vgpr25_vgpr26
	s_and_saveexec_b32 s0, s11
	s_cbranch_execz .LBB145_54
	s_branch .LBB145_53
.LBB145_41:
                                        ; implicit-def: $sgpr36
                                        ; implicit-def: $vgpr37_vgpr38
                                        ; implicit-def: $vgpr87
                                        ; implicit-def: $vgpr5_vgpr6
                                        ; implicit-def: $vgpr88
                                        ; implicit-def: $vgpr31_vgpr32
                                        ; implicit-def: $vgpr89
                                        ; implicit-def: $vgpr90
                                        ; implicit-def: $vgpr35_vgpr36
                                        ; implicit-def: $vgpr91
                                        ; implicit-def: $vgpr92
                                        ; implicit-def: $vgpr41_vgpr42
                                        ; implicit-def: $vgpr93
                                        ; implicit-def: $vgpr94
                                        ; implicit-def: $vgpr49_vgpr50
                                        ; implicit-def: $vgpr96
                                        ; implicit-def: $vgpr97
                                        ; implicit-def: $vgpr3_vgpr4
                                        ; implicit-def: $vgpr99
                                        ; implicit-def: $vgpr75
                                        ; implicit-def: $vgpr77
                                        ; implicit-def: $vgpr71_vgpr72
                                        ; implicit-def: $vgpr76
                                        ; implicit-def: $vgpr21_vgpr22
                                        ; implicit-def: $vgpr78
                                        ; implicit-def: $vgpr23_vgpr24
                                        ; implicit-def: $vgpr79
                                        ; implicit-def: $vgpr25_vgpr26
                                        ; implicit-def: $vgpr80
                                        ; implicit-def: $vgpr27_vgpr28
                                        ; implicit-def: $vgpr82
                                        ; implicit-def: $vgpr17_vgpr18
                                        ; implicit-def: $vgpr83
                                        ; implicit-def: $vgpr19_vgpr20
                                        ; implicit-def: $vgpr84
                                        ; implicit-def: $vgpr13_vgpr14
                                        ; implicit-def: $vgpr85
                                        ; implicit-def: $vgpr15_vgpr16
                                        ; implicit-def: $vgpr86
                                        ; implicit-def: $vgpr9_vgpr10
                                        ; implicit-def: $vgpr81
	v_lshlrev_b32_e32 v55, 3, v0
	v_cmp_ne_u32_e64 s0, 0, v0
	s_cbranch_execz .LBB145_84
	s_branch .LBB145_81
.LBB145_42:
	s_or_b32 exec_lo, exec_lo, s13
                                        ; implicit-def: $vgpr3_vgpr4
	s_and_saveexec_b32 s13, s0
	s_cbranch_execz .LBB145_31
.LBB145_43:
	v_sub_co_u32 v3, s0, s16, v27
	v_sub_co_ci_u32_e64 v4, null, s33, 0, s0
	v_add_co_u32 v3, vcc_lo, -8, v3
	v_add_co_ci_u32_e64 v4, null, -1, v4, vcc_lo
	flat_load_dwordx2 v[3:4], v[3:4]
	s_or_b32 exec_lo, exec_lo, s13
                                        ; implicit-def: $vgpr5_vgpr6
	s_and_saveexec_b32 s0, s1
	s_cbranch_execnz .LBB145_32
.LBB145_44:
	s_or_b32 exec_lo, exec_lo, s0
                                        ; implicit-def: $vgpr7_vgpr8
	s_and_saveexec_b32 s0, s2
	s_cbranch_execz .LBB145_33
.LBB145_45:
	v_sub_co_u32 v7, s1, s16, v29
	v_sub_co_ci_u32_e64 v8, null, s33, 0, s1
	v_add_co_u32 v7, vcc_lo, -8, v7
	v_add_co_ci_u32_e64 v8, null, -1, v8, vcc_lo
	flat_load_dwordx2 v[7:8], v[7:8]
	s_or_b32 exec_lo, exec_lo, s0
                                        ; implicit-def: $vgpr9_vgpr10
	s_and_saveexec_b32 s0, s3
	s_cbranch_execnz .LBB145_34
.LBB145_46:
	s_or_b32 exec_lo, exec_lo, s0
                                        ; implicit-def: $vgpr13_vgpr14
	s_and_saveexec_b32 s0, s4
	s_cbranch_execz .LBB145_35
.LBB145_47:
	v_sub_co_u32 v13, s1, s16, v31
	v_sub_co_ci_u32_e64 v14, null, s33, 0, s1
	v_add_co_u32 v13, vcc_lo, -8, v13
	v_add_co_ci_u32_e64 v14, null, -1, v14, vcc_lo
	flat_load_dwordx2 v[13:14], v[13:14]
	s_or_b32 exec_lo, exec_lo, s0
                                        ; implicit-def: $vgpr15_vgpr16
	s_and_saveexec_b32 s0, s5
	s_cbranch_execnz .LBB145_36
.LBB145_48:
	s_or_b32 exec_lo, exec_lo, s0
                                        ; implicit-def: $vgpr17_vgpr18
	s_and_saveexec_b32 s0, s7
	s_cbranch_execz .LBB145_37
.LBB145_49:
	v_sub_co_u32 v17, s1, s16, v33
	v_sub_co_ci_u32_e64 v18, null, s33, 0, s1
	v_add_co_u32 v17, vcc_lo, -8, v17
	v_add_co_ci_u32_e64 v18, null, -1, v18, vcc_lo
	flat_load_dwordx2 v[17:18], v[17:18]
	s_or_b32 exec_lo, exec_lo, s0
                                        ; implicit-def: $vgpr19_vgpr20
	s_and_saveexec_b32 s0, s8
	s_cbranch_execnz .LBB145_38
.LBB145_50:
	s_or_b32 exec_lo, exec_lo, s0
                                        ; implicit-def: $vgpr21_vgpr22
	s_and_saveexec_b32 s0, s9
	s_cbranch_execz .LBB145_39
.LBB145_51:
	v_sub_co_u32 v21, s1, s16, v35
	v_sub_co_ci_u32_e64 v22, null, s33, 0, s1
	v_add_co_u32 v21, vcc_lo, -8, v21
	v_add_co_ci_u32_e64 v22, null, -1, v22, vcc_lo
	flat_load_dwordx2 v[21:22], v[21:22]
	s_or_b32 exec_lo, exec_lo, s0
                                        ; implicit-def: $vgpr23_vgpr24
	s_and_saveexec_b32 s0, s10
	s_cbranch_execnz .LBB145_40
.LBB145_52:
	s_or_b32 exec_lo, exec_lo, s0
                                        ; implicit-def: $vgpr25_vgpr26
	s_and_saveexec_b32 s0, s11
	s_cbranch_execz .LBB145_54
.LBB145_53:
	v_sub_co_u32 v25, s1, s16, v37
	v_sub_co_ci_u32_e64 v26, null, s33, 0, s1
	v_add_co_u32 v25, vcc_lo, -8, v25
	v_add_co_ci_u32_e64 v26, null, -1, v26, vcc_lo
	flat_load_dwordx2 v[25:26], v[25:26]
.LBB145_54:
	s_or_b32 exec_lo, exec_lo, s0
	v_mul_u32_u24_e32 v98, 13, v0
                                        ; implicit-def: $vgpr27_vgpr28
	s_and_saveexec_b32 s0, s12
	s_cbranch_execz .LBB145_56
; %bb.55:
	v_sub_co_u32 v27, s1, s16, v38
	v_sub_co_ci_u32_e64 v28, null, s33, 0, s1
	v_add_co_u32 v27, vcc_lo, -8, v27
	v_add_co_ci_u32_e64 v28, null, -1, v28, vcc_lo
	flat_load_dwordx2 v[27:28], v[27:28]
.LBB145_56:
	s_or_b32 exec_lo, exec_lo, s0
	s_waitcnt vmcnt(0) lgkmcnt(0)
	ds_write2st64_b64 v39, v[1:2], v[3:4] offset1:4
	ds_write2st64_b64 v39, v[5:6], v[7:8] offset0:8 offset1:12
	ds_write2st64_b64 v39, v[9:10], v[13:14] offset0:16 offset1:20
	;; [unrolled: 1-line block ×5, first 2 shown]
	ds_write_b64 v39, v[27:28] offset:24576
	v_mov_b32_e32 v5, 0
	v_mov_b32_e32 v31, 0
	;; [unrolled: 1-line block ×22, first 2 shown]
	v_cmp_gt_u32_e32 vcc_lo, s45, v98
	v_mov_b32_e32 v6, 0
	v_mov_b32_e32 v87, 0
	;; [unrolled: 1-line block ×45, first 2 shown]
	s_mov_b32 s13, 0
	s_mov_b32 s1, 0
	s_waitcnt lgkmcnt(0)
	s_barrier
	buffer_gl0_inv
                                        ; implicit-def: $sgpr36
                                        ; implicit-def: $vgpr37_vgpr38
	s_and_saveexec_b32 s37, vcc_lo
	s_cbranch_execz .LBB145_80
; %bb.57:
	ds_read_b64 v[1:2], v95
	v_add_nc_u32_e32 v3, 1, v98
	v_mov_b32_e32 v5, 0
	v_mov_b32_e32 v31, 0
	;; [unrolled: 1-line block ×4, first 2 shown]
	v_cmp_gt_u32_e64 s0, s45, v3
	v_mov_b32_e32 v33, 0
	v_mov_b32_e32 v41, 0
	;; [unrolled: 1-line block ×59, first 2 shown]
	v_cmp_ne_u64_e32 vcc_lo, v[11:12], v[67:68]
                                        ; implicit-def: $sgpr36
                                        ; implicit-def: $vgpr37_vgpr38
	s_and_saveexec_b32 s46, s0
	s_cbranch_execz .LBB145_79
; %bb.58:
	ds_read2_b64 v[9:12], v95 offset0:1 offset1:2
	v_add_nc_u32_e32 v3, 2, v98
	v_cmp_ne_u64_e64 s0, v[67:68], v[69:70]
	v_mov_b32_e32 v5, 0
	v_mov_b32_e32 v31, 0
	;; [unrolled: 1-line block ×21, first 2 shown]
	v_cmp_gt_u32_e64 s1, s45, v3
	v_mov_b32_e32 v88, 0
	v_mov_b32_e32 v32, 0
	;; [unrolled: 1-line block ×36, first 2 shown]
	s_mov_b32 s2, 0
                                        ; implicit-def: $sgpr36
                                        ; implicit-def: $vgpr37_vgpr38
	s_and_saveexec_b32 s47, s1
	s_cbranch_execz .LBB145_78
; %bb.59:
	v_add_nc_u32_e32 v3, 3, v98
	v_cmp_ne_u64_e64 s1, v[69:70], v[63:64]
	v_mov_b32_e32 v5, 0
	v_mov_b32_e32 v31, 0
	;; [unrolled: 1-line block ×20, first 2 shown]
	v_cmp_gt_u32_e64 s2, s45, v3
	v_mov_b32_e32 v32, 0
	v_mov_b32_e32 v89, 0
	;; [unrolled: 1-line block ×31, first 2 shown]
	s_mov_b32 s3, 0
                                        ; implicit-def: $sgpr36
                                        ; implicit-def: $vgpr37_vgpr38
	s_and_saveexec_b32 s48, s2
	s_cbranch_execz .LBB145_77
; %bb.60:
	ds_read2_b64 v[13:16], v95 offset0:3 offset1:4
	v_add_nc_u32_e32 v3, 4, v98
	v_cmp_ne_u64_e64 s2, v[63:64], v[65:66]
	v_mov_b32_e32 v5, 0
	v_mov_b32_e32 v31, 0
	;; [unrolled: 1-line block ×17, first 2 shown]
	v_cmp_gt_u32_e64 s3, s45, v3
	v_mov_b32_e32 v88, 0
	v_mov_b32_e32 v32, 0
	;; [unrolled: 1-line block ×28, first 2 shown]
	s_mov_b32 s4, 0
                                        ; implicit-def: $sgpr36
                                        ; implicit-def: $vgpr37_vgpr38
	s_and_saveexec_b32 s49, s3
	s_cbranch_execz .LBB145_76
; %bb.61:
	v_add_nc_u32_e32 v3, 5, v98
	v_cmp_ne_u64_e64 s3, v[65:66], v[59:60]
	v_mov_b32_e32 v5, 0
	v_mov_b32_e32 v31, 0
	;; [unrolled: 1-line block ×16, first 2 shown]
	v_cmp_gt_u32_e64 s4, s45, v3
	v_mov_b32_e32 v32, 0
	v_mov_b32_e32 v89, 0
	;; [unrolled: 1-line block ×23, first 2 shown]
	s_mov_b32 s5, 0
                                        ; implicit-def: $sgpr36
                                        ; implicit-def: $vgpr37_vgpr38
	s_and_saveexec_b32 s50, s4
	s_cbranch_execz .LBB145_75
; %bb.62:
	ds_read2_b64 v[17:20], v95 offset0:5 offset1:6
	v_add_nc_u32_e32 v3, 6, v98
	v_cmp_ne_u64_e64 s4, v[59:60], v[61:62]
	v_mov_b32_e32 v5, 0
	v_mov_b32_e32 v31, 0
	v_mov_b32_e32 v29, 0
	v_mov_b32_e32 v35, 0
	v_mov_b32_e32 v33, 0
	v_mov_b32_e32 v7, 0
	v_mov_b32_e32 v71, 0
	v_mov_b32_e32 v21, 0
	v_mov_b32_e32 v23, 0
	v_mov_b32_e32 v25, 0
	v_mov_b32_e32 v27, 0
	v_mov_b32_e32 v6, 0
	v_mov_b32_e32 v87, 0
	v_cmp_gt_u32_e64 s5, s45, v3
	v_mov_b32_e32 v88, 0
	v_mov_b32_e32 v32, 0
	;; [unrolled: 1-line block ×20, first 2 shown]
	s_mov_b32 s7, 0
                                        ; implicit-def: $sgpr36
                                        ; implicit-def: $vgpr37_vgpr38
	s_and_saveexec_b32 s51, s5
	s_cbranch_execz .LBB145_74
; %bb.63:
	v_cmp_ne_u64_e64 s5, v[61:62], v[55:56]
	v_mov_b32_e32 v5, 0
	v_mov_b32_e32 v31, 0
	;; [unrolled: 1-line block ×9, first 2 shown]
	v_add_nc_u32_e32 v3, 7, v98
	v_mov_b32_e32 v6, 0
	v_mov_b32_e32 v87, 0
	;; [unrolled: 1-line block ×18, first 2 shown]
	s_mov_b32 s8, 0
	s_mov_b32 s52, exec_lo
                                        ; implicit-def: $sgpr36
                                        ; implicit-def: $vgpr37_vgpr38
	v_cmpx_gt_u32_e64 s45, v3
	s_cbranch_execz .LBB145_73
; %bb.64:
	ds_read2_b64 v[25:28], v95 offset0:7 offset1:8
	v_cmp_ne_u64_e64 s7, v[55:56], v[57:58]
	v_mov_b32_e32 v5, 0
	v_mov_b32_e32 v31, 0
	;; [unrolled: 1-line block ×7, first 2 shown]
	v_add_nc_u32_e32 v3, 8, v98
	v_mov_b32_e32 v6, 0
	v_mov_b32_e32 v87, 0
	;; [unrolled: 1-line block ×14, first 2 shown]
	s_mov_b32 s9, 0
	s_mov_b32 s53, exec_lo
                                        ; implicit-def: $sgpr36
                                        ; implicit-def: $vgpr37_vgpr38
	v_cmpx_gt_u32_e64 s45, v3
	s_cbranch_execz .LBB145_72
; %bb.65:
	v_cmp_ne_u64_e64 s8, v[57:58], v[51:52]
	v_mov_b32_e32 v5, 0
	v_mov_b32_e32 v31, 0
	;; [unrolled: 1-line block ×5, first 2 shown]
	v_add_nc_u32_e32 v3, 9, v98
	v_mov_b32_e32 v6, 0
	v_mov_b32_e32 v87, 0
	;; [unrolled: 1-line block ×9, first 2 shown]
	s_mov_b32 s10, 0
	s_mov_b32 s54, exec_lo
                                        ; implicit-def: $sgpr36
                                        ; implicit-def: $vgpr37_vgpr38
	v_cmpx_gt_u32_e64 s45, v3
	s_cbranch_execz .LBB145_71
; %bb.66:
	ds_read2_b64 v[21:24], v95 offset0:9 offset1:10
	v_cmp_ne_u64_e64 s9, v[51:52], v[53:54]
	v_mov_b32_e32 v5, 0
	v_mov_b32_e32 v7, 0
	;; [unrolled: 1-line block ×3, first 2 shown]
	v_add_nc_u32_e32 v3, 10, v98
	v_mov_b32_e32 v6, 0
	v_mov_b32_e32 v87, 0
	v_mov_b32_e32 v8, 0
	v_mov_b32_e32 v72, 0
	v_mov_b32_e32 v75, 0
	s_mov_b32 s11, 0
	s_mov_b32 s55, exec_lo
                                        ; implicit-def: $sgpr36
                                        ; implicit-def: $vgpr37_vgpr38
	v_cmpx_gt_u32_e64 s45, v3
	s_cbranch_execz .LBB145_70
; %bb.67:
	v_cmp_ne_u64_e64 s10, v[53:54], v[43:44]
	v_mov_b32_e32 v7, 0
	v_add_nc_u32_e32 v3, 11, v98
	v_mov_b32_e32 v8, 0
	v_mov_b32_e32 v75, 0
	s_mov_b32 s12, 0
	s_mov_b32 s56, exec_lo
                                        ; implicit-def: $sgpr36
                                        ; implicit-def: $vgpr37_vgpr38
	v_cmpx_gt_u32_e64 s45, v3
	s_xor_b32 s56, exec_lo, s56
	s_cbranch_execz .LBB145_69
; %bb.68:
	ds_read2_b64 v[35:38], v95 offset0:11 offset1:12
	v_add_nc_u32_e32 v3, 12, v98
	v_cmp_ne_u64_e64 s12, v[43:44], v[45:46]
	v_cmp_ne_u64_e64 s36, v[45:46], v[73:74]
	v_cmp_gt_u32_e64 s11, s45, v3
	v_cndmask_b32_e64 v75, 0, 1, s12
	s_and_b32 s12, s11, exec_lo
	s_waitcnt lgkmcnt(0)
	v_mov_b32_e32 v7, v35
	v_mov_b32_e32 v8, v36
.LBB145_69:
	s_or_b32 exec_lo, exec_lo, s56
	s_waitcnt lgkmcnt(0)
	v_mov_b32_e32 v5, v23
	v_mov_b32_e32 v72, v24
	v_cndmask_b32_e64 v87, 0, 1, s10
	v_mov_b32_e32 v6, v24
	v_mov_b32_e32 v71, v23
	s_and_b32 s11, s12, exec_lo
.LBB145_70:
	s_or_b32 exec_lo, exec_lo, s55
	v_cndmask_b32_e64 v88, 0, 1, s9
	s_waitcnt lgkmcnt(0)
	v_mov_b32_e32 v32, v22
	v_mov_b32_e32 v31, v21
	s_and_b32 s10, s11, exec_lo
	v_mov_b32_e32 v76, v88
.LBB145_71:
	s_or_b32 exec_lo, exec_lo, s54
	v_cndmask_b32_e64 v89, 0, 1, s8
	s_waitcnt lgkmcnt(0)
	v_mov_b32_e32 v30, v28
	v_mov_b32_e32 v23, v27
	;; [unrolled: 1-line block ×6, first 2 shown]
	s_and_b32 s9, s10, exec_lo
.LBB145_72:
	s_or_b32 exec_lo, exec_lo, s53
	v_cndmask_b32_e64 v90, 0, 1, s7
	s_waitcnt lgkmcnt(0)
	v_mov_b32_e32 v36, v26
	v_mov_b32_e32 v35, v25
	s_and_b32 s8, s9, exec_lo
	v_mov_b32_e32 v79, v90
.LBB145_73:
	s_or_b32 exec_lo, exec_lo, s52
	v_cndmask_b32_e64 v91, 0, 1, s5
	s_waitcnt lgkmcnt(0)
	v_mov_b32_e32 v34, v20
	v_mov_b32_e32 v28, v20
	v_mov_b32_e32 v33, v19
	v_mov_b32_e32 v27, v19
	v_mov_b32_e32 v80, v91
	s_and_b32 s7, s8, exec_lo
.LBB145_74:
	s_or_b32 exec_lo, exec_lo, s51
	v_cndmask_b32_e64 v92, 0, 1, s4
	s_waitcnt lgkmcnt(0)
	v_mov_b32_e32 v42, v18
	v_mov_b32_e32 v41, v17
	s_and_b32 s5, s7, exec_lo
	v_mov_b32_e32 v82, v92
.LBB145_75:
	s_or_b32 exec_lo, exec_lo, s50
	v_cndmask_b32_e64 v93, 0, 1, s3
	s_waitcnt lgkmcnt(0)
	v_mov_b32_e32 v40, v16
	v_mov_b32_e32 v20, v16
	;; [unrolled: 1-line block ×5, first 2 shown]
	s_and_b32 s4, s5, exec_lo
.LBB145_76:
	s_or_b32 exec_lo, exec_lo, s49
	v_cndmask_b32_e64 v94, 0, 1, s2
	s_waitcnt lgkmcnt(0)
	v_mov_b32_e32 v50, v14
	v_mov_b32_e32 v49, v13
	s_and_b32 s3, s4, exec_lo
	v_mov_b32_e32 v84, v94
.LBB145_77:
	s_or_b32 exec_lo, exec_lo, s48
	v_cndmask_b32_e64 v96, 0, 1, s1
	s_waitcnt lgkmcnt(0)
	v_mov_b32_e32 v48, v12
	v_mov_b32_e32 v16, v12
	;; [unrolled: 1-line block ×5, first 2 shown]
	s_and_b32 s2, s3, exec_lo
.LBB145_78:
	s_or_b32 exec_lo, exec_lo, s47
	v_cndmask_b32_e64 v97, 0, 1, s0
	s_waitcnt lgkmcnt(0)
	v_mov_b32_e32 v3, v9
	v_mov_b32_e32 v4, v10
	s_and_b32 s1, s2, exec_lo
	v_mov_b32_e32 v86, v97
.LBB145_79:
	s_or_b32 exec_lo, exec_lo, s46
	v_cndmask_b32_e64 v99, 0, 1, vcc_lo
	s_and_b32 s1, s1, exec_lo
	v_mov_b32_e32 v81, v99
.LBB145_80:
	s_or_b32 exec_lo, exec_lo, s37
	v_lshlrev_b32_e32 v55, 3, v0
	v_cmp_ne_u32_e64 s0, 0, v0
	s_and_b32 vcc_lo, exec_lo, s13
	s_cbranch_vccz .LBB145_84
.LBB145_81:
	v_sub_co_u32 v25, s1, s41, v55
	v_sub_co_ci_u32_e64 v26, null, s44, 0, s1
	s_add_u32 s1, s41, -8
	s_waitcnt lgkmcnt(0)
	v_add_co_u32 v1, vcc_lo, -8, v25
	v_add_co_ci_u32_e64 v2, null, -1, v26, vcc_lo
	v_add_co_u32 v3, vcc_lo, 0xfffff7f8, v25
	v_add_co_ci_u32_e64 v4, null, -1, v26, vcc_lo
	v_add_co_u32 v5, vcc_lo, 0xffffeff8, v25
	;; [unrolled: 2-line block ×12, first 2 shown]
	v_add_co_ci_u32_e64 v26, null, -1, v26, vcc_lo
	s_clause 0xc
	flat_load_dwordx2 v[1:2], v[1:2]
	flat_load_dwordx2 v[3:4], v[3:4]
	;; [unrolled: 1-line block ×13, first 2 shown]
	s_addc_u32 s4, s44, -1
	s_lshl_b64 s[2:3], s[14:15], 3
	v_mad_u32_u24 v37, 0x60, v0, v55
	s_add_u32 s2, s42, s2
	s_addc_u32 s3, s43, s3
	s_add_u32 s2, s2, -8
	s_addc_u32 s3, s3, -1
	s_and_b32 s5, s40, exec_lo
	s_cselect_b32 s2, s41, s2
	s_cselect_b32 s3, s44, s3
	s_cmp_eq_u64 s[14:15], 0
	v_mad_i32_i24 v31, 0xffffffa0, v0, v37
	s_cselect_b32 s1, s1, s2
	s_cselect_b32 s2, s4, s3
	v_mov_b32_e32 v27, s1
	v_mov_b32_e32 v28, s2
	v_sub_co_u32 v29, s1, 0, v0
	v_sub_co_ci_u32_e64 v30, null, 0, 0, s1
	s_mov_b32 s1, -1
	s_waitcnt vmcnt(11) lgkmcnt(11)
	ds_write2st64_b64 v55, v[1:2], v[3:4] offset1:4
	s_waitcnt vmcnt(9) lgkmcnt(10)
	ds_write2st64_b64 v55, v[5:6], v[7:8] offset0:8 offset1:12
	s_waitcnt vmcnt(7) lgkmcnt(9)
	ds_write2st64_b64 v55, v[9:10], v[11:12] offset0:16 offset1:20
	;; [unrolled: 2-line block ×5, first 2 shown]
	s_waitcnt vmcnt(0) lgkmcnt(6)
	ds_write_b64 v55, v[25:26] offset:24576
	s_waitcnt lgkmcnt(0)
	s_barrier
	buffer_gl0_inv
	flat_load_dwordx2 v[25:26], v[27:28]
	ds_read2_b64 v[9:12], v37 offset1:1
	ds_read2_b64 v[1:4], v37 offset0:2 offset1:3
	ds_read_b64 v[27:28], v37 offset:96
	ds_read2_b64 v[5:8], v37 offset0:4 offset1:5
	ds_read2_b64 v[13:16], v37 offset0:6 offset1:7
	;; [unrolled: 1-line block ×4, first 2 shown]
	s_waitcnt lgkmcnt(4)
	ds_write_b64 v31, v[27:28] offset:26624
	s_waitcnt vmcnt(0) lgkmcnt(0)
	s_barrier
	buffer_gl0_inv
	s_and_saveexec_b32 s2, s0
; %bb.82:
	v_mul_i32_i24_e32 v25, 0xffffffa0, v0
	v_add_nc_u32_e32 v25, v37, v25
	ds_read_b64 v[25:26], v25 offset:26616
; %bb.83:
	s_or_b32 exec_lo, exec_lo, s2
	v_lshlrev_b64 v[29:30], 3, v[29:30]
	s_waitcnt lgkmcnt(0)
	s_barrier
	buffer_gl0_inv
	v_cmp_ne_u64_e64 s36, v[23:24], v[27:28]
	v_add_co_u32 v54, vcc_lo, s16, v29
	v_add_co_ci_u32_e64 v57, null, s33, v30, vcc_lo
	v_add_co_u32 v29, vcc_lo, -8, v54
	v_add_co_ci_u32_e64 v30, null, -1, v57, vcc_lo
	v_add_co_u32 v31, vcc_lo, 0xfffff7f8, v54
	v_add_co_ci_u32_e64 v32, null, -1, v57, vcc_lo
	v_add_co_u32 v33, vcc_lo, 0xffffeff8, v54
	;; [unrolled: 2-line block ×12, first 2 shown]
	v_add_co_ci_u32_e64 v57, null, -1, v57, vcc_lo
	s_clause 0xc
	flat_load_dwordx2 v[29:30], v[29:30]
	flat_load_dwordx2 v[31:32], v[31:32]
	;; [unrolled: 1-line block ×13, first 2 shown]
	v_cmp_ne_u64_e32 vcc_lo, v[21:22], v[23:24]
	s_waitcnt vmcnt(11) lgkmcnt(11)
	ds_write2st64_b64 v55, v[29:30], v[31:32] offset1:4
	s_waitcnt vmcnt(9) lgkmcnt(10)
	ds_write2st64_b64 v55, v[33:34], v[35:36] offset0:8 offset1:12
	s_waitcnt vmcnt(7) lgkmcnt(9)
	ds_write2st64_b64 v55, v[38:39], v[40:41] offset0:16 offset1:20
	;; [unrolled: 2-line block ×5, first 2 shown]
	s_waitcnt vmcnt(0) lgkmcnt(6)
	ds_write_b64 v55, v[56:57] offset:24576
	v_cndmask_b32_e64 v75, 0, 1, vcc_lo
	v_cmp_ne_u64_e32 vcc_lo, v[19:20], v[21:22]
	s_waitcnt lgkmcnt(0)
	s_barrier
	buffer_gl0_inv
	v_cndmask_b32_e64 v87, 0, 1, vcc_lo
	v_cmp_ne_u64_e32 vcc_lo, v[17:18], v[19:20]
	v_mov_b32_e32 v77, v87
	v_cndmask_b32_e64 v88, 0, 1, vcc_lo
	v_cmp_ne_u64_e32 vcc_lo, v[15:16], v[17:18]
	v_mov_b32_e32 v76, v88
	;; [unrolled: 3-line block ×5, first 2 shown]
	v_cndmask_b32_e64 v92, 0, 1, vcc_lo
	v_cmp_ne_u64_e32 vcc_lo, v[3:4], v[5:6]
	ds_read2_b64 v[29:32], v37 offset0:8 offset1:9
	ds_read2_b64 v[5:8], v37 offset0:10 offset1:11
	;; [unrolled: 1-line block ×4, first 2 shown]
	v_mov_b32_e32 v82, v92
	v_cndmask_b32_e64 v93, 0, 1, vcc_lo
	v_cmp_ne_u64_e32 vcc_lo, v[1:2], v[3:4]
	v_mov_b32_e32 v83, v93
	v_cndmask_b32_e64 v94, 0, 1, vcc_lo
	v_cmp_ne_u64_e32 vcc_lo, v[11:12], v[1:2]
	ds_read2_b64 v[1:4], v37 offset1:1
	ds_read2_b64 v[47:50], v37 offset0:2 offset1:3
	ds_read_b64 v[37:38], v37 offset:96
	s_waitcnt lgkmcnt(6)
	v_mov_b32_e32 v21, v31
	s_waitcnt lgkmcnt(5)
	v_mov_b32_e32 v72, v6
	v_cndmask_b32_e64 v96, 0, 1, vcc_lo
	v_cmp_ne_u64_e32 vcc_lo, v[9:10], v[11:12]
	v_mov_b32_e32 v23, v29
	s_waitcnt lgkmcnt(3)
	v_mov_b32_e32 v27, v33
	v_mov_b32_e32 v17, v41
	;; [unrolled: 1-line block ×4, first 2 shown]
	v_cndmask_b32_e64 v97, 0, 1, vcc_lo
	v_cmp_ne_u64_e32 vcc_lo, v[25:26], v[9:10]
	v_mov_b32_e32 v25, v35
	v_mov_b32_e32 v85, v96
	;; [unrolled: 1-line block ×5, first 2 shown]
	v_cndmask_b32_e64 v99, 0, 1, vcc_lo
	s_waitcnt lgkmcnt(1)
	v_mov_b32_e32 v13, v49
	v_mov_b32_e32 v15, v47
	;; [unrolled: 1-line block ×12, first 2 shown]
.LBB145_84:
	v_mov_b32_e32 v11, 0
	v_mov_b32_e32 v12, 0
	;; [unrolled: 1-line block ×3, first 2 shown]
	s_and_saveexec_b32 s0, s1
	s_cbranch_execz .LBB145_86
; %bb.85:
	v_mov_b32_e32 v10, v4
	v_mov_b32_e32 v15, v47
	;; [unrolled: 1-line block ×10, first 2 shown]
	s_waitcnt lgkmcnt(0)
	v_mov_b32_e32 v11, v37
	v_cndmask_b32_e64 v57, 0, 1, s36
	v_mov_b32_e32 v81, v99
	v_mov_b32_e32 v9, v3
	v_mov_b32_e32 v86, v97
	v_mov_b32_e32 v16, v48
	v_mov_b32_e32 v85, v96
	v_mov_b32_e32 v14, v50
	v_mov_b32_e32 v84, v94
	v_mov_b32_e32 v20, v40
	v_mov_b32_e32 v83, v93
	v_mov_b32_e32 v18, v42
	v_mov_b32_e32 v82, v92
	v_mov_b32_e32 v28, v34
	v_mov_b32_e32 v80, v91
	v_mov_b32_e32 v26, v36
	v_mov_b32_e32 v79, v90
	v_mov_b32_e32 v24, v30
	v_mov_b32_e32 v78, v89
	v_mov_b32_e32 v22, v32
	v_mov_b32_e32 v76, v88
	v_mov_b32_e32 v71, v5
	v_mov_b32_e32 v77, v87
	v_mov_b32_e32 v12, v38
.LBB145_86:
	s_or_b32 exec_lo, exec_lo, s0
	v_and_b32_e32 v63, 1, v82
	v_and_b32_e32 v64, 1, v78
	;; [unrolled: 1-line block ×5, first 2 shown]
	v_or_b32_e32 v58, v83, v84
	v_or_b32_e32 v59, v79, v80
	;; [unrolled: 1-line block ×3, first 2 shown]
	v_cmp_eq_u32_e64 s13, 1, v63
	v_cmp_eq_u32_e64 s15, 1, v64
	;; [unrolled: 1-line block ×3, first 2 shown]
	v_cmp_eq_u16_e64 s0, 0, v57
	v_cmp_eq_u32_e64 s14, 1, v61
	v_mbcnt_lo_u32_b32 v56, -1, 0
	s_cmp_lg_u32 s6, 0
	v_cmp_eq_u32_e32 vcc_lo, 1, v65
	s_waitcnt lgkmcnt(0)
	s_barrier
	buffer_gl0_inv
	s_cbranch_scc0 .LBB145_144
; %bb.87:
	v_cmp_gt_i64_e64 s1, v[9:10], v[1:2]
	v_mov_b32_e32 v5, 0
	v_or_b32_e32 v6, v86, v81
	v_and_b32_e32 v30, 15, v56
	v_cmp_ne_u16_sdwa s36, v60, v5 src0_sel:BYTE_0 src1_sel:DWORD
	v_cndmask_b32_e64 v3, v1, v9, s1
	v_cndmask_b32_e64 v4, v2, v10, s1
	v_cmp_eq_u16_sdwa s1, v86, v5 src0_sel:BYTE_0 src1_sel:DWORD
	v_cmp_ne_u16_sdwa s37, v59, v5 src0_sel:BYTE_0 src1_sel:DWORD
	s_or_b32 s16, s36, s16
	v_cmp_ne_u16_sdwa s40, v58, v5 src0_sel:BYTE_0 src1_sel:DWORD
	s_or_b32 s16, s14, s16
	v_cndmask_b32_e64 v4, v10, v4, s1
	v_cndmask_b32_e64 v3, v9, v3, s1
	v_cmp_ne_u16_sdwa s33, v6, v5 src0_sel:BYTE_0 src1_sel:DWORD
	s_or_b32 s15, s37, s15
	s_or_b32 s13, s40, s13
	;; [unrolled: 1-line block ×3, first 2 shown]
	v_cmp_gt_i64_e64 s2, v[15:16], v[3:4]
	s_or_b32 s16, s33, vcc_lo
	s_or_b32 s13, s15, s13
	s_or_b32 s13, s13, s16
	v_cndmask_b32_e64 v3, v3, v15, s2
	v_cndmask_b32_e64 v4, v4, v16, s2
	v_cmp_eq_u16_sdwa s2, v85, v5 src0_sel:BYTE_0 src1_sel:DWORD
	v_cndmask_b32_e64 v29, 0, 1, s13
	v_cndmask_b32_e64 v4, v16, v4, s2
	;; [unrolled: 1-line block ×3, first 2 shown]
	v_mov_b32_dpp v31, v29 row_shr:1 row_mask:0xf bank_mask:0xf
	v_cmp_gt_i64_e64 s3, v[13:14], v[3:4]
	v_cndmask_b32_e64 v3, v3, v13, s3
	v_cndmask_b32_e64 v4, v4, v14, s3
	v_cmp_eq_u16_sdwa s3, v84, v5 src0_sel:BYTE_0 src1_sel:DWORD
	v_cndmask_b32_e64 v4, v14, v4, s3
	v_cndmask_b32_e64 v3, v13, v3, s3
	v_cmp_gt_i64_e64 s4, v[19:20], v[3:4]
	v_cndmask_b32_e64 v3, v3, v19, s4
	v_cndmask_b32_e64 v4, v4, v20, s4
	v_cmp_eq_u16_sdwa s4, v83, v5 src0_sel:BYTE_0 src1_sel:DWORD
	v_cndmask_b32_e64 v4, v20, v4, s4
	v_cndmask_b32_e64 v3, v19, v3, s4
	;; [unrolled: 6-line block ×9, first 2 shown]
	v_cmp_gt_i64_e64 s14, v[11:12], v[3:4]
	v_cndmask_b32_e64 v3, v3, v11, s14
	v_cndmask_b32_e64 v4, v4, v12, s14
	s_mov_b32 s14, exec_lo
	v_cndmask_b32_e64 v5, v11, v3, s0
	v_cndmask_b32_e64 v6, v12, v4, s0
	v_mov_b32_dpp v3, v5 row_shr:1 row_mask:0xf bank_mask:0xf
	v_mov_b32_dpp v32, v6 row_shr:1 row_mask:0xf bank_mask:0xf
	v_cmpx_ne_u32_e32 0, v30
; %bb.88:
	v_mov_b32_e32 v4, v32
	v_and_or_b32 v29, v31, 1, v29
	v_cmp_gt_i64_e32 vcc_lo, v[5:6], v[3:4]
	s_or_b32 vcc_lo, s13, vcc_lo
	v_cndmask_b32_e32 v6, v32, v6, vcc_lo
	v_cndmask_b32_e32 v5, v3, v5, vcc_lo
; %bb.89:
	s_or_b32 exec_lo, exec_lo, s14
	v_mov_b32_dpp v3, v5 row_shr:2 row_mask:0xf bank_mask:0xf
	v_mov_b32_dpp v32, v6 row_shr:2 row_mask:0xf bank_mask:0xf
	v_mov_b32_dpp v31, v29 row_shr:2 row_mask:0xf bank_mask:0xf
	s_mov_b32 s14, exec_lo
	v_cmpx_lt_u32_e32 1, v30
	s_cbranch_execz .LBB145_91
; %bb.90:
	v_mov_b32_e32 v4, v32
	v_cmp_eq_u16_e64 s13, 0, v29
	v_or_b32_e32 v29, v31, v29
	v_cmp_gt_i64_e32 vcc_lo, v[5:6], v[3:4]
	v_and_b32_e32 v29, 1, v29
	v_cndmask_b32_e32 v4, v32, v6, vcc_lo
	v_cndmask_b32_e32 v3, v3, v5, vcc_lo
	v_cndmask_b32_e64 v6, v6, v4, s13
	v_cndmask_b32_e64 v5, v5, v3, s13
.LBB145_91:
	s_or_b32 exec_lo, exec_lo, s14
	v_mov_b32_dpp v3, v5 row_shr:4 row_mask:0xf bank_mask:0xf
	v_mov_b32_dpp v32, v6 row_shr:4 row_mask:0xf bank_mask:0xf
	v_mov_b32_dpp v31, v29 row_shr:4 row_mask:0xf bank_mask:0xf
	s_mov_b32 s14, exec_lo
	v_cmpx_lt_u32_e32 3, v30
	s_cbranch_execz .LBB145_93
; %bb.92:
	v_mov_b32_e32 v4, v32
	v_cmp_eq_u16_e64 s13, 0, v29
	v_or_b32_e32 v29, v31, v29
	v_cmp_gt_i64_e32 vcc_lo, v[5:6], v[3:4]
	v_and_b32_e32 v29, 1, v29
	v_cndmask_b32_e32 v4, v32, v6, vcc_lo
	v_cndmask_b32_e32 v3, v3, v5, vcc_lo
	v_cndmask_b32_e64 v6, v6, v4, s13
	v_cndmask_b32_e64 v5, v5, v3, s13
.LBB145_93:
	;; [unrolled: 18-line block ×3, first 2 shown]
	s_or_b32 exec_lo, exec_lo, s14
	ds_swizzle_b32 v3, v5 offset:swizzle(BROADCAST,32,15)
	ds_swizzle_b32 v30, v6 offset:swizzle(BROADCAST,32,15)
	;; [unrolled: 1-line block ×3, first 2 shown]
	v_and_b32_e32 v4, 16, v56
	v_mov_b32_e32 v31, v29
	s_mov_b32 s15, exec_lo
	v_cmpx_ne_u32_e32 0, v4
	s_cbranch_execz .LBB145_97
; %bb.96:
	s_waitcnt lgkmcnt(1)
	v_mov_b32_e32 v4, v30
	v_and_b32_e32 v31, 1, v29
	s_waitcnt lgkmcnt(0)
	v_and_b32_e32 v32, 1, v32
	v_cmp_gt_i64_e32 vcc_lo, v[5:6], v[3:4]
	v_cmp_eq_u32_e64 s13, 1, v31
	v_cmp_eq_u32_e64 s14, 1, v32
	v_cndmask_b32_e32 v4, v30, v6, vcc_lo
	v_cndmask_b32_e32 v3, v3, v5, vcc_lo
	v_cmp_eq_u16_e32 vcc_lo, 0, v29
	s_or_b32 s13, s13, s14
	v_cndmask_b32_e64 v29, 0, 1, s13
	v_cndmask_b32_e64 v31, 0, 1, s13
	v_cndmask_b32_e32 v6, v6, v4, vcc_lo
	v_cndmask_b32_e32 v5, v5, v3, vcc_lo
.LBB145_97:
	s_or_b32 exec_lo, exec_lo, s15
	v_lshrrev_b32_e32 v4, 5, v0
	s_waitcnt lgkmcnt(2)
	v_or_b32_e32 v3, 31, v0
	s_mov_b32 s13, exec_lo
	s_waitcnt lgkmcnt(0)
	v_lshlrev_b32_e32 v32, 4, v4
	v_cmpx_eq_u32_e64 v0, v3
	s_cbranch_execz .LBB145_99
; %bb.98:
	ds_write_b64 v32, v[5:6]
	ds_write_b8 v32, v29 offset:8
.LBB145_99:
	s_or_b32 exec_lo, exec_lo, s13
	s_mov_b32 s16, exec_lo
	s_waitcnt lgkmcnt(0)
	s_barrier
	buffer_gl0_inv
	v_cmpx_gt_u32_e32 8, v0
	s_cbranch_execz .LBB145_107
; %bb.100:
	v_lshlrev_b32_e32 v33, 4, v0
	v_and_b32_e32 v34, 7, v56
	s_mov_b32 s14, exec_lo
	ds_read_b64 v[3:4], v33
	ds_read_b32 v37, v33 offset:8
	s_waitcnt lgkmcnt(1)
	v_mov_b32_dpp v29, v3 row_shr:1 row_mask:0xf bank_mask:0xf
	v_mov_b32_dpp v38, v4 row_shr:1 row_mask:0xf bank_mask:0xf
	s_waitcnt lgkmcnt(0)
	v_and_b32_e32 v36, 0xffffff00, v37
	v_mov_b32_dpp v39, v37 row_shr:1 row_mask:0xf bank_mask:0xf
	v_mov_b32_e32 v30, v37
	v_mov_b32_e32 v35, v37
	v_cmpx_ne_u32_e32 0, v34
	s_cbranch_execz .LBB145_102
; %bb.101:
	v_mov_b32_e32 v30, v38
	v_mov_b32_e32 v35, 0
	v_cmp_gt_i64_e32 vcc_lo, v[3:4], v[29:30]
	v_or_b32_e32 v30, v39, v37
	v_cmp_eq_u16_sdwa s13, v37, v35 src0_sel:BYTE_0 src1_sel:DWORD
	v_and_b32_e32 v35, 1, v30
	v_cndmask_b32_e32 v38, v38, v4, vcc_lo
	v_cndmask_b32_e32 v29, v29, v3, vcc_lo
	v_and_b32_e32 v30, 1, v30
	v_or_b32_e32 v37, v35, v36
	v_cndmask_b32_e64 v4, v4, v38, s13
	v_cndmask_b32_e64 v3, v3, v29, s13
.LBB145_102:
	s_or_b32 exec_lo, exec_lo, s14
	v_mov_b32_dpp v29, v3 row_shr:2 row_mask:0xf bank_mask:0xf
	v_mov_b32_dpp v38, v4 row_shr:2 row_mask:0xf bank_mask:0xf
	;; [unrolled: 1-line block ×3, first 2 shown]
	s_mov_b32 s33, exec_lo
	v_cmpx_lt_u32_e32 1, v34
	s_cbranch_execz .LBB145_104
; %bb.103:
	v_and_b32_e32 v37, 1, v35
	v_and_b32_e32 v39, 1, v39
	v_mov_b32_e32 v30, v38
	v_mov_b32_e32 v40, 0
	v_cmp_eq_u32_e32 vcc_lo, 1, v37
	v_cmp_eq_u32_e64 s13, 1, v39
	v_cmp_gt_i64_e64 s14, v[3:4], v[29:30]
	v_cmp_eq_u16_sdwa s15, v35, v40 src0_sel:BYTE_0 src1_sel:DWORD
	s_or_b32 s13, vcc_lo, s13
	v_cndmask_b32_e64 v37, v38, v4, s14
	v_cndmask_b32_e64 v30, 0, 1, s13
	;; [unrolled: 1-line block ×6, first 2 shown]
	v_or_b32_e32 v37, v36, v35
	v_mov_b32_e32 v35, v30
.LBB145_104:
	s_or_b32 exec_lo, exec_lo, s33
	v_mov_b32_dpp v29, v3 row_shr:4 row_mask:0xf bank_mask:0xf
	v_mov_b32_dpp v36, v4 row_shr:4 row_mask:0xf bank_mask:0xf
	;; [unrolled: 1-line block ×3, first 2 shown]
	s_mov_b32 s15, exec_lo
	v_cmpx_lt_u32_e32 3, v34
	s_cbranch_execz .LBB145_106
; %bb.105:
	v_mov_b32_e32 v30, v36
	v_mov_b32_e32 v34, 0
	v_and_b32_e32 v38, 1, v35
	v_cmp_gt_i64_e32 vcc_lo, v[3:4], v[29:30]
	v_and_b32_e32 v30, 1, v37
	v_cmp_eq_u16_sdwa s13, v35, v34 src0_sel:BYTE_0 src1_sel:DWORD
	v_cmp_eq_u32_e64 s14, 1, v38
	v_cndmask_b32_e32 v36, v36, v4, vcc_lo
	v_cndmask_b32_e32 v29, v29, v3, vcc_lo
	v_cmp_eq_u32_e32 vcc_lo, 1, v30
	v_cndmask_b32_e64 v4, v4, v36, s13
	v_cndmask_b32_e64 v3, v3, v29, s13
	s_or_b32 s13, s14, vcc_lo
	v_cndmask_b32_e64 v30, 0, 1, s13
.LBB145_106:
	s_or_b32 exec_lo, exec_lo, s15
	ds_write_b64 v33, v[3:4]
	ds_write_b8 v33, v30 offset:8
.LBB145_107:
	s_or_b32 exec_lo, exec_lo, s16
	v_mov_b32_e32 v3, 0
	v_mov_b32_e32 v4, 0
	v_mov_b32_e32 v37, 0
	s_mov_b32 s14, exec_lo
	v_cmp_gt_u32_e32 vcc_lo, 32, v0
	s_waitcnt lgkmcnt(0)
	s_barrier
	buffer_gl0_inv
	v_cmpx_lt_u32_e32 31, v0
	s_cbranch_execz .LBB145_109
; %bb.108:
	v_add_nc_u32_e32 v3, -16, v32
	v_add_nc_u32_e32 v29, -8, v32
	ds_read_b64 v[3:4], v3
	ds_read_u8 v29, v29
	s_waitcnt lgkmcnt(1)
	v_cmp_gt_i64_e64 s13, v[5:6], v[3:4]
	s_waitcnt lgkmcnt(0)
	v_or_b32_e32 v32, v29, v31
	v_and_b32_e32 v37, 1, v29
	v_cndmask_b32_e64 v30, v3, v5, s13
	v_cndmask_b32_e64 v33, v4, v6, s13
	v_cmp_eq_u32_e64 s13, 0, v31
	v_and_b32_e32 v31, 1, v32
	v_cndmask_b32_e64 v6, v6, v33, s13
	v_cndmask_b32_e64 v5, v5, v30, s13
.LBB145_109:
	s_or_b32 exec_lo, exec_lo, s14
	v_sub_co_u32 v29, s13, v56, 1
	v_cmp_gt_i32_e64 s14, 0, v29
	v_cndmask_b32_e64 v29, v29, v56, s14
	v_lshlrev_b32_e32 v29, 2, v29
	ds_bpermute_b32 v38, v29, v5
	ds_bpermute_b32 v39, v29, v6
	;; [unrolled: 1-line block ×3, first 2 shown]
	s_and_saveexec_b32 s16, vcc_lo
	s_cbranch_execz .LBB145_149
; %bb.110:
	v_mov_b32_e32 v31, 0
	ds_read_b64 v[5:6], v31 offset:112
	ds_read_u8 v41, v31 offset:120
	s_and_saveexec_b32 s14, s13
	s_cbranch_execz .LBB145_112
; %bb.111:
	s_add_i32 s36, s6, 32
	s_mov_b32 s37, 0
	v_mov_b32_e32 v29, 1
	s_lshl_b64 s[40:41], s[36:37], 4
	v_mov_b32_e32 v30, s36
	s_add_u32 s40, s20, s40
	s_addc_u32 s41, s21, s41
	s_waitcnt lgkmcnt(1)
	global_store_dwordx2 v31, v[5:6], s[40:41]
	s_waitcnt lgkmcnt(0)
	global_store_byte v31, v41, s[40:41] offset:8
	s_waitcnt_vscnt null, 0x0
	buffer_gl1_inv
	buffer_gl0_inv
	global_store_byte v30, v29, s[24:25]
.LBB145_112:
	s_or_b32 exec_lo, exec_lo, s14
	v_xad_u32 v29, v56, -1, s6
	s_mov_b32 s15, 0
	s_mov_b32 s14, exec_lo
	v_add_nc_u32_e32 v30, 32, v29
	global_load_ubyte v42, v30, s[24:25] glc dlc
	s_waitcnt vmcnt(0)
	v_cmpx_eq_u16_e32 0, v42
	s_cbranch_execz .LBB145_116
; %bb.113:
	v_add_co_u32 v32, s33, s24, v30
	v_add_co_ci_u32_e64 v33, null, s25, 0, s33
.LBB145_114:                            ; =>This Inner Loop Header: Depth=1
	global_load_ubyte v42, v[32:33], off glc dlc
	s_waitcnt vmcnt(0)
	v_cmp_ne_u16_e32 vcc_lo, 0, v42
	s_or_b32 s15, vcc_lo, s15
	s_andn2_b32 exec_lo, exec_lo, s15
	s_cbranch_execnz .LBB145_114
; %bb.115:
	s_or_b32 exec_lo, exec_lo, s15
.LBB145_116:
	s_or_b32 exec_lo, exec_lo, s14
	v_cmp_eq_u16_e32 vcc_lo, 1, v42
	v_mov_b32_e32 v33, s20
	v_mov_b32_e32 v32, s21
	v_lshlrev_b64 v[30:31], 4, v[30:31]
	s_waitcnt lgkmcnt(0)
	s_waitcnt_vscnt null, 0x0
	buffer_gl1_inv
	buffer_gl0_inv
	v_lshlrev_b32_e64 v44, v56, -1
	v_cndmask_b32_e32 v33, s22, v33, vcc_lo
	v_cndmask_b32_e32 v32, s23, v32, vcc_lo
	s_mov_b32 s15, exec_lo
	v_add_co_u32 v30, vcc_lo, v33, v30
	v_add_co_ci_u32_e64 v31, null, v32, v31, vcc_lo
	v_cmp_ne_u32_e32 vcc_lo, 31, v56
	s_clause 0x1
	global_load_ubyte v35, v[30:31], off offset:8
	global_load_dwordx2 v[33:34], v[30:31], off
	v_add_co_ci_u32_e64 v30, null, 0, v56, vcc_lo
	v_cmp_eq_u16_e32 vcc_lo, 2, v42
	v_lshlrev_b32_e32 v43, 2, v30
	v_and_or_b32 v32, vcc_lo, v44, 0x80000000
	v_ffbl_b32_e32 v32, v32
	s_waitcnt vmcnt(1)
	v_and_b32_e32 v31, 1, v35
	s_waitcnt vmcnt(0)
	ds_bpermute_b32 v30, v43, v33
	ds_bpermute_b32 v36, v43, v34
	;; [unrolled: 1-line block ×3, first 2 shown]
	v_cmpx_lt_u32_e64 v56, v32
	s_cbranch_execz .LBB145_118
; %bb.117:
	s_waitcnt lgkmcnt(1)
	v_mov_b32_e32 v31, v36
	v_mov_b32_e32 v46, 0
	v_cmp_gt_i64_e32 vcc_lo, v[33:34], v[30:31]
	s_waitcnt lgkmcnt(0)
	v_and_b32_e32 v31, 1, v45
	v_cmp_eq_u16_sdwa s14, v35, v46 src0_sel:BYTE_0 src1_sel:DWORD
	v_or_b32_e32 v35, v31, v35
	v_cndmask_b32_e32 v36, v36, v34, vcc_lo
	v_cndmask_b32_e32 v30, v30, v33, vcc_lo
	v_and_b32_e32 v31, 0xff, v35
	v_cndmask_b32_e64 v34, v34, v36, s14
	v_cndmask_b32_e64 v33, v33, v30, s14
.LBB145_118:
	s_or_b32 exec_lo, exec_lo, s15
	v_cmp_gt_u32_e32 vcc_lo, 30, v56
	v_add_nc_u32_e32 v46, 2, v56
	s_mov_b32 s33, exec_lo
	s_waitcnt lgkmcnt(2)
	v_cndmask_b32_e64 v30, 0, 2, vcc_lo
	s_waitcnt lgkmcnt(0)
	v_add_lshl_u32 v45, v30, v56, 2
	ds_bpermute_b32 v30, v45, v33
	ds_bpermute_b32 v36, v45, v34
	ds_bpermute_b32 v47, v45, v31
	v_cmpx_le_u32_e64 v46, v32
	s_cbranch_execz .LBB145_120
; %bb.119:
	s_waitcnt lgkmcnt(1)
	v_mov_b32_e32 v31, v36
	v_and_b32_e32 v48, 1, v35
	s_waitcnt lgkmcnt(0)
	v_and_b32_e32 v47, 1, v47
	v_cmp_gt_i64_e32 vcc_lo, v[33:34], v[30:31]
	v_mov_b32_e32 v31, 0
	v_cmp_eq_u32_e64 s14, 1, v48
	v_cmp_eq_u32_e64 s15, 1, v47
	v_cndmask_b32_e32 v36, v36, v34, vcc_lo
	v_cndmask_b32_e32 v30, v30, v33, vcc_lo
	v_cmp_eq_u16_sdwa vcc_lo, v35, v31 src0_sel:BYTE_0 src1_sel:DWORD
	s_or_b32 s14, s14, s15
	v_cndmask_b32_e64 v35, 0, 1, s14
	v_cndmask_b32_e64 v31, 0, 1, s14
	v_cndmask_b32_e32 v34, v34, v36, vcc_lo
	v_cndmask_b32_e32 v33, v33, v30, vcc_lo
.LBB145_120:
	s_or_b32 exec_lo, exec_lo, s33
	v_cmp_gt_u32_e32 vcc_lo, 28, v56
	v_add_nc_u32_e32 v48, 4, v56
	s_mov_b32 s33, exec_lo
	s_waitcnt lgkmcnt(2)
	v_cndmask_b32_e64 v30, 0, 4, vcc_lo
	s_waitcnt lgkmcnt(0)
	v_add_lshl_u32 v47, v30, v56, 2
	ds_bpermute_b32 v30, v47, v33
	ds_bpermute_b32 v36, v47, v34
	ds_bpermute_b32 v49, v47, v31
	v_cmpx_le_u32_e64 v48, v32
	s_cbranch_execz .LBB145_122
; %bb.121:
	s_waitcnt lgkmcnt(1)
	v_mov_b32_e32 v31, v36
	v_and_b32_e32 v50, 1, v35
	s_waitcnt lgkmcnt(0)
	v_and_b32_e32 v49, 1, v49
	v_cmp_gt_i64_e32 vcc_lo, v[33:34], v[30:31]
	v_mov_b32_e32 v31, 0
	v_cmp_eq_u32_e64 s14, 1, v50
	v_cmp_eq_u32_e64 s15, 1, v49
	v_cndmask_b32_e32 v36, v36, v34, vcc_lo
	v_cndmask_b32_e32 v30, v30, v33, vcc_lo
	v_cmp_eq_u16_sdwa vcc_lo, v35, v31 src0_sel:BYTE_0 src1_sel:DWORD
	s_or_b32 s14, s14, s15
	v_cndmask_b32_e64 v35, 0, 1, s14
	v_cndmask_b32_e64 v31, 0, 1, s14
	v_cndmask_b32_e32 v34, v34, v36, vcc_lo
	v_cndmask_b32_e32 v33, v33, v30, vcc_lo
.LBB145_122:
	;; [unrolled: 32-line block ×3, first 2 shown]
	s_or_b32 exec_lo, exec_lo, s33
	s_waitcnt lgkmcnt(0)
	v_lshl_or_b32 v51, v56, 2, 64
	v_add_nc_u32_e32 v53, 16, v56
	s_mov_b32 s33, exec_lo
	ds_bpermute_b32 v30, v51, v33
	ds_bpermute_b32 v36, v51, v34
	;; [unrolled: 1-line block ×3, first 2 shown]
	v_cmpx_le_u32_e64 v53, v32
	s_cbranch_execz .LBB145_126
; %bb.125:
	s_waitcnt lgkmcnt(1)
	v_mov_b32_e32 v31, v36
	v_mov_b32_e32 v32, 0
	v_and_b32_e32 v54, 1, v35
	v_cmp_gt_i64_e32 vcc_lo, v[33:34], v[30:31]
	s_waitcnt lgkmcnt(0)
	v_and_b32_e32 v31, 1, v52
	v_cmp_eq_u16_sdwa s14, v35, v32 src0_sel:BYTE_0 src1_sel:DWORD
	v_cmp_eq_u32_e64 s15, 1, v54
	v_cndmask_b32_e32 v36, v36, v34, vcc_lo
	v_cndmask_b32_e32 v30, v30, v33, vcc_lo
	v_cmp_eq_u32_e32 vcc_lo, 1, v31
	v_cndmask_b32_e64 v34, v34, v36, s14
	v_cndmask_b32_e64 v33, v33, v30, s14
	s_or_b32 s14, s15, vcc_lo
	v_cndmask_b32_e64 v35, 0, 1, s14
.LBB145_126:
	s_or_b32 exec_lo, exec_lo, s33
	s_waitcnt lgkmcnt(2)
	v_mov_b32_e32 v30, 0
	v_mov_b32_e32 v54, 2
	s_branch .LBB145_129
.LBB145_127:                            ;   in Loop: Header=BB145_129 Depth=1
	s_or_b32 exec_lo, exec_lo, s36
	s_waitcnt lgkmcnt(2)
	v_and_b32_e32 v35, 1, v52
	v_cmp_gt_i64_e32 vcc_lo, v[31:32], v[33:34]
	v_subrev_nc_u32_e32 v29, 32, v29
	v_cmp_eq_u32_e64 s14, 1, v35
	v_cndmask_b32_e32 v33, v33, v31, vcc_lo
	v_cndmask_b32_e32 v34, v34, v32, vcc_lo
	v_cmp_eq_u16_sdwa vcc_lo, v52, v30 src0_sel:BYTE_0 src1_sel:DWORD
	s_or_b32 s14, s14, s33
	v_cndmask_b32_e64 v35, 0, 1, s14
	s_mov_b32 s14, 0
	v_cndmask_b32_e32 v34, v32, v34, vcc_lo
	v_cndmask_b32_e32 v33, v31, v33, vcc_lo
.LBB145_128:                            ;   in Loop: Header=BB145_129 Depth=1
	s_and_b32 vcc_lo, exec_lo, s14
	s_cbranch_vccnz .LBB145_145
.LBB145_129:                            ; =>This Loop Header: Depth=1
                                        ;     Child Loop BB145_132 Depth 2
	v_cmp_ne_u16_sdwa s14, v42, v54 src0_sel:BYTE_0 src1_sel:DWORD
	v_mov_b32_e32 v31, v33
	s_waitcnt lgkmcnt(0)
	v_mov_b32_e32 v52, v35
	v_mov_b32_e32 v32, v34
                                        ; implicit-def: $vgpr35
                                        ; implicit-def: $vgpr33_vgpr34
                                        ; implicit-def: $vgpr42
	s_cmp_lg_u32 s14, exec_lo
	s_mov_b32 s14, -1
	s_cbranch_scc1 .LBB145_128
; %bb.130:                              ;   in Loop: Header=BB145_129 Depth=1
	global_load_ubyte v42, v29, s[24:25] glc dlc
	s_mov_b32 s14, exec_lo
	s_waitcnt vmcnt(0)
	v_cmpx_eq_u16_e32 0, v42
	s_cbranch_execz .LBB145_134
; %bb.131:                              ;   in Loop: Header=BB145_129 Depth=1
	v_add_co_u32 v33, s15, s24, v29
	v_add_co_ci_u32_e64 v34, null, s25, 0, s15
	s_mov_b32 s15, 0
.LBB145_132:                            ;   Parent Loop BB145_129 Depth=1
                                        ; =>  This Inner Loop Header: Depth=2
	global_load_ubyte v42, v[33:34], off glc dlc
	s_waitcnt vmcnt(0)
	v_cmp_ne_u16_e32 vcc_lo, 0, v42
	s_or_b32 s15, vcc_lo, s15
	s_andn2_b32 exec_lo, exec_lo, s15
	s_cbranch_execnz .LBB145_132
; %bb.133:                              ;   in Loop: Header=BB145_129 Depth=1
	s_or_b32 exec_lo, exec_lo, s15
.LBB145_134:                            ;   in Loop: Header=BB145_129 Depth=1
	s_or_b32 exec_lo, exec_lo, s14
	v_cmp_eq_u16_e32 vcc_lo, 1, v42
	v_mov_b32_e32 v36, s20
	v_mov_b32_e32 v35, s21
	v_lshlrev_b64 v[33:34], 4, v[29:30]
	buffer_gl1_inv
	buffer_gl0_inv
	s_mov_b32 s15, exec_lo
	v_cndmask_b32_e32 v36, s22, v36, vcc_lo
	v_cndmask_b32_e32 v35, s23, v35, vcc_lo
	v_add_co_u32 v33, vcc_lo, v36, v33
	v_add_co_ci_u32_e64 v34, null, v35, v34, vcc_lo
	v_cmp_eq_u16_e32 vcc_lo, 2, v42
	s_clause 0x1
	global_load_ubyte v66, v[33:34], off offset:8
	global_load_dwordx2 v[33:34], v[33:34], off
	v_and_or_b32 v67, vcc_lo, v44, 0x80000000
	v_ffbl_b32_e32 v67, v67
	s_waitcnt vmcnt(1)
	v_and_b32_e32 v36, 1, v66
	s_waitcnt vmcnt(0)
	ds_bpermute_b32 v35, v43, v33
	ds_bpermute_b32 v68, v43, v34
	;; [unrolled: 1-line block ×3, first 2 shown]
	v_cmpx_lt_u32_e64 v56, v67
	s_cbranch_execz .LBB145_136
; %bb.135:                              ;   in Loop: Header=BB145_129 Depth=1
	s_waitcnt lgkmcnt(1)
	v_mov_b32_e32 v36, v68
	v_cmp_eq_u16_sdwa s14, v66, v30 src0_sel:BYTE_0 src1_sel:DWORD
	v_cmp_gt_i64_e32 vcc_lo, v[33:34], v[35:36]
	s_waitcnt lgkmcnt(0)
	v_and_b32_e32 v36, 1, v69
	v_or_b32_e32 v66, v36, v66
	v_cndmask_b32_e32 v68, v68, v34, vcc_lo
	v_cndmask_b32_e32 v35, v35, v33, vcc_lo
	v_and_b32_e32 v36, 0xff, v66
	v_cndmask_b32_e64 v34, v34, v68, s14
	v_cndmask_b32_e64 v33, v33, v35, s14
.LBB145_136:                            ;   in Loop: Header=BB145_129 Depth=1
	s_or_b32 exec_lo, exec_lo, s15
	s_waitcnt lgkmcnt(2)
	ds_bpermute_b32 v35, v45, v33
	s_waitcnt lgkmcnt(2)
	ds_bpermute_b32 v68, v45, v34
	s_waitcnt lgkmcnt(2)
	ds_bpermute_b32 v69, v45, v36
	v_and_b32_e32 v70, 1, v66
	s_mov_b32 s15, exec_lo
	v_cmp_eq_u32_e64 s33, 1, v70
	v_cmpx_le_u32_e64 v46, v67
	s_cbranch_execz .LBB145_138
; %bb.137:                              ;   in Loop: Header=BB145_129 Depth=1
	s_waitcnt lgkmcnt(1)
	v_mov_b32_e32 v36, v68
	s_waitcnt lgkmcnt(0)
	v_and_b32_e32 v69, 1, v69
	v_cmp_gt_i64_e32 vcc_lo, v[33:34], v[35:36]
	v_cmp_eq_u32_e64 s14, 1, v69
	s_or_b32 s14, s33, s14
	v_cndmask_b32_e32 v36, v68, v34, vcc_lo
	v_cndmask_b32_e32 v35, v35, v33, vcc_lo
	v_cmp_eq_u16_sdwa vcc_lo, v66, v30 src0_sel:BYTE_0 src1_sel:DWORD
	v_cndmask_b32_e64 v66, 0, 1, s14
	s_andn2_b32 s33, s33, exec_lo
	v_cndmask_b32_e32 v34, v34, v36, vcc_lo
	v_cndmask_b32_e64 v36, 0, 1, s14
	v_cndmask_b32_e32 v33, v33, v35, vcc_lo
	s_and_b32 s14, s14, exec_lo
	s_or_b32 s33, s33, s14
.LBB145_138:                            ;   in Loop: Header=BB145_129 Depth=1
	s_or_b32 exec_lo, exec_lo, s15
	s_waitcnt lgkmcnt(2)
	ds_bpermute_b32 v35, v47, v33
	s_waitcnt lgkmcnt(2)
	ds_bpermute_b32 v68, v47, v34
	;; [unrolled: 2-line block ×3, first 2 shown]
	s_mov_b32 s36, exec_lo
	v_cmpx_le_u32_e64 v48, v67
	s_cbranch_execz .LBB145_140
; %bb.139:                              ;   in Loop: Header=BB145_129 Depth=1
	s_waitcnt lgkmcnt(1)
	v_mov_b32_e32 v36, v68
	v_and_b32_e32 v70, 1, v66
	s_waitcnt lgkmcnt(0)
	v_and_b32_e32 v69, 1, v69
	v_cmp_gt_i64_e32 vcc_lo, v[33:34], v[35:36]
	v_cmp_eq_u32_e64 s14, 1, v70
	v_cmp_eq_u32_e64 s15, 1, v69
	v_cndmask_b32_e32 v36, v68, v34, vcc_lo
	v_cndmask_b32_e32 v35, v35, v33, vcc_lo
	v_cmp_eq_u16_sdwa vcc_lo, v66, v30 src0_sel:BYTE_0 src1_sel:DWORD
	s_or_b32 s14, s14, s15
	s_andn2_b32 s15, s33, exec_lo
	v_cndmask_b32_e64 v66, 0, 1, s14
	v_cndmask_b32_e32 v34, v34, v36, vcc_lo
	v_cndmask_b32_e64 v36, 0, 1, s14
	v_cndmask_b32_e32 v33, v33, v35, vcc_lo
	s_and_b32 s14, s14, exec_lo
	s_or_b32 s33, s15, s14
.LBB145_140:                            ;   in Loop: Header=BB145_129 Depth=1
	s_or_b32 exec_lo, exec_lo, s36
	s_waitcnt lgkmcnt(2)
	ds_bpermute_b32 v35, v49, v33
	s_waitcnt lgkmcnt(2)
	ds_bpermute_b32 v68, v49, v34
	;; [unrolled: 2-line block ×3, first 2 shown]
	s_mov_b32 s36, exec_lo
	v_cmpx_le_u32_e64 v50, v67
	s_cbranch_execz .LBB145_142
; %bb.141:                              ;   in Loop: Header=BB145_129 Depth=1
	s_waitcnt lgkmcnt(1)
	v_mov_b32_e32 v36, v68
	v_and_b32_e32 v70, 1, v66
	s_waitcnt lgkmcnt(0)
	v_and_b32_e32 v69, 1, v69
	v_cmp_gt_i64_e32 vcc_lo, v[33:34], v[35:36]
	v_cmp_eq_u32_e64 s14, 1, v70
	v_cmp_eq_u32_e64 s15, 1, v69
	v_cndmask_b32_e32 v36, v68, v34, vcc_lo
	v_cndmask_b32_e32 v35, v35, v33, vcc_lo
	v_cmp_eq_u16_sdwa vcc_lo, v66, v30 src0_sel:BYTE_0 src1_sel:DWORD
	s_or_b32 s14, s14, s15
	s_andn2_b32 s15, s33, exec_lo
	v_cndmask_b32_e64 v66, 0, 1, s14
	v_cndmask_b32_e32 v34, v34, v36, vcc_lo
	v_cndmask_b32_e64 v36, 0, 1, s14
	v_cndmask_b32_e32 v33, v33, v35, vcc_lo
	s_and_b32 s14, s14, exec_lo
	s_or_b32 s33, s15, s14
.LBB145_142:                            ;   in Loop: Header=BB145_129 Depth=1
	s_or_b32 exec_lo, exec_lo, s36
	s_waitcnt lgkmcnt(2)
	ds_bpermute_b32 v35, v51, v33
	s_waitcnt lgkmcnt(2)
	ds_bpermute_b32 v68, v51, v34
	;; [unrolled: 2-line block ×3, first 2 shown]
	s_mov_b32 s36, exec_lo
	v_cmpx_le_u32_e64 v53, v67
	s_cbranch_execz .LBB145_127
; %bb.143:                              ;   in Loop: Header=BB145_129 Depth=1
	s_waitcnt lgkmcnt(1)
	v_mov_b32_e32 v36, v68
	v_and_b32_e32 v67, 1, v66
	s_waitcnt lgkmcnt(0)
	v_and_b32_e32 v69, 1, v69
	v_cmp_gt_i64_e32 vcc_lo, v[33:34], v[35:36]
	v_cmp_eq_u32_e64 s14, 1, v67
	v_cmp_eq_u32_e64 s15, 1, v69
	v_cndmask_b32_e32 v36, v68, v34, vcc_lo
	v_cndmask_b32_e32 v35, v35, v33, vcc_lo
	v_cmp_eq_u16_sdwa vcc_lo, v66, v30 src0_sel:BYTE_0 src1_sel:DWORD
	s_or_b32 s14, s14, s15
	s_andn2_b32 s15, s33, exec_lo
	s_and_b32 s14, s14, exec_lo
	v_cndmask_b32_e32 v34, v34, v36, vcc_lo
	v_cndmask_b32_e32 v33, v33, v35, vcc_lo
	s_or_b32 s33, s15, s14
	s_branch .LBB145_127
.LBB145_144:
                                        ; implicit-def: $vgpr51_vgpr52
                                        ; implicit-def: $vgpr49_vgpr50
                                        ; implicit-def: $vgpr45_vgpr46
                                        ; implicit-def: $vgpr41_vgpr42
                                        ; implicit-def: $vgpr37_vgpr38
                                        ; implicit-def: $vgpr33_vgpr34
                                        ; implicit-def: $vgpr29_vgpr30
                                        ; implicit-def: $vgpr47_vgpr48
                                        ; implicit-def: $vgpr43_vgpr44
                                        ; implicit-def: $vgpr39_vgpr40
                                        ; implicit-def: $vgpr35_vgpr36
                                        ; implicit-def: $vgpr31_vgpr32
                                        ; implicit-def: $vgpr53_vgpr54
	s_cbranch_execnz .LBB145_150
	s_branch .LBB145_179
.LBB145_145:
	s_and_saveexec_b32 s14, s13
	s_cbranch_execz .LBB145_147
; %bb.146:
	v_cmp_gt_i64_e32 vcc_lo, v[5:6], v[31:32]
	v_mov_b32_e32 v29, 0
	v_or_b32_e32 v33, v41, v52
	s_mov_b32 s21, 0
	s_add_i32 s20, s6, 32
	s_lshl_b64 s[36:37], s[20:21], 4
	v_cndmask_b32_e32 v30, v31, v5, vcc_lo
	v_cndmask_b32_e32 v34, v32, v6, vcc_lo
	v_cmp_eq_u32_sdwa vcc_lo, v41, v29 src0_sel:BYTE_0 src1_sel:DWORD
	v_and_b32_e32 v33, 1, v33
	s_add_u32 s36, s22, s36
	s_addc_u32 s37, s23, s37
	v_cndmask_b32_e32 v6, v6, v34, vcc_lo
	v_cndmask_b32_e32 v5, v5, v30, vcc_lo
	v_mov_b32_e32 v30, 2
	v_mov_b32_e32 v34, s20
	global_store_dwordx2 v29, v[5:6], s[36:37]
	global_store_byte v29, v33, s[36:37] offset:8
	s_waitcnt lgkmcnt(0)
	s_waitcnt_vscnt null, 0x0
	buffer_gl1_inv
	buffer_gl0_inv
	global_store_byte v34, v30, s[24:25]
.LBB145_147:
	s_or_b32 exec_lo, exec_lo, s14
	v_cmp_eq_u32_e32 vcc_lo, 0, v0
	s_and_b32 exec_lo, exec_lo, vcc_lo
	s_cbranch_execz .LBB145_149
; %bb.148:
	v_mov_b32_e32 v5, 0
	ds_write_b64 v5, v[31:32] offset:112
	ds_write_b8 v5, v52 offset:120
.LBB145_149:
	s_or_b32 exec_lo, exec_lo, s16
	s_waitcnt lgkmcnt(2)
	v_cndmask_b32_e64 v3, v38, v3, s13
	s_waitcnt lgkmcnt(1)
	v_cndmask_b32_e64 v4, v39, v4, s13
	s_waitcnt lgkmcnt(0)
	v_cndmask_b32_e64 v5, v40, v37, s13
	v_mov_b32_e32 v29, 0
	s_waitcnt_vscnt null, 0x0
	s_barrier
	v_cmp_gt_i64_e32 vcc_lo, v[1:2], v[3:4]
	v_and_b32_e32 v31, 1, v5
	buffer_gl0_inv
	ds_read_b64 v[5:6], v29 offset:112
	v_and_b32_e32 v30, 1, v81
	v_cmp_eq_u16_sdwa s14, v81, v29 src0_sel:BYTE_0 src1_sel:DWORD
	v_cndmask_b32_e32 v3, v3, v1, vcc_lo
	v_cndmask_b32_e32 v4, v4, v2, vcc_lo
	v_cmp_eq_u32_e64 s13, 1, v31
	v_cmp_eq_u32_e64 s6, 1, v30
	v_cmp_eq_u32_e32 vcc_lo, 0, v0
	v_cndmask_b32_e64 v3, v1, v3, s14
	v_cndmask_b32_e64 v4, v2, v4, s14
	s_or_b32 s6, s6, s13
	v_cndmask_b32_e64 v30, 0, 1, s6
	v_cndmask_b32_e32 v3, v3, v1, vcc_lo
	v_cndmask_b32_e32 v4, v4, v2, vcc_lo
	;; [unrolled: 1-line block ×3, first 2 shown]
	s_waitcnt lgkmcnt(0)
	v_cmp_gt_i64_e32 vcc_lo, v[3:4], v[5:6]
	v_cndmask_b32_e32 v5, v5, v3, vcc_lo
	v_cndmask_b32_e32 v6, v6, v4, vcc_lo
	v_cmp_eq_u16_sdwa vcc_lo, v30, v29 src0_sel:BYTE_0 src1_sel:DWORD
	v_cndmask_b32_e32 v53, v3, v5, vcc_lo
	v_cndmask_b32_e32 v54, v4, v6, vcc_lo
	v_cmp_gt_i64_e32 vcc_lo, v[9:10], v[53:54]
	v_cndmask_b32_e32 v3, v53, v9, vcc_lo
	v_cndmask_b32_e32 v4, v54, v10, vcc_lo
	v_cndmask_b32_e64 v29, v9, v3, s1
	v_cndmask_b32_e64 v30, v10, v4, s1
	v_cmp_gt_i64_e32 vcc_lo, v[15:16], v[29:30]
	v_cndmask_b32_e32 v3, v29, v15, vcc_lo
	v_cndmask_b32_e32 v4, v30, v16, vcc_lo
	v_cndmask_b32_e64 v31, v15, v3, s2
	v_cndmask_b32_e64 v32, v16, v4, s2
	;; [unrolled: 5-line block ×12, first 2 shown]
	s_branch .LBB145_179
.LBB145_150:
	s_cmp_lg_u64 s[34:35], 0
	v_cmp_eq_u32_e32 vcc_lo, 0, v0
	s_cselect_b32 s1, -1, 0
	s_cmp_lg_u64 s[38:39], 0
	v_cmp_ne_u32_e64 s0, 0, v0
	s_cselect_b32 s2, -1, 0
	s_and_b32 s1, s1, s2
	s_and_b32 s1, vcc_lo, s1
	s_and_saveexec_b32 s2, s1
	s_cbranch_execz .LBB145_152
; %bb.151:
	v_mov_b32_e32 v5, 0
	s_clause 0x1
	global_load_dwordx2 v[3:4], v5, s[38:39]
	global_load_ubyte v6, v5, s[38:39] offset:8
	s_waitcnt vmcnt(1)
	v_cmp_gt_i64_e64 s1, v[1:2], v[3:4]
	v_cndmask_b32_e64 v3, v3, v1, s1
	v_cndmask_b32_e64 v4, v4, v2, s1
	v_cmp_eq_u16_sdwa s1, v81, v5 src0_sel:BYTE_0 src1_sel:DWORD
	s_waitcnt vmcnt(0)
	v_or_b32_e32 v5, v81, v6
	v_cndmask_b32_e64 v2, v2, v4, s1
	v_cndmask_b32_e64 v1, v1, v3, s1
	v_and_b32_e32 v81, 1, v5
.LBB145_152:
	s_or_b32 exec_lo, exec_lo, s2
	v_cmp_gt_i64_e64 s1, v[9:10], v[1:2]
	v_mov_b32_e32 v3, 0
	v_cmp_eq_u32_e64 s14, 1, v64
	v_cmp_eq_u32_e64 s15, 1, v62
	;; [unrolled: 1-line block ×4, first 2 shown]
	v_cndmask_b32_e64 v4, v1, v9, s1
	v_cndmask_b32_e64 v5, v2, v10, s1
	v_cmp_eq_u16_sdwa s1, v86, v3 src0_sel:BYTE_0 src1_sel:DWORD
	v_cmp_ne_u16_sdwa s21, v60, v3 src0_sel:BYTE_0 src1_sel:DWORD
	v_cmp_ne_u16_sdwa s33, v59, v3 src0_sel:BYTE_0 src1_sel:DWORD
	v_cmp_eq_u32_e64 s13, 1, v63
	v_cmp_ne_u16_sdwa s34, v58, v3 src0_sel:BYTE_0 src1_sel:DWORD
	v_cndmask_b32_e64 v30, v10, v5, s1
	v_cndmask_b32_e64 v29, v9, v4, s1
	s_or_b32 s15, s21, s15
	s_or_b32 s21, s33, s14
	;; [unrolled: 1-line block ×4, first 2 shown]
	v_cmp_gt_i64_e64 s2, v[15:16], v[29:30]
	s_or_b32 s15, s15, s21
	s_or_b32 s13, s15, s13
	s_mov_b32 s15, exec_lo
	v_cndmask_b32_e64 v4, v29, v15, s2
	v_cndmask_b32_e64 v5, v30, v16, s2
	v_cmp_eq_u16_sdwa s2, v85, v3 src0_sel:BYTE_0 src1_sel:DWORD
	v_cndmask_b32_e64 v32, v16, v5, s2
	v_cndmask_b32_e64 v31, v15, v4, s2
	v_cmp_gt_i64_e64 s3, v[13:14], v[31:32]
	v_cndmask_b32_e64 v4, v31, v13, s3
	v_cndmask_b32_e64 v5, v32, v14, s3
	v_cmp_eq_u16_sdwa s3, v84, v3 src0_sel:BYTE_0 src1_sel:DWORD
	v_cndmask_b32_e64 v34, v14, v5, s3
	v_cndmask_b32_e64 v33, v13, v4, s3
	v_cmp_gt_i64_e64 s4, v[19:20], v[33:34]
	;; [unrolled: 6-line block ×8, first 2 shown]
	v_cndmask_b32_e64 v4, v45, v71, s10
	v_cndmask_b32_e64 v5, v46, v72, s10
	v_cmp_eq_u16_sdwa s10, v77, v3 src0_sel:BYTE_0 src1_sel:DWORD
	v_cndmask_b32_e64 v48, v72, v5, s10
	v_cndmask_b32_e64 v47, v71, v4, s10
	v_or_b32_e32 v4, v81, v86
	v_cmp_gt_i64_e64 s11, v[7:8], v[47:48]
	v_cmp_ne_u16_sdwa s20, v4, v3 src0_sel:BYTE_0 src1_sel:DWORD
	v_cndmask_b32_e64 v5, v47, v7, s11
	v_cndmask_b32_e64 v6, v48, v8, s11
	v_cmp_eq_u16_sdwa s11, v75, v3 src0_sel:BYTE_0 src1_sel:DWORD
	s_or_b32 s16, s20, s12
	v_cmp_eq_u16_e64 s12, 0, v57
	v_and_b32_e32 v57, 15, v56
	v_cndmask_b32_e64 v50, v8, v6, s11
	v_cndmask_b32_e64 v49, v7, v5, s11
	v_cmp_gt_i64_e64 s14, v[11:12], v[49:50]
	v_cndmask_b32_e64 v3, v49, v11, s14
	v_cndmask_b32_e64 v4, v50, v12, s14
	s_or_b32 s14, s13, s16
	v_cndmask_b32_e64 v58, 0, 1, s14
	v_cndmask_b32_e64 v51, v11, v3, s12
	;; [unrolled: 1-line block ×3, first 2 shown]
	v_mov_b32_dpp v59, v58 row_shr:1 row_mask:0xf bank_mask:0xf
	v_mov_b32_e32 v3, v51
	v_mov_b32_dpp v53, v51 row_shr:1 row_mask:0xf bank_mask:0xf
	v_mov_b32_dpp v60, v52 row_shr:1 row_mask:0xf bank_mask:0xf
	v_mov_b32_e32 v4, v52
	v_mov_b32_e32 v6, v52
	;; [unrolled: 1-line block ×3, first 2 shown]
	v_cmpx_ne_u32_e32 0, v57
	s_cbranch_execz .LBB145_154
; %bb.153:
	v_mov_b32_e32 v54, v60
	v_and_or_b32 v58, v59, 1, v58
	v_cmp_gt_i64_e64 s13, v[51:52], v[53:54]
	s_or_b32 s13, s14, s13
	v_cndmask_b32_e64 v4, v60, v52, s13
	v_cndmask_b32_e64 v3, v53, v51, s13
	v_mov_b32_e32 v6, v4
	v_mov_b32_e32 v5, v3
.LBB145_154:
	s_or_b32 exec_lo, exec_lo, s15
	v_mov_b32_dpp v53, v5 row_shr:2 row_mask:0xf bank_mask:0xf
	v_mov_b32_dpp v60, v6 row_shr:2 row_mask:0xf bank_mask:0xf
	;; [unrolled: 1-line block ×3, first 2 shown]
	s_mov_b32 s14, exec_lo
	v_cmpx_lt_u32_e32 1, v57
	s_cbranch_execz .LBB145_156
; %bb.155:
	v_mov_b32_e32 v54, v60
	v_cmp_gt_i64_e64 s13, v[3:4], v[53:54]
	v_cndmask_b32_e64 v5, v60, v4, s13
	v_cndmask_b32_e64 v53, v53, v3, s13
	v_cmp_eq_u16_e64 s13, 0, v58
	v_cndmask_b32_e64 v6, v4, v5, s13
	v_or_b32_e32 v4, v59, v58
	v_cndmask_b32_e64 v5, v3, v53, s13
	v_and_b32_e32 v58, 1, v4
	v_mov_b32_e32 v3, v5
	v_mov_b32_e32 v4, v6
.LBB145_156:
	s_or_b32 exec_lo, exec_lo, s14
	v_mov_b32_dpp v53, v5 row_shr:4 row_mask:0xf bank_mask:0xf
	v_mov_b32_dpp v60, v6 row_shr:4 row_mask:0xf bank_mask:0xf
	;; [unrolled: 1-line block ×3, first 2 shown]
	s_mov_b32 s14, exec_lo
	v_cmpx_lt_u32_e32 3, v57
	s_cbranch_execz .LBB145_158
; %bb.157:
	v_mov_b32_e32 v54, v60
	v_cmp_gt_i64_e64 s13, v[3:4], v[53:54]
	v_cndmask_b32_e64 v5, v60, v4, s13
	v_cndmask_b32_e64 v53, v53, v3, s13
	v_cmp_eq_u16_e64 s13, 0, v58
	v_cndmask_b32_e64 v6, v4, v5, s13
	v_or_b32_e32 v4, v59, v58
	v_cndmask_b32_e64 v5, v3, v53, s13
	v_and_b32_e32 v58, 1, v4
	v_mov_b32_e32 v3, v5
	v_mov_b32_e32 v4, v6
.LBB145_158:
	s_or_b32 exec_lo, exec_lo, s14
	v_mov_b32_dpp v53, v5 row_shr:8 row_mask:0xf bank_mask:0xf
	v_mov_b32_dpp v60, v6 row_shr:8 row_mask:0xf bank_mask:0xf
	;; [unrolled: 1-line block ×3, first 2 shown]
	s_mov_b32 s15, exec_lo
	v_cmpx_lt_u32_e32 7, v57
	s_cbranch_execz .LBB145_160
; %bb.159:
	v_mov_b32_e32 v54, v60
	v_cmp_eq_u16_e64 s14, 0, v58
	v_cmp_gt_i64_e64 s13, v[3:4], v[53:54]
	v_cndmask_b32_e64 v5, v60, v4, s13
	v_cndmask_b32_e64 v6, v53, v3, s13
	v_or_b32_e32 v53, v59, v58
	v_cndmask_b32_e64 v4, v4, v5, s14
	v_cndmask_b32_e64 v3, v3, v6, s14
	v_and_b32_e32 v58, 1, v53
	v_mov_b32_e32 v6, v4
	v_mov_b32_e32 v5, v3
.LBB145_160:
	s_or_b32 exec_lo, exec_lo, s15
	ds_swizzle_b32 v5, v5 offset:swizzle(BROADCAST,32,15)
	ds_swizzle_b32 v53, v6 offset:swizzle(BROADCAST,32,15)
	;; [unrolled: 1-line block ×3, first 2 shown]
	v_and_b32_e32 v6, 16, v56
	v_mov_b32_e32 v57, v58
	s_mov_b32 s16, exec_lo
	v_cmpx_ne_u32_e32 0, v6
	s_cbranch_execz .LBB145_162
; %bb.161:
	s_waitcnt lgkmcnt(1)
	v_mov_b32_e32 v6, v53
	v_and_b32_e32 v57, 1, v58
	s_waitcnt lgkmcnt(0)
	v_and_b32_e32 v54, 1, v54
	v_cmp_gt_i64_e64 s13, v[3:4], v[5:6]
	v_cmp_eq_u32_e64 s14, 1, v57
	v_cmp_eq_u32_e64 s15, 1, v54
	v_cndmask_b32_e64 v6, v53, v4, s13
	v_cndmask_b32_e64 v5, v5, v3, s13
	v_cmp_eq_u16_e64 s13, 0, v58
	s_or_b32 s14, s14, s15
	v_cndmask_b32_e64 v58, 0, 1, s14
	v_cndmask_b32_e64 v57, 0, 1, s14
	;; [unrolled: 1-line block ×4, first 2 shown]
.LBB145_162:
	s_or_b32 exec_lo, exec_lo, s16
	s_waitcnt lgkmcnt(2)
	v_or_b32_e32 v5, 31, v0
	v_lshrrev_b32_e32 v59, 5, v0
	s_mov_b32 s14, exec_lo
	v_cmpx_eq_u32_e64 v0, v5
	s_cbranch_execz .LBB145_164
; %bb.163:
	v_lshlrev_b32_e32 v5, 4, v59
	ds_write_b64 v5, v[3:4]
	ds_write_b8 v5, v58 offset:8
.LBB145_164:
	s_or_b32 exec_lo, exec_lo, s14
	s_mov_b32 s20, exec_lo
	s_waitcnt lgkmcnt(0)
	s_barrier
	buffer_gl0_inv
	v_cmpx_gt_u32_e32 8, v0
	s_cbranch_execz .LBB145_172
; %bb.165:
	v_lshlrev_b32_e32 v58, 4, v0
	v_and_b32_e32 v60, 7, v56
	s_mov_b32 s15, exec_lo
	ds_read_b64 v[5:6], v58
	ds_read_b32 v63, v58 offset:8
	s_waitcnt lgkmcnt(1)
	v_mov_b32_dpp v53, v5 row_shr:1 row_mask:0xf bank_mask:0xf
	v_mov_b32_dpp v64, v6 row_shr:1 row_mask:0xf bank_mask:0xf
	s_waitcnt lgkmcnt(0)
	v_and_b32_e32 v62, 0xffffff00, v63
	v_mov_b32_dpp v65, v63 row_shr:1 row_mask:0xf bank_mask:0xf
	v_mov_b32_e32 v54, v63
	v_mov_b32_e32 v61, v63
	v_cmpx_ne_u32_e32 0, v60
	s_cbranch_execz .LBB145_167
; %bb.166:
	v_mov_b32_e32 v54, v64
	v_mov_b32_e32 v61, 0
	v_cmp_gt_i64_e64 s13, v[5:6], v[53:54]
	v_or_b32_e32 v54, v65, v63
	v_cmp_eq_u16_sdwa s14, v63, v61 src0_sel:BYTE_0 src1_sel:DWORD
	v_and_b32_e32 v61, 1, v54
	v_cndmask_b32_e64 v64, v64, v6, s13
	v_cndmask_b32_e64 v53, v53, v5, s13
	v_and_b32_e32 v54, 1, v54
	v_or_b32_e32 v63, v61, v62
	v_cndmask_b32_e64 v6, v6, v64, s14
	v_cndmask_b32_e64 v5, v5, v53, s14
.LBB145_167:
	s_or_b32 exec_lo, exec_lo, s15
	v_mov_b32_dpp v53, v5 row_shr:2 row_mask:0xf bank_mask:0xf
	v_mov_b32_dpp v64, v6 row_shr:2 row_mask:0xf bank_mask:0xf
	;; [unrolled: 1-line block ×3, first 2 shown]
	s_mov_b32 s21, exec_lo
	v_cmpx_lt_u32_e32 1, v60
	s_cbranch_execz .LBB145_169
; %bb.168:
	v_and_b32_e32 v63, 1, v61
	v_and_b32_e32 v65, 1, v65
	v_mov_b32_e32 v54, v64
	v_mov_b32_e32 v66, 0
	v_cmp_eq_u32_e64 s13, 1, v63
	v_cmp_eq_u32_e64 s14, 1, v65
	v_cmp_gt_i64_e64 s15, v[5:6], v[53:54]
	v_cmp_eq_u16_sdwa s16, v61, v66 src0_sel:BYTE_0 src1_sel:DWORD
	s_or_b32 s13, s13, s14
	v_cndmask_b32_e64 v63, v64, v6, s15
	v_cndmask_b32_e64 v54, 0, 1, s13
	;; [unrolled: 1-line block ×6, first 2 shown]
	v_or_b32_e32 v63, v62, v61
	v_mov_b32_e32 v61, v54
.LBB145_169:
	s_or_b32 exec_lo, exec_lo, s21
	v_mov_b32_dpp v53, v5 row_shr:4 row_mask:0xf bank_mask:0xf
	v_mov_b32_dpp v62, v6 row_shr:4 row_mask:0xf bank_mask:0xf
	;; [unrolled: 1-line block ×3, first 2 shown]
	s_mov_b32 s16, exec_lo
	v_cmpx_lt_u32_e32 3, v60
	s_cbranch_execz .LBB145_171
; %bb.170:
	v_mov_b32_e32 v54, v62
	v_and_b32_e32 v64, 1, v61
	v_mov_b32_e32 v60, 0
	v_cmp_gt_i64_e64 s13, v[5:6], v[53:54]
	v_and_b32_e32 v54, 1, v63
	v_cmp_eq_u32_e64 s15, 1, v64
	v_cmp_eq_u16_sdwa s14, v61, v60 src0_sel:BYTE_0 src1_sel:DWORD
	v_cndmask_b32_e64 v62, v62, v6, s13
	v_cndmask_b32_e64 v53, v53, v5, s13
	v_cmp_eq_u32_e64 s13, 1, v54
	v_cndmask_b32_e64 v6, v6, v62, s14
	v_cndmask_b32_e64 v5, v5, v53, s14
	s_or_b32 s13, s15, s13
	v_cndmask_b32_e64 v54, 0, 1, s13
.LBB145_171:
	s_or_b32 exec_lo, exec_lo, s16
	ds_write_b64 v58, v[5:6]
	ds_write_b8 v58, v54 offset:8
.LBB145_172:
	s_or_b32 exec_lo, exec_lo, s20
	v_mov_b32_e32 v5, 0
	v_mov_b32_e32 v6, 0
	s_mov_b32 s14, exec_lo
	s_waitcnt lgkmcnt(0)
	s_barrier
	buffer_gl0_inv
	v_cmpx_lt_u32_e32 31, v0
	s_cbranch_execz .LBB145_174
; %bb.173:
	v_lshl_add_u32 v5, v59, 4, -16
	ds_read_b64 v[5:6], v5
	s_waitcnt lgkmcnt(0)
	v_cmp_gt_i64_e64 s13, v[3:4], v[5:6]
	v_cndmask_b32_e64 v53, v5, v3, s13
	v_cndmask_b32_e64 v54, v6, v4, s13
	v_cmp_eq_u32_e64 s13, 0, v57
	v_cndmask_b32_e64 v4, v4, v54, s13
	v_cndmask_b32_e64 v3, v3, v53, s13
.LBB145_174:
	s_or_b32 exec_lo, exec_lo, s14
	v_add_nc_u32_e32 v53, -1, v56
	v_cmp_gt_i32_e64 s13, 0, v53
	v_cndmask_b32_e64 v53, v53, v56, s13
	v_lshlrev_b32_e32 v53, 2, v53
	ds_bpermute_b32 v3, v53, v3
	ds_bpermute_b32 v4, v53, v4
	s_and_saveexec_b32 s13, s0
	s_cbranch_execz .LBB145_176
; %bb.175:
	v_cmp_eq_u32_e64 s0, 0, v56
	;;#ASMSTART
	;;#ASMEND
	s_waitcnt lgkmcnt(0)
	v_cndmask_b32_e64 v4, v4, v6, s0
	v_cndmask_b32_e64 v3, v3, v5, s0
	v_mov_b32_e32 v5, 0
	v_cmp_gt_i64_e64 s0, v[1:2], v[3:4]
	v_cndmask_b32_e64 v4, v4, v2, s0
	v_cndmask_b32_e64 v3, v3, v1, s0
	v_cmp_eq_u16_sdwa s0, v81, v5 src0_sel:BYTE_0 src1_sel:DWORD
	v_cndmask_b32_e64 v2, v2, v4, s0
	v_cndmask_b32_e64 v1, v1, v3, s0
	v_cmp_gt_i64_e64 s0, v[9:10], v[1:2]
	v_cndmask_b32_e64 v3, v2, v10, s0
	v_cndmask_b32_e64 v4, v1, v9, s0
	v_cndmask_b32_e64 v30, v10, v3, s1
	v_cndmask_b32_e64 v29, v9, v4, s1
	v_cmp_gt_i64_e64 s0, v[15:16], v[29:30]
	v_cndmask_b32_e64 v3, v30, v16, s0
	v_cndmask_b32_e64 v4, v29, v15, s0
	;; [unrolled: 5-line block ×12, first 2 shown]
	v_cndmask_b32_e64 v52, v12, v3, s12
	v_cndmask_b32_e64 v51, v11, v4, s12
.LBB145_176:
	s_or_b32 exec_lo, exec_lo, s13
	s_and_saveexec_b32 s0, vcc_lo
	s_cbranch_execz .LBB145_178
; %bb.177:
	v_mov_b32_e32 v5, 0
	v_mov_b32_e32 v7, 2
	s_waitcnt lgkmcnt(0)
	ds_read_b64 v[3:4], v5 offset:112
	ds_read_u8 v6, v5 offset:120
	s_waitcnt lgkmcnt(1)
	global_store_dwordx2 v5, v[3:4], s[22:23] offset:512
	s_waitcnt lgkmcnt(0)
	global_store_byte v5, v6, s[22:23] offset:520
	s_waitcnt_vscnt null, 0x0
	buffer_gl1_inv
	buffer_gl0_inv
	global_store_byte v5, v7, s[24:25] offset:32
.LBB145_178:
	s_or_b32 exec_lo, exec_lo, s0
	v_mov_b32_e32 v54, v2
	v_mov_b32_e32 v53, v1
.LBB145_179:
	s_lshl_b64 s[0:1], s[28:29], 3
	s_add_u32 s2, s18, s0
	s_addc_u32 s3, s19, s1
	s_lshl_b64 s[0:1], s[30:31], 3
	s_add_u32 s0, s2, s0
	s_addc_u32 s1, s3, s1
	s_and_b32 vcc_lo, exec_lo, s17
	s_cbranch_vccz .LBB145_223
; %bb.180:
	v_mul_u32_u24_e32 v1, 13, v0
	s_add_i32 s27, s27, s26
	s_mov_b32 s2, exec_lo
	v_cmpx_gt_u32_e64 s27, v1
	s_cbranch_execz .LBB145_198
; %bb.181:
	v_add_nc_u32_e32 v2, 1, v1
	s_mov_b32 s3, exec_lo
	v_cmpx_gt_u32_e64 s27, v2
	s_cbranch_execz .LBB145_197
; %bb.182:
	v_add_nc_u32_e32 v2, 2, v1
	;; [unrolled: 5-line block ×8, first 2 shown]
	s_mov_b32 s10, exec_lo
	v_cmpx_gt_u32_e64 s27, v2
; %bb.189:
	v_add_nc_u32_e32 v2, 9, v1
	s_mov_b32 s11, exec_lo
	v_cmpx_gt_u32_e64 s27, v2
	s_or_b32 exec_lo, exec_lo, s11
; %bb.190:
	s_or_b32 exec_lo, exec_lo, s10
.LBB145_191:
	s_or_b32 exec_lo, exec_lo, s9
.LBB145_192:
	s_or_b32 exec_lo, exec_lo, s8
.LBB145_193:
	s_or_b32 exec_lo, exec_lo, s7
.LBB145_194:
	s_or_b32 exec_lo, exec_lo, s6
.LBB145_195:
	s_or_b32 exec_lo, exec_lo, s5
.LBB145_196:
	s_or_b32 exec_lo, exec_lo, s4
.LBB145_197:
	s_or_b32 exec_lo, exec_lo, s3
.LBB145_198:
	s_or_b32 exec_lo, exec_lo, s2
	v_lshlrev_b32_e32 v27, 3, v1
	s_waitcnt lgkmcnt(0)
	s_waitcnt_vscnt null, 0x0
	s_barrier
	buffer_gl0_inv
	v_sub_co_u32 v25, s2, s0, v55
	v_mad_i32_i24 v1, 0xffffffa0, v0, v27
	ds_write2_b64 v27, v[53:54], v[29:30] offset1:1
	ds_write2_b64 v27, v[31:32], v[33:34] offset0:2 offset1:3
	ds_write2_b64 v27, v[35:36], v[37:38] offset0:4 offset1:5
	;; [unrolled: 1-line block ×5, first 2 shown]
	ds_write_b64 v27, v[51:52] offset:96
	s_waitcnt lgkmcnt(0)
	s_barrier
	buffer_gl0_inv
	ds_read2st64_b64 v[21:24], v1 offset0:4 offset1:8
	ds_read2st64_b64 v[17:20], v1 offset0:12 offset1:16
	;; [unrolled: 1-line block ×6, first 2 shown]
	v_sub_co_ci_u32_e64 v26, null, s1, 0, s2
	s_mov_b32 s2, exec_lo
	v_cmpx_gt_u32_e64 s27, v0
	s_cbranch_execz .LBB145_200
; %bb.199:
	v_mul_i32_i24_e32 v28, 0xffffffa0, v0
	v_add_co_u32 v56, vcc_lo, -8, v25
	v_add_co_ci_u32_e64 v57, null, -1, v26, vcc_lo
	v_add_nc_u32_e32 v27, v27, v28
	ds_read_b64 v[27:28], v27
	s_waitcnt lgkmcnt(0)
	flat_store_dwordx2 v[56:57], v[27:28]
.LBB145_200:
	s_or_b32 exec_lo, exec_lo, s2
	v_or_b32_e32 v27, 0x100, v0
	s_mov_b32 s2, exec_lo
	v_cmpx_gt_u32_e64 s27, v27
	s_cbranch_execz .LBB145_202
; %bb.201:
	v_add_co_u32 v27, vcc_lo, 0xfffff7f8, v25
	v_add_co_ci_u32_e64 v28, null, -1, v26, vcc_lo
	s_waitcnt lgkmcnt(5)
	flat_store_dwordx2 v[27:28], v[21:22]
.LBB145_202:
	s_or_b32 exec_lo, exec_lo, s2
	s_waitcnt lgkmcnt(5)
	v_or_b32_e32 v21, 0x200, v0
	s_mov_b32 s2, exec_lo
	v_cmpx_gt_u32_e64 s27, v21
	s_cbranch_execz .LBB145_204
; %bb.203:
	v_add_co_u32 v21, vcc_lo, 0xffffeff8, v25
	v_add_co_ci_u32_e64 v22, null, -1, v26, vcc_lo
	flat_store_dwordx2 v[21:22], v[23:24]
.LBB145_204:
	s_or_b32 exec_lo, exec_lo, s2
	v_or_b32_e32 v21, 0x300, v0
	s_mov_b32 s2, exec_lo
	v_cmpx_gt_u32_e64 s27, v21
	s_cbranch_execz .LBB145_206
; %bb.205:
	v_add_co_u32 v21, vcc_lo, 0xffffe7f8, v25
	v_add_co_ci_u32_e64 v22, null, -1, v26, vcc_lo
	s_waitcnt lgkmcnt(4)
	flat_store_dwordx2 v[21:22], v[17:18]
.LBB145_206:
	s_or_b32 exec_lo, exec_lo, s2
	s_waitcnt lgkmcnt(4)
	v_or_b32_e32 v17, 0x400, v0
	s_mov_b32 s2, exec_lo
	v_cmpx_gt_u32_e64 s27, v17
	s_cbranch_execz .LBB145_208
; %bb.207:
	v_add_co_u32 v17, vcc_lo, 0xffffdff8, v25
	v_add_co_ci_u32_e64 v18, null, -1, v26, vcc_lo
	flat_store_dwordx2 v[17:18], v[19:20]
.LBB145_208:
	;; [unrolled: 22-line block ×5, first 2 shown]
	s_or_b32 exec_lo, exec_lo, s2
	v_sub_co_u32 v5, s2, 0, v0
	v_or_b32_e32 v7, 0xb00, v0
	v_sub_co_ci_u32_e64 v6, null, 0, 0, s2
	s_mov_b32 s2, exec_lo
	v_cmpx_gt_u32_e64 s27, v7
	s_cbranch_execz .LBB145_222
; %bb.221:
	v_add_co_u32 v7, vcc_lo, 0xffffa7f8, v25
	v_add_co_ci_u32_e64 v8, null, -1, v26, vcc_lo
	s_waitcnt lgkmcnt(0)
	flat_store_dwordx2 v[7:8], v[1:2]
.LBB145_222:
	s_or_b32 exec_lo, exec_lo, s2
	s_waitcnt lgkmcnt(0)
	v_or_b32_e32 v1, 0xc00, v0
	v_cmp_gt_u32_e64 s2, s27, v1
	s_branch .LBB145_225
.LBB145_223:
	s_mov_b32 s2, 0
                                        ; implicit-def: $vgpr3_vgpr4
                                        ; implicit-def: $vgpr5_vgpr6
	s_cbranch_execz .LBB145_225
; %bb.224:
	v_mul_i32_i24_e32 v2, 0xffffffa0, v0
	v_mul_u32_u24_e32 v1, 0x68, v0
	s_waitcnt lgkmcnt(0)
	s_waitcnt_vscnt null, 0x0
	s_barrier
	buffer_gl0_inv
	v_mad_u32_u24 v2, 0x68, v0, v2
	ds_write2_b64 v1, v[53:54], v[29:30] offset1:1
	ds_write2_b64 v1, v[31:32], v[33:34] offset0:2 offset1:3
	ds_write2_b64 v1, v[35:36], v[37:38] offset0:4 offset1:5
	;; [unrolled: 1-line block ×5, first 2 shown]
	ds_write_b64 v1, v[51:52] offset:96
	s_waitcnt lgkmcnt(0)
	s_barrier
	buffer_gl0_inv
	ds_read2st64_b64 v[7:10], v2 offset1:4
	ds_read2st64_b64 v[11:14], v2 offset0:8 offset1:12
	ds_read2st64_b64 v[15:18], v2 offset0:16 offset1:20
	;; [unrolled: 1-line block ×5, first 2 shown]
	v_sub_co_u32 v35, s3, s0, v55
	v_sub_co_ci_u32_e64 v36, null, s1, 0, s3
	ds_read_b64 v[3:4], v2 offset:24576
	v_add_co_u32 v1, vcc_lo, -8, v35
	v_add_co_ci_u32_e64 v2, null, -1, v36, vcc_lo
	v_add_co_u32 v31, vcc_lo, 0xfffff7f8, v35
	v_add_co_ci_u32_e64 v32, null, -1, v36, vcc_lo
	v_add_co_u32 v33, vcc_lo, 0xffffeff8, v35
	v_add_co_ci_u32_e64 v34, null, -1, v36, vcc_lo
	v_sub_co_u32 v5, s3, 0, v0
	v_add_co_u32 v0, vcc_lo, 0xffffe7f8, v35
	s_waitcnt lgkmcnt(6)
	flat_store_dwordx2 v[1:2], v[7:8]
	flat_store_dwordx2 v[31:32], v[9:10]
	s_waitcnt lgkmcnt(7)
	flat_store_dwordx2 v[33:34], v[11:12]
	v_add_co_ci_u32_e64 v1, null, -1, v36, vcc_lo
	v_add_co_u32 v7, vcc_lo, 0xffffdff8, v35
	v_add_co_ci_u32_e64 v8, null, -1, v36, vcc_lo
	v_add_co_u32 v9, vcc_lo, 0xffffd7f8, v35
	;; [unrolled: 2-line block ×4, first 2 shown]
	v_add_co_ci_u32_e64 v32, null, -1, v36, vcc_lo
	flat_store_dwordx2 v[0:1], v[13:14]
	s_waitcnt lgkmcnt(8)
	flat_store_dwordx2 v[7:8], v[15:16]
	flat_store_dwordx2 v[9:10], v[17:18]
	s_waitcnt lgkmcnt(9)
	flat_store_dwordx2 v[11:12], v[19:20]
	flat_store_dwordx2 v[31:32], v[21:22]
	v_add_co_u32 v0, vcc_lo, 0xffffbff8, v35
	v_add_co_ci_u32_e64 v1, null, -1, v36, vcc_lo
	v_add_co_u32 v7, vcc_lo, 0xffffb7f8, v35
	v_add_co_ci_u32_e64 v8, null, -1, v36, vcc_lo
	;; [unrolled: 2-line block ×3, first 2 shown]
	v_add_co_u32 v11, vcc_lo, 0xffffa7f8, v35
	v_sub_co_ci_u32_e64 v6, null, 0, 0, s3
	v_add_co_ci_u32_e64 v12, null, -1, v36, vcc_lo
	s_or_b32 s2, s2, exec_lo
	s_waitcnt lgkmcnt(10)
	flat_store_dwordx2 v[0:1], v[23:24]
	flat_store_dwordx2 v[7:8], v[25:26]
	s_waitcnt lgkmcnt(11)
	flat_store_dwordx2 v[9:10], v[27:28]
	flat_store_dwordx2 v[11:12], v[29:30]
.LBB145_225:
	s_and_saveexec_b32 s3, s2
	s_cbranch_execz .LBB145_227
; %bb.226:
	v_lshlrev_b64 v[0:1], 3, v[5:6]
	v_add_co_u32 v0, vcc_lo, s0, v0
	v_add_co_ci_u32_e64 v1, null, s1, v1, vcc_lo
	v_add_co_u32 v0, vcc_lo, 0xffff9ff8, v0
	v_add_co_ci_u32_e64 v1, null, -1, v1, vcc_lo
	s_waitcnt lgkmcnt(0)
	flat_store_dwordx2 v[0:1], v[3:4]
	s_endpgm
.LBB145_227:
	s_endpgm
	.section	.rodata,"a",@progbits
	.p2align	6, 0x0
	.amdhsa_kernel _ZN7rocprim17ROCPRIM_400000_NS6detail17trampoline_kernelINS0_14default_configENS1_27scan_by_key_config_selectorIllEEZZNS1_16scan_by_key_implILNS1_25lookback_scan_determinismE0ELb0ES3_N6thrust23THRUST_200600_302600_NS16reverse_iteratorIPKlEESD_NSA_IPlEElN6hipcub16HIPCUB_304000_NS3MaxENSH_8EqualityElEE10hipError_tPvRmT2_T3_T4_T5_mT6_T7_P12ihipStream_tbENKUlT_T0_E_clISt17integral_constantIbLb0EES10_EEDaSV_SW_EUlSV_E_NS1_11comp_targetILNS1_3genE8ELNS1_11target_archE1030ELNS1_3gpuE2ELNS1_3repE0EEENS1_30default_config_static_selectorELNS0_4arch9wavefront6targetE0EEEvT1_
		.amdhsa_group_segment_fixed_size 30720
		.amdhsa_private_segment_fixed_size 0
		.amdhsa_kernarg_size 136
		.amdhsa_user_sgpr_count 6
		.amdhsa_user_sgpr_private_segment_buffer 1
		.amdhsa_user_sgpr_dispatch_ptr 0
		.amdhsa_user_sgpr_queue_ptr 0
		.amdhsa_user_sgpr_kernarg_segment_ptr 1
		.amdhsa_user_sgpr_dispatch_id 0
		.amdhsa_user_sgpr_flat_scratch_init 0
		.amdhsa_user_sgpr_private_segment_size 0
		.amdhsa_wavefront_size32 1
		.amdhsa_uses_dynamic_stack 0
		.amdhsa_system_sgpr_private_segment_wavefront_offset 0
		.amdhsa_system_sgpr_workgroup_id_x 1
		.amdhsa_system_sgpr_workgroup_id_y 0
		.amdhsa_system_sgpr_workgroup_id_z 0
		.amdhsa_system_sgpr_workgroup_info 0
		.amdhsa_system_vgpr_workitem_id 0
		.amdhsa_next_free_vgpr 113
		.amdhsa_next_free_sgpr 57
		.amdhsa_reserve_vcc 1
		.amdhsa_reserve_flat_scratch 1
		.amdhsa_float_round_mode_32 0
		.amdhsa_float_round_mode_16_64 0
		.amdhsa_float_denorm_mode_32 3
		.amdhsa_float_denorm_mode_16_64 3
		.amdhsa_dx10_clamp 1
		.amdhsa_ieee_mode 1
		.amdhsa_fp16_overflow 0
		.amdhsa_workgroup_processor_mode 1
		.amdhsa_memory_ordered 1
		.amdhsa_forward_progress 1
		.amdhsa_shared_vgpr_count 0
		.amdhsa_exception_fp_ieee_invalid_op 0
		.amdhsa_exception_fp_denorm_src 0
		.amdhsa_exception_fp_ieee_div_zero 0
		.amdhsa_exception_fp_ieee_overflow 0
		.amdhsa_exception_fp_ieee_underflow 0
		.amdhsa_exception_fp_ieee_inexact 0
		.amdhsa_exception_int_div_zero 0
	.end_amdhsa_kernel
	.section	.text._ZN7rocprim17ROCPRIM_400000_NS6detail17trampoline_kernelINS0_14default_configENS1_27scan_by_key_config_selectorIllEEZZNS1_16scan_by_key_implILNS1_25lookback_scan_determinismE0ELb0ES3_N6thrust23THRUST_200600_302600_NS16reverse_iteratorIPKlEESD_NSA_IPlEElN6hipcub16HIPCUB_304000_NS3MaxENSH_8EqualityElEE10hipError_tPvRmT2_T3_T4_T5_mT6_T7_P12ihipStream_tbENKUlT_T0_E_clISt17integral_constantIbLb0EES10_EEDaSV_SW_EUlSV_E_NS1_11comp_targetILNS1_3genE8ELNS1_11target_archE1030ELNS1_3gpuE2ELNS1_3repE0EEENS1_30default_config_static_selectorELNS0_4arch9wavefront6targetE0EEEvT1_,"axG",@progbits,_ZN7rocprim17ROCPRIM_400000_NS6detail17trampoline_kernelINS0_14default_configENS1_27scan_by_key_config_selectorIllEEZZNS1_16scan_by_key_implILNS1_25lookback_scan_determinismE0ELb0ES3_N6thrust23THRUST_200600_302600_NS16reverse_iteratorIPKlEESD_NSA_IPlEElN6hipcub16HIPCUB_304000_NS3MaxENSH_8EqualityElEE10hipError_tPvRmT2_T3_T4_T5_mT6_T7_P12ihipStream_tbENKUlT_T0_E_clISt17integral_constantIbLb0EES10_EEDaSV_SW_EUlSV_E_NS1_11comp_targetILNS1_3genE8ELNS1_11target_archE1030ELNS1_3gpuE2ELNS1_3repE0EEENS1_30default_config_static_selectorELNS0_4arch9wavefront6targetE0EEEvT1_,comdat
.Lfunc_end145:
	.size	_ZN7rocprim17ROCPRIM_400000_NS6detail17trampoline_kernelINS0_14default_configENS1_27scan_by_key_config_selectorIllEEZZNS1_16scan_by_key_implILNS1_25lookback_scan_determinismE0ELb0ES3_N6thrust23THRUST_200600_302600_NS16reverse_iteratorIPKlEESD_NSA_IPlEElN6hipcub16HIPCUB_304000_NS3MaxENSH_8EqualityElEE10hipError_tPvRmT2_T3_T4_T5_mT6_T7_P12ihipStream_tbENKUlT_T0_E_clISt17integral_constantIbLb0EES10_EEDaSV_SW_EUlSV_E_NS1_11comp_targetILNS1_3genE8ELNS1_11target_archE1030ELNS1_3gpuE2ELNS1_3repE0EEENS1_30default_config_static_selectorELNS0_4arch9wavefront6targetE0EEEvT1_, .Lfunc_end145-_ZN7rocprim17ROCPRIM_400000_NS6detail17trampoline_kernelINS0_14default_configENS1_27scan_by_key_config_selectorIllEEZZNS1_16scan_by_key_implILNS1_25lookback_scan_determinismE0ELb0ES3_N6thrust23THRUST_200600_302600_NS16reverse_iteratorIPKlEESD_NSA_IPlEElN6hipcub16HIPCUB_304000_NS3MaxENSH_8EqualityElEE10hipError_tPvRmT2_T3_T4_T5_mT6_T7_P12ihipStream_tbENKUlT_T0_E_clISt17integral_constantIbLb0EES10_EEDaSV_SW_EUlSV_E_NS1_11comp_targetILNS1_3genE8ELNS1_11target_archE1030ELNS1_3gpuE2ELNS1_3repE0EEENS1_30default_config_static_selectorELNS0_4arch9wavefront6targetE0EEEvT1_
                                        ; -- End function
	.set _ZN7rocprim17ROCPRIM_400000_NS6detail17trampoline_kernelINS0_14default_configENS1_27scan_by_key_config_selectorIllEEZZNS1_16scan_by_key_implILNS1_25lookback_scan_determinismE0ELb0ES3_N6thrust23THRUST_200600_302600_NS16reverse_iteratorIPKlEESD_NSA_IPlEElN6hipcub16HIPCUB_304000_NS3MaxENSH_8EqualityElEE10hipError_tPvRmT2_T3_T4_T5_mT6_T7_P12ihipStream_tbENKUlT_T0_E_clISt17integral_constantIbLb0EES10_EEDaSV_SW_EUlSV_E_NS1_11comp_targetILNS1_3genE8ELNS1_11target_archE1030ELNS1_3gpuE2ELNS1_3repE0EEENS1_30default_config_static_selectorELNS0_4arch9wavefront6targetE0EEEvT1_.num_vgpr, 100
	.set _ZN7rocprim17ROCPRIM_400000_NS6detail17trampoline_kernelINS0_14default_configENS1_27scan_by_key_config_selectorIllEEZZNS1_16scan_by_key_implILNS1_25lookback_scan_determinismE0ELb0ES3_N6thrust23THRUST_200600_302600_NS16reverse_iteratorIPKlEESD_NSA_IPlEElN6hipcub16HIPCUB_304000_NS3MaxENSH_8EqualityElEE10hipError_tPvRmT2_T3_T4_T5_mT6_T7_P12ihipStream_tbENKUlT_T0_E_clISt17integral_constantIbLb0EES10_EEDaSV_SW_EUlSV_E_NS1_11comp_targetILNS1_3genE8ELNS1_11target_archE1030ELNS1_3gpuE2ELNS1_3repE0EEENS1_30default_config_static_selectorELNS0_4arch9wavefront6targetE0EEEvT1_.num_agpr, 0
	.set _ZN7rocprim17ROCPRIM_400000_NS6detail17trampoline_kernelINS0_14default_configENS1_27scan_by_key_config_selectorIllEEZZNS1_16scan_by_key_implILNS1_25lookback_scan_determinismE0ELb0ES3_N6thrust23THRUST_200600_302600_NS16reverse_iteratorIPKlEESD_NSA_IPlEElN6hipcub16HIPCUB_304000_NS3MaxENSH_8EqualityElEE10hipError_tPvRmT2_T3_T4_T5_mT6_T7_P12ihipStream_tbENKUlT_T0_E_clISt17integral_constantIbLb0EES10_EEDaSV_SW_EUlSV_E_NS1_11comp_targetILNS1_3genE8ELNS1_11target_archE1030ELNS1_3gpuE2ELNS1_3repE0EEENS1_30default_config_static_selectorELNS0_4arch9wavefront6targetE0EEEvT1_.numbered_sgpr, 57
	.set _ZN7rocprim17ROCPRIM_400000_NS6detail17trampoline_kernelINS0_14default_configENS1_27scan_by_key_config_selectorIllEEZZNS1_16scan_by_key_implILNS1_25lookback_scan_determinismE0ELb0ES3_N6thrust23THRUST_200600_302600_NS16reverse_iteratorIPKlEESD_NSA_IPlEElN6hipcub16HIPCUB_304000_NS3MaxENSH_8EqualityElEE10hipError_tPvRmT2_T3_T4_T5_mT6_T7_P12ihipStream_tbENKUlT_T0_E_clISt17integral_constantIbLb0EES10_EEDaSV_SW_EUlSV_E_NS1_11comp_targetILNS1_3genE8ELNS1_11target_archE1030ELNS1_3gpuE2ELNS1_3repE0EEENS1_30default_config_static_selectorELNS0_4arch9wavefront6targetE0EEEvT1_.num_named_barrier, 0
	.set _ZN7rocprim17ROCPRIM_400000_NS6detail17trampoline_kernelINS0_14default_configENS1_27scan_by_key_config_selectorIllEEZZNS1_16scan_by_key_implILNS1_25lookback_scan_determinismE0ELb0ES3_N6thrust23THRUST_200600_302600_NS16reverse_iteratorIPKlEESD_NSA_IPlEElN6hipcub16HIPCUB_304000_NS3MaxENSH_8EqualityElEE10hipError_tPvRmT2_T3_T4_T5_mT6_T7_P12ihipStream_tbENKUlT_T0_E_clISt17integral_constantIbLb0EES10_EEDaSV_SW_EUlSV_E_NS1_11comp_targetILNS1_3genE8ELNS1_11target_archE1030ELNS1_3gpuE2ELNS1_3repE0EEENS1_30default_config_static_selectorELNS0_4arch9wavefront6targetE0EEEvT1_.private_seg_size, 0
	.set _ZN7rocprim17ROCPRIM_400000_NS6detail17trampoline_kernelINS0_14default_configENS1_27scan_by_key_config_selectorIllEEZZNS1_16scan_by_key_implILNS1_25lookback_scan_determinismE0ELb0ES3_N6thrust23THRUST_200600_302600_NS16reverse_iteratorIPKlEESD_NSA_IPlEElN6hipcub16HIPCUB_304000_NS3MaxENSH_8EqualityElEE10hipError_tPvRmT2_T3_T4_T5_mT6_T7_P12ihipStream_tbENKUlT_T0_E_clISt17integral_constantIbLb0EES10_EEDaSV_SW_EUlSV_E_NS1_11comp_targetILNS1_3genE8ELNS1_11target_archE1030ELNS1_3gpuE2ELNS1_3repE0EEENS1_30default_config_static_selectorELNS0_4arch9wavefront6targetE0EEEvT1_.uses_vcc, 1
	.set _ZN7rocprim17ROCPRIM_400000_NS6detail17trampoline_kernelINS0_14default_configENS1_27scan_by_key_config_selectorIllEEZZNS1_16scan_by_key_implILNS1_25lookback_scan_determinismE0ELb0ES3_N6thrust23THRUST_200600_302600_NS16reverse_iteratorIPKlEESD_NSA_IPlEElN6hipcub16HIPCUB_304000_NS3MaxENSH_8EqualityElEE10hipError_tPvRmT2_T3_T4_T5_mT6_T7_P12ihipStream_tbENKUlT_T0_E_clISt17integral_constantIbLb0EES10_EEDaSV_SW_EUlSV_E_NS1_11comp_targetILNS1_3genE8ELNS1_11target_archE1030ELNS1_3gpuE2ELNS1_3repE0EEENS1_30default_config_static_selectorELNS0_4arch9wavefront6targetE0EEEvT1_.uses_flat_scratch, 1
	.set _ZN7rocprim17ROCPRIM_400000_NS6detail17trampoline_kernelINS0_14default_configENS1_27scan_by_key_config_selectorIllEEZZNS1_16scan_by_key_implILNS1_25lookback_scan_determinismE0ELb0ES3_N6thrust23THRUST_200600_302600_NS16reverse_iteratorIPKlEESD_NSA_IPlEElN6hipcub16HIPCUB_304000_NS3MaxENSH_8EqualityElEE10hipError_tPvRmT2_T3_T4_T5_mT6_T7_P12ihipStream_tbENKUlT_T0_E_clISt17integral_constantIbLb0EES10_EEDaSV_SW_EUlSV_E_NS1_11comp_targetILNS1_3genE8ELNS1_11target_archE1030ELNS1_3gpuE2ELNS1_3repE0EEENS1_30default_config_static_selectorELNS0_4arch9wavefront6targetE0EEEvT1_.has_dyn_sized_stack, 0
	.set _ZN7rocprim17ROCPRIM_400000_NS6detail17trampoline_kernelINS0_14default_configENS1_27scan_by_key_config_selectorIllEEZZNS1_16scan_by_key_implILNS1_25lookback_scan_determinismE0ELb0ES3_N6thrust23THRUST_200600_302600_NS16reverse_iteratorIPKlEESD_NSA_IPlEElN6hipcub16HIPCUB_304000_NS3MaxENSH_8EqualityElEE10hipError_tPvRmT2_T3_T4_T5_mT6_T7_P12ihipStream_tbENKUlT_T0_E_clISt17integral_constantIbLb0EES10_EEDaSV_SW_EUlSV_E_NS1_11comp_targetILNS1_3genE8ELNS1_11target_archE1030ELNS1_3gpuE2ELNS1_3repE0EEENS1_30default_config_static_selectorELNS0_4arch9wavefront6targetE0EEEvT1_.has_recursion, 0
	.set _ZN7rocprim17ROCPRIM_400000_NS6detail17trampoline_kernelINS0_14default_configENS1_27scan_by_key_config_selectorIllEEZZNS1_16scan_by_key_implILNS1_25lookback_scan_determinismE0ELb0ES3_N6thrust23THRUST_200600_302600_NS16reverse_iteratorIPKlEESD_NSA_IPlEElN6hipcub16HIPCUB_304000_NS3MaxENSH_8EqualityElEE10hipError_tPvRmT2_T3_T4_T5_mT6_T7_P12ihipStream_tbENKUlT_T0_E_clISt17integral_constantIbLb0EES10_EEDaSV_SW_EUlSV_E_NS1_11comp_targetILNS1_3genE8ELNS1_11target_archE1030ELNS1_3gpuE2ELNS1_3repE0EEENS1_30default_config_static_selectorELNS0_4arch9wavefront6targetE0EEEvT1_.has_indirect_call, 0
	.section	.AMDGPU.csdata,"",@progbits
; Kernel info:
; codeLenInByte = 16152
; TotalNumSgprs: 59
; NumVgprs: 100
; ScratchSize: 0
; MemoryBound: 0
; FloatMode: 240
; IeeeMode: 1
; LDSByteSize: 30720 bytes/workgroup (compile time only)
; SGPRBlocks: 0
; VGPRBlocks: 14
; NumSGPRsForWavesPerEU: 59
; NumVGPRsForWavesPerEU: 113
; Occupancy: 8
; WaveLimiterHint : 1
; COMPUTE_PGM_RSRC2:SCRATCH_EN: 0
; COMPUTE_PGM_RSRC2:USER_SGPR: 6
; COMPUTE_PGM_RSRC2:TRAP_HANDLER: 0
; COMPUTE_PGM_RSRC2:TGID_X_EN: 1
; COMPUTE_PGM_RSRC2:TGID_Y_EN: 0
; COMPUTE_PGM_RSRC2:TGID_Z_EN: 0
; COMPUTE_PGM_RSRC2:TIDIG_COMP_CNT: 0
	.section	.text._ZN7rocprim17ROCPRIM_400000_NS6detail30init_device_scan_by_key_kernelINS1_19lookback_scan_stateINS0_5tupleIJlbEEELb1ELb0EEEN6thrust23THRUST_200600_302600_NS16reverse_iteratorIPKlEEjNS1_16block_id_wrapperIjLb1EEEEEvT_jjPNSF_10value_typeET0_PNSt15iterator_traitsISI_E10value_typeEmT1_T2_,"axG",@progbits,_ZN7rocprim17ROCPRIM_400000_NS6detail30init_device_scan_by_key_kernelINS1_19lookback_scan_stateINS0_5tupleIJlbEEELb1ELb0EEEN6thrust23THRUST_200600_302600_NS16reverse_iteratorIPKlEEjNS1_16block_id_wrapperIjLb1EEEEEvT_jjPNSF_10value_typeET0_PNSt15iterator_traitsISI_E10value_typeEmT1_T2_,comdat
	.protected	_ZN7rocprim17ROCPRIM_400000_NS6detail30init_device_scan_by_key_kernelINS1_19lookback_scan_stateINS0_5tupleIJlbEEELb1ELb0EEEN6thrust23THRUST_200600_302600_NS16reverse_iteratorIPKlEEjNS1_16block_id_wrapperIjLb1EEEEEvT_jjPNSF_10value_typeET0_PNSt15iterator_traitsISI_E10value_typeEmT1_T2_ ; -- Begin function _ZN7rocprim17ROCPRIM_400000_NS6detail30init_device_scan_by_key_kernelINS1_19lookback_scan_stateINS0_5tupleIJlbEEELb1ELb0EEEN6thrust23THRUST_200600_302600_NS16reverse_iteratorIPKlEEjNS1_16block_id_wrapperIjLb1EEEEEvT_jjPNSF_10value_typeET0_PNSt15iterator_traitsISI_E10value_typeEmT1_T2_
	.globl	_ZN7rocprim17ROCPRIM_400000_NS6detail30init_device_scan_by_key_kernelINS1_19lookback_scan_stateINS0_5tupleIJlbEEELb1ELb0EEEN6thrust23THRUST_200600_302600_NS16reverse_iteratorIPKlEEjNS1_16block_id_wrapperIjLb1EEEEEvT_jjPNSF_10value_typeET0_PNSt15iterator_traitsISI_E10value_typeEmT1_T2_
	.p2align	8
	.type	_ZN7rocprim17ROCPRIM_400000_NS6detail30init_device_scan_by_key_kernelINS1_19lookback_scan_stateINS0_5tupleIJlbEEELb1ELb0EEEN6thrust23THRUST_200600_302600_NS16reverse_iteratorIPKlEEjNS1_16block_id_wrapperIjLb1EEEEEvT_jjPNSF_10value_typeET0_PNSt15iterator_traitsISI_E10value_typeEmT1_T2_,@function
_ZN7rocprim17ROCPRIM_400000_NS6detail30init_device_scan_by_key_kernelINS1_19lookback_scan_stateINS0_5tupleIJlbEEELb1ELb0EEEN6thrust23THRUST_200600_302600_NS16reverse_iteratorIPKlEEjNS1_16block_id_wrapperIjLb1EEEEEvT_jjPNSF_10value_typeET0_PNSt15iterator_traitsISI_E10value_typeEmT1_T2_: ; @_ZN7rocprim17ROCPRIM_400000_NS6detail30init_device_scan_by_key_kernelINS1_19lookback_scan_stateINS0_5tupleIJlbEEELb1ELb0EEEN6thrust23THRUST_200600_302600_NS16reverse_iteratorIPKlEEjNS1_16block_id_wrapperIjLb1EEEEEvT_jjPNSF_10value_typeET0_PNSt15iterator_traitsISI_E10value_typeEmT1_T2_
; %bb.0:
	s_clause 0x2
	s_load_dword s0, s[4:5], 0x5c
	s_load_dwordx8 s[8:15], s[4:5], 0x10
	s_load_dword s18, s[4:5], 0x50
	s_waitcnt lgkmcnt(0)
	s_and_b32 s19, s0, 0xffff
	s_cmp_eq_u64 s[12:13], 0
	v_mad_u64_u32 v[0:1], null, s6, s19, v[0:1]
	s_cbranch_scc1 .LBB146_9
; %bb.1:
	s_cmp_lt_u32 s11, s10
	s_mov_b32 s7, 0
	s_cselect_b32 s0, s11, 0
	s_mov_b32 s20, exec_lo
	v_cmpx_eq_u32_e64 s0, v0
	s_cbranch_execz .LBB146_8
; %bb.2:
	s_add_i32 s6, s11, 32
	s_load_dwordx4 s[0:3], s[4:5], 0x0
	v_mov_b32_e32 v1, s6
	s_add_u32 s16, s8, s6
	s_addc_u32 s17, s9, 0
	global_load_ubyte v2, v1, s[8:9] glc dlc
	v_mov_b32_e32 v1, 0
	s_waitcnt vmcnt(0)
	v_cmp_ne_u32_sdwa s11, v2, v1 src0_sel:WORD_0 src1_sel:DWORD
	v_readfirstlane_b32 s21, v2
	s_and_b32 vcc_lo, exec_lo, s11
	s_cbranch_vccnz .LBB146_7
; %bb.3:
	s_mov_b32 s11, 1
.LBB146_4:                              ; =>This Loop Header: Depth=1
                                        ;     Child Loop BB146_5 Depth 2
	s_mov_b32 s21, s11
.LBB146_5:                              ;   Parent Loop BB146_4 Depth=1
                                        ; =>  This Inner Loop Header: Depth=2
	s_add_i32 s21, s21, -1
	s_sleep 1
	s_cmp_eq_u32 s21, 0
	s_cbranch_scc0 .LBB146_5
; %bb.6:                                ;   in Loop: Header=BB146_4 Depth=1
	global_load_ubyte v2, v1, s[16:17] glc dlc
	s_cmp_lt_u32 s11, 32
	s_cselect_b32 s21, -1, 0
	s_cmp_lg_u32 s21, 0
	s_addc_u32 s11, s11, 0
	s_waitcnt vmcnt(0)
	v_cmp_ne_u32_sdwa s22, v2, v1 src0_sel:WORD_0 src1_sel:DWORD
	v_readfirstlane_b32 s21, v2
	s_and_b32 vcc_lo, exec_lo, s22
	s_cbranch_vccz .LBB146_4
.LBB146_7:
	s_and_b32 s11, 0xffff, s21
	v_mov_b32_e32 v3, 0
	s_cmp_eq_u32 s11, 1
	s_waitcnt lgkmcnt(0)
	buffer_gl1_inv
	buffer_gl0_inv
	s_cselect_b32 s3, s1, s3
	s_cselect_b32 s2, s0, s2
	s_lshl_b64 s[0:1], s[6:7], 4
	s_add_u32 s0, s2, s0
	s_addc_u32 s1, s3, s1
	s_clause 0x1
	global_load_dwordx2 v[1:2], v3, s[0:1]
	global_load_ubyte v4, v3, s[0:1] offset:8
	s_waitcnt vmcnt(1)
	global_store_dwordx2 v3, v[1:2], s[12:13]
	s_waitcnt vmcnt(0)
	global_store_byte v3, v4, s[12:13] offset:8
.LBB146_8:
	s_or_b32 exec_lo, exec_lo, s20
.LBB146_9:
	s_mov_b32 s0, exec_lo
	v_cmpx_eq_u32_e32 0, v0
	s_cbranch_execz .LBB146_11
; %bb.10:
	s_load_dwordx2 s[2:3], s[4:5], 0x48
	v_mov_b32_e32 v1, 0
	s_waitcnt lgkmcnt(0)
	global_store_dword v1, v1, s[2:3]
.LBB146_11:
	s_or_b32 exec_lo, exec_lo, s0
	s_mov_b32 s0, exec_lo
	v_cmpx_gt_u32_e64 s10, v0
	s_cbranch_execz .LBB146_13
; %bb.12:
	v_add_nc_u32_e32 v1, 32, v0
	v_mov_b32_e32 v2, 0
	global_store_byte v1, v2, s[8:9]
.LBB146_13:
	s_or_b32 exec_lo, exec_lo, s0
	v_mov_b32_e32 v1, 0
	s_mov_b32 s0, exec_lo
	v_cmpx_gt_u32_e32 32, v0
	s_cbranch_execz .LBB146_15
; %bb.14:
	v_add_co_u32 v2, s1, s8, v0
	v_add_co_ci_u32_e64 v3, null, s9, 0, s1
	v_mov_b32_e32 v4, 0xff
	global_store_byte v[2:3], v4, off
.LBB146_15:
	s_or_b32 exec_lo, exec_lo, s0
	s_load_dwordx2 s[2:3], s[4:5], 0x38
	s_mov_b32 s0, exec_lo
	s_waitcnt lgkmcnt(0)
	v_cmpx_gt_u64_e64 s[2:3], v[0:1]
	s_cbranch_execz .LBB146_18
; %bb.16:
	s_clause 0x1
	s_load_dword s8, s[4:5], 0x40
	s_load_dwordx2 s[6:7], s[4:5], 0x30
	s_mov_b32 s1, 0
	v_lshlrev_b64 v[4:5], 3, v[0:1]
	s_mul_i32 s4, s18, s19
	s_mov_b32 s5, s1
	s_waitcnt lgkmcnt(0)
	s_add_i32 s0, s8, -1
	s_mul_hi_u32 s9, s8, s4
	v_mad_u64_u32 v[2:3], null, s8, v0, s[0:1]
	s_mul_i32 s8, s8, s4
	s_lshl_b64 s[8:9], s[8:9], 3
	s_sub_u32 s8, 0, s8
	s_subb_u32 s9, 0, s9
	v_not_b32_e32 v3, v3
	v_not_b32_e32 v2, v2
	v_lshlrev_b64 v[2:3], 3, v[2:3]
	v_add_co_u32 v2, vcc_lo, s14, v2
	v_add_co_ci_u32_e64 v3, null, s15, v3, vcc_lo
	v_add_co_u32 v4, vcc_lo, s6, v4
	v_add_co_ci_u32_e64 v5, null, s7, v5, vcc_lo
	s_lshl_b64 s[6:7], s[4:5], 3
	.p2align	6
.LBB146_17:                             ; =>This Inner Loop Header: Depth=1
	global_load_dwordx2 v[6:7], v[2:3], off
	v_add_co_u32 v0, vcc_lo, v0, s4
	v_add_co_ci_u32_e64 v1, null, 0, v1, vcc_lo
	v_add_co_u32 v2, vcc_lo, v2, s8
	v_add_co_ci_u32_e64 v3, null, s9, v3, vcc_lo
	v_cmp_le_u64_e32 vcc_lo, s[2:3], v[0:1]
	s_or_b32 s1, vcc_lo, s1
	s_waitcnt vmcnt(0)
	global_store_dwordx2 v[4:5], v[6:7], off
	v_add_co_u32 v4, s0, v4, s6
	v_add_co_ci_u32_e64 v5, null, s7, v5, s0
	s_andn2_b32 exec_lo, exec_lo, s1
	s_cbranch_execnz .LBB146_17
.LBB146_18:
	s_endpgm
	.section	.rodata,"a",@progbits
	.p2align	6, 0x0
	.amdhsa_kernel _ZN7rocprim17ROCPRIM_400000_NS6detail30init_device_scan_by_key_kernelINS1_19lookback_scan_stateINS0_5tupleIJlbEEELb1ELb0EEEN6thrust23THRUST_200600_302600_NS16reverse_iteratorIPKlEEjNS1_16block_id_wrapperIjLb1EEEEEvT_jjPNSF_10value_typeET0_PNSt15iterator_traitsISI_E10value_typeEmT1_T2_
		.amdhsa_group_segment_fixed_size 0
		.amdhsa_private_segment_fixed_size 0
		.amdhsa_kernarg_size 336
		.amdhsa_user_sgpr_count 6
		.amdhsa_user_sgpr_private_segment_buffer 1
		.amdhsa_user_sgpr_dispatch_ptr 0
		.amdhsa_user_sgpr_queue_ptr 0
		.amdhsa_user_sgpr_kernarg_segment_ptr 1
		.amdhsa_user_sgpr_dispatch_id 0
		.amdhsa_user_sgpr_flat_scratch_init 0
		.amdhsa_user_sgpr_private_segment_size 0
		.amdhsa_wavefront_size32 1
		.amdhsa_uses_dynamic_stack 0
		.amdhsa_system_sgpr_private_segment_wavefront_offset 0
		.amdhsa_system_sgpr_workgroup_id_x 1
		.amdhsa_system_sgpr_workgroup_id_y 0
		.amdhsa_system_sgpr_workgroup_id_z 0
		.amdhsa_system_sgpr_workgroup_info 0
		.amdhsa_system_vgpr_workitem_id 0
		.amdhsa_next_free_vgpr 8
		.amdhsa_next_free_sgpr 23
		.amdhsa_reserve_vcc 1
		.amdhsa_reserve_flat_scratch 0
		.amdhsa_float_round_mode_32 0
		.amdhsa_float_round_mode_16_64 0
		.amdhsa_float_denorm_mode_32 3
		.amdhsa_float_denorm_mode_16_64 3
		.amdhsa_dx10_clamp 1
		.amdhsa_ieee_mode 1
		.amdhsa_fp16_overflow 0
		.amdhsa_workgroup_processor_mode 1
		.amdhsa_memory_ordered 1
		.amdhsa_forward_progress 1
		.amdhsa_shared_vgpr_count 0
		.amdhsa_exception_fp_ieee_invalid_op 0
		.amdhsa_exception_fp_denorm_src 0
		.amdhsa_exception_fp_ieee_div_zero 0
		.amdhsa_exception_fp_ieee_overflow 0
		.amdhsa_exception_fp_ieee_underflow 0
		.amdhsa_exception_fp_ieee_inexact 0
		.amdhsa_exception_int_div_zero 0
	.end_amdhsa_kernel
	.section	.text._ZN7rocprim17ROCPRIM_400000_NS6detail30init_device_scan_by_key_kernelINS1_19lookback_scan_stateINS0_5tupleIJlbEEELb1ELb0EEEN6thrust23THRUST_200600_302600_NS16reverse_iteratorIPKlEEjNS1_16block_id_wrapperIjLb1EEEEEvT_jjPNSF_10value_typeET0_PNSt15iterator_traitsISI_E10value_typeEmT1_T2_,"axG",@progbits,_ZN7rocprim17ROCPRIM_400000_NS6detail30init_device_scan_by_key_kernelINS1_19lookback_scan_stateINS0_5tupleIJlbEEELb1ELb0EEEN6thrust23THRUST_200600_302600_NS16reverse_iteratorIPKlEEjNS1_16block_id_wrapperIjLb1EEEEEvT_jjPNSF_10value_typeET0_PNSt15iterator_traitsISI_E10value_typeEmT1_T2_,comdat
.Lfunc_end146:
	.size	_ZN7rocprim17ROCPRIM_400000_NS6detail30init_device_scan_by_key_kernelINS1_19lookback_scan_stateINS0_5tupleIJlbEEELb1ELb0EEEN6thrust23THRUST_200600_302600_NS16reverse_iteratorIPKlEEjNS1_16block_id_wrapperIjLb1EEEEEvT_jjPNSF_10value_typeET0_PNSt15iterator_traitsISI_E10value_typeEmT1_T2_, .Lfunc_end146-_ZN7rocprim17ROCPRIM_400000_NS6detail30init_device_scan_by_key_kernelINS1_19lookback_scan_stateINS0_5tupleIJlbEEELb1ELb0EEEN6thrust23THRUST_200600_302600_NS16reverse_iteratorIPKlEEjNS1_16block_id_wrapperIjLb1EEEEEvT_jjPNSF_10value_typeET0_PNSt15iterator_traitsISI_E10value_typeEmT1_T2_
                                        ; -- End function
	.set _ZN7rocprim17ROCPRIM_400000_NS6detail30init_device_scan_by_key_kernelINS1_19lookback_scan_stateINS0_5tupleIJlbEEELb1ELb0EEEN6thrust23THRUST_200600_302600_NS16reverse_iteratorIPKlEEjNS1_16block_id_wrapperIjLb1EEEEEvT_jjPNSF_10value_typeET0_PNSt15iterator_traitsISI_E10value_typeEmT1_T2_.num_vgpr, 8
	.set _ZN7rocprim17ROCPRIM_400000_NS6detail30init_device_scan_by_key_kernelINS1_19lookback_scan_stateINS0_5tupleIJlbEEELb1ELb0EEEN6thrust23THRUST_200600_302600_NS16reverse_iteratorIPKlEEjNS1_16block_id_wrapperIjLb1EEEEEvT_jjPNSF_10value_typeET0_PNSt15iterator_traitsISI_E10value_typeEmT1_T2_.num_agpr, 0
	.set _ZN7rocprim17ROCPRIM_400000_NS6detail30init_device_scan_by_key_kernelINS1_19lookback_scan_stateINS0_5tupleIJlbEEELb1ELb0EEEN6thrust23THRUST_200600_302600_NS16reverse_iteratorIPKlEEjNS1_16block_id_wrapperIjLb1EEEEEvT_jjPNSF_10value_typeET0_PNSt15iterator_traitsISI_E10value_typeEmT1_T2_.numbered_sgpr, 23
	.set _ZN7rocprim17ROCPRIM_400000_NS6detail30init_device_scan_by_key_kernelINS1_19lookback_scan_stateINS0_5tupleIJlbEEELb1ELb0EEEN6thrust23THRUST_200600_302600_NS16reverse_iteratorIPKlEEjNS1_16block_id_wrapperIjLb1EEEEEvT_jjPNSF_10value_typeET0_PNSt15iterator_traitsISI_E10value_typeEmT1_T2_.num_named_barrier, 0
	.set _ZN7rocprim17ROCPRIM_400000_NS6detail30init_device_scan_by_key_kernelINS1_19lookback_scan_stateINS0_5tupleIJlbEEELb1ELb0EEEN6thrust23THRUST_200600_302600_NS16reverse_iteratorIPKlEEjNS1_16block_id_wrapperIjLb1EEEEEvT_jjPNSF_10value_typeET0_PNSt15iterator_traitsISI_E10value_typeEmT1_T2_.private_seg_size, 0
	.set _ZN7rocprim17ROCPRIM_400000_NS6detail30init_device_scan_by_key_kernelINS1_19lookback_scan_stateINS0_5tupleIJlbEEELb1ELb0EEEN6thrust23THRUST_200600_302600_NS16reverse_iteratorIPKlEEjNS1_16block_id_wrapperIjLb1EEEEEvT_jjPNSF_10value_typeET0_PNSt15iterator_traitsISI_E10value_typeEmT1_T2_.uses_vcc, 1
	.set _ZN7rocprim17ROCPRIM_400000_NS6detail30init_device_scan_by_key_kernelINS1_19lookback_scan_stateINS0_5tupleIJlbEEELb1ELb0EEEN6thrust23THRUST_200600_302600_NS16reverse_iteratorIPKlEEjNS1_16block_id_wrapperIjLb1EEEEEvT_jjPNSF_10value_typeET0_PNSt15iterator_traitsISI_E10value_typeEmT1_T2_.uses_flat_scratch, 0
	.set _ZN7rocprim17ROCPRIM_400000_NS6detail30init_device_scan_by_key_kernelINS1_19lookback_scan_stateINS0_5tupleIJlbEEELb1ELb0EEEN6thrust23THRUST_200600_302600_NS16reverse_iteratorIPKlEEjNS1_16block_id_wrapperIjLb1EEEEEvT_jjPNSF_10value_typeET0_PNSt15iterator_traitsISI_E10value_typeEmT1_T2_.has_dyn_sized_stack, 0
	.set _ZN7rocprim17ROCPRIM_400000_NS6detail30init_device_scan_by_key_kernelINS1_19lookback_scan_stateINS0_5tupleIJlbEEELb1ELb0EEEN6thrust23THRUST_200600_302600_NS16reverse_iteratorIPKlEEjNS1_16block_id_wrapperIjLb1EEEEEvT_jjPNSF_10value_typeET0_PNSt15iterator_traitsISI_E10value_typeEmT1_T2_.has_recursion, 0
	.set _ZN7rocprim17ROCPRIM_400000_NS6detail30init_device_scan_by_key_kernelINS1_19lookback_scan_stateINS0_5tupleIJlbEEELb1ELb0EEEN6thrust23THRUST_200600_302600_NS16reverse_iteratorIPKlEEjNS1_16block_id_wrapperIjLb1EEEEEvT_jjPNSF_10value_typeET0_PNSt15iterator_traitsISI_E10value_typeEmT1_T2_.has_indirect_call, 0
	.section	.AMDGPU.csdata,"",@progbits
; Kernel info:
; codeLenInByte = 728
; TotalNumSgprs: 25
; NumVgprs: 8
; ScratchSize: 0
; MemoryBound: 0
; FloatMode: 240
; IeeeMode: 1
; LDSByteSize: 0 bytes/workgroup (compile time only)
; SGPRBlocks: 0
; VGPRBlocks: 0
; NumSGPRsForWavesPerEU: 25
; NumVGPRsForWavesPerEU: 8
; Occupancy: 16
; WaveLimiterHint : 0
; COMPUTE_PGM_RSRC2:SCRATCH_EN: 0
; COMPUTE_PGM_RSRC2:USER_SGPR: 6
; COMPUTE_PGM_RSRC2:TRAP_HANDLER: 0
; COMPUTE_PGM_RSRC2:TGID_X_EN: 1
; COMPUTE_PGM_RSRC2:TGID_Y_EN: 0
; COMPUTE_PGM_RSRC2:TGID_Z_EN: 0
; COMPUTE_PGM_RSRC2:TIDIG_COMP_CNT: 0
	.section	.text._ZN7rocprim17ROCPRIM_400000_NS6detail17trampoline_kernelINS0_14default_configENS1_27scan_by_key_config_selectorIllEEZZNS1_16scan_by_key_implILNS1_25lookback_scan_determinismE0ELb0ES3_N6thrust23THRUST_200600_302600_NS16reverse_iteratorIPKlEESD_NSA_IPlEElN6hipcub16HIPCUB_304000_NS3MaxENSH_8EqualityElEE10hipError_tPvRmT2_T3_T4_T5_mT6_T7_P12ihipStream_tbENKUlT_T0_E_clISt17integral_constantIbLb1EES10_EEDaSV_SW_EUlSV_E_NS1_11comp_targetILNS1_3genE0ELNS1_11target_archE4294967295ELNS1_3gpuE0ELNS1_3repE0EEENS1_30default_config_static_selectorELNS0_4arch9wavefront6targetE0EEEvT1_,"axG",@progbits,_ZN7rocprim17ROCPRIM_400000_NS6detail17trampoline_kernelINS0_14default_configENS1_27scan_by_key_config_selectorIllEEZZNS1_16scan_by_key_implILNS1_25lookback_scan_determinismE0ELb0ES3_N6thrust23THRUST_200600_302600_NS16reverse_iteratorIPKlEESD_NSA_IPlEElN6hipcub16HIPCUB_304000_NS3MaxENSH_8EqualityElEE10hipError_tPvRmT2_T3_T4_T5_mT6_T7_P12ihipStream_tbENKUlT_T0_E_clISt17integral_constantIbLb1EES10_EEDaSV_SW_EUlSV_E_NS1_11comp_targetILNS1_3genE0ELNS1_11target_archE4294967295ELNS1_3gpuE0ELNS1_3repE0EEENS1_30default_config_static_selectorELNS0_4arch9wavefront6targetE0EEEvT1_,comdat
	.protected	_ZN7rocprim17ROCPRIM_400000_NS6detail17trampoline_kernelINS0_14default_configENS1_27scan_by_key_config_selectorIllEEZZNS1_16scan_by_key_implILNS1_25lookback_scan_determinismE0ELb0ES3_N6thrust23THRUST_200600_302600_NS16reverse_iteratorIPKlEESD_NSA_IPlEElN6hipcub16HIPCUB_304000_NS3MaxENSH_8EqualityElEE10hipError_tPvRmT2_T3_T4_T5_mT6_T7_P12ihipStream_tbENKUlT_T0_E_clISt17integral_constantIbLb1EES10_EEDaSV_SW_EUlSV_E_NS1_11comp_targetILNS1_3genE0ELNS1_11target_archE4294967295ELNS1_3gpuE0ELNS1_3repE0EEENS1_30default_config_static_selectorELNS0_4arch9wavefront6targetE0EEEvT1_ ; -- Begin function _ZN7rocprim17ROCPRIM_400000_NS6detail17trampoline_kernelINS0_14default_configENS1_27scan_by_key_config_selectorIllEEZZNS1_16scan_by_key_implILNS1_25lookback_scan_determinismE0ELb0ES3_N6thrust23THRUST_200600_302600_NS16reverse_iteratorIPKlEESD_NSA_IPlEElN6hipcub16HIPCUB_304000_NS3MaxENSH_8EqualityElEE10hipError_tPvRmT2_T3_T4_T5_mT6_T7_P12ihipStream_tbENKUlT_T0_E_clISt17integral_constantIbLb1EES10_EEDaSV_SW_EUlSV_E_NS1_11comp_targetILNS1_3genE0ELNS1_11target_archE4294967295ELNS1_3gpuE0ELNS1_3repE0EEENS1_30default_config_static_selectorELNS0_4arch9wavefront6targetE0EEEvT1_
	.globl	_ZN7rocprim17ROCPRIM_400000_NS6detail17trampoline_kernelINS0_14default_configENS1_27scan_by_key_config_selectorIllEEZZNS1_16scan_by_key_implILNS1_25lookback_scan_determinismE0ELb0ES3_N6thrust23THRUST_200600_302600_NS16reverse_iteratorIPKlEESD_NSA_IPlEElN6hipcub16HIPCUB_304000_NS3MaxENSH_8EqualityElEE10hipError_tPvRmT2_T3_T4_T5_mT6_T7_P12ihipStream_tbENKUlT_T0_E_clISt17integral_constantIbLb1EES10_EEDaSV_SW_EUlSV_E_NS1_11comp_targetILNS1_3genE0ELNS1_11target_archE4294967295ELNS1_3gpuE0ELNS1_3repE0EEENS1_30default_config_static_selectorELNS0_4arch9wavefront6targetE0EEEvT1_
	.p2align	8
	.type	_ZN7rocprim17ROCPRIM_400000_NS6detail17trampoline_kernelINS0_14default_configENS1_27scan_by_key_config_selectorIllEEZZNS1_16scan_by_key_implILNS1_25lookback_scan_determinismE0ELb0ES3_N6thrust23THRUST_200600_302600_NS16reverse_iteratorIPKlEESD_NSA_IPlEElN6hipcub16HIPCUB_304000_NS3MaxENSH_8EqualityElEE10hipError_tPvRmT2_T3_T4_T5_mT6_T7_P12ihipStream_tbENKUlT_T0_E_clISt17integral_constantIbLb1EES10_EEDaSV_SW_EUlSV_E_NS1_11comp_targetILNS1_3genE0ELNS1_11target_archE4294967295ELNS1_3gpuE0ELNS1_3repE0EEENS1_30default_config_static_selectorELNS0_4arch9wavefront6targetE0EEEvT1_,@function
_ZN7rocprim17ROCPRIM_400000_NS6detail17trampoline_kernelINS0_14default_configENS1_27scan_by_key_config_selectorIllEEZZNS1_16scan_by_key_implILNS1_25lookback_scan_determinismE0ELb0ES3_N6thrust23THRUST_200600_302600_NS16reverse_iteratorIPKlEESD_NSA_IPlEElN6hipcub16HIPCUB_304000_NS3MaxENSH_8EqualityElEE10hipError_tPvRmT2_T3_T4_T5_mT6_T7_P12ihipStream_tbENKUlT_T0_E_clISt17integral_constantIbLb1EES10_EEDaSV_SW_EUlSV_E_NS1_11comp_targetILNS1_3genE0ELNS1_11target_archE4294967295ELNS1_3gpuE0ELNS1_3repE0EEENS1_30default_config_static_selectorELNS0_4arch9wavefront6targetE0EEEvT1_: ; @_ZN7rocprim17ROCPRIM_400000_NS6detail17trampoline_kernelINS0_14default_configENS1_27scan_by_key_config_selectorIllEEZZNS1_16scan_by_key_implILNS1_25lookback_scan_determinismE0ELb0ES3_N6thrust23THRUST_200600_302600_NS16reverse_iteratorIPKlEESD_NSA_IPlEElN6hipcub16HIPCUB_304000_NS3MaxENSH_8EqualityElEE10hipError_tPvRmT2_T3_T4_T5_mT6_T7_P12ihipStream_tbENKUlT_T0_E_clISt17integral_constantIbLb1EES10_EEDaSV_SW_EUlSV_E_NS1_11comp_targetILNS1_3genE0ELNS1_11target_archE4294967295ELNS1_3gpuE0ELNS1_3repE0EEENS1_30default_config_static_selectorELNS0_4arch9wavefront6targetE0EEEvT1_
; %bb.0:
	.section	.rodata,"a",@progbits
	.p2align	6, 0x0
	.amdhsa_kernel _ZN7rocprim17ROCPRIM_400000_NS6detail17trampoline_kernelINS0_14default_configENS1_27scan_by_key_config_selectorIllEEZZNS1_16scan_by_key_implILNS1_25lookback_scan_determinismE0ELb0ES3_N6thrust23THRUST_200600_302600_NS16reverse_iteratorIPKlEESD_NSA_IPlEElN6hipcub16HIPCUB_304000_NS3MaxENSH_8EqualityElEE10hipError_tPvRmT2_T3_T4_T5_mT6_T7_P12ihipStream_tbENKUlT_T0_E_clISt17integral_constantIbLb1EES10_EEDaSV_SW_EUlSV_E_NS1_11comp_targetILNS1_3genE0ELNS1_11target_archE4294967295ELNS1_3gpuE0ELNS1_3repE0EEENS1_30default_config_static_selectorELNS0_4arch9wavefront6targetE0EEEvT1_
		.amdhsa_group_segment_fixed_size 0
		.amdhsa_private_segment_fixed_size 0
		.amdhsa_kernarg_size 136
		.amdhsa_user_sgpr_count 6
		.amdhsa_user_sgpr_private_segment_buffer 1
		.amdhsa_user_sgpr_dispatch_ptr 0
		.amdhsa_user_sgpr_queue_ptr 0
		.amdhsa_user_sgpr_kernarg_segment_ptr 1
		.amdhsa_user_sgpr_dispatch_id 0
		.amdhsa_user_sgpr_flat_scratch_init 0
		.amdhsa_user_sgpr_private_segment_size 0
		.amdhsa_wavefront_size32 1
		.amdhsa_uses_dynamic_stack 0
		.amdhsa_system_sgpr_private_segment_wavefront_offset 0
		.amdhsa_system_sgpr_workgroup_id_x 1
		.amdhsa_system_sgpr_workgroup_id_y 0
		.amdhsa_system_sgpr_workgroup_id_z 0
		.amdhsa_system_sgpr_workgroup_info 0
		.amdhsa_system_vgpr_workitem_id 0
		.amdhsa_next_free_vgpr 1
		.amdhsa_next_free_sgpr 1
		.amdhsa_reserve_vcc 0
		.amdhsa_reserve_flat_scratch 0
		.amdhsa_float_round_mode_32 0
		.amdhsa_float_round_mode_16_64 0
		.amdhsa_float_denorm_mode_32 3
		.amdhsa_float_denorm_mode_16_64 3
		.amdhsa_dx10_clamp 1
		.amdhsa_ieee_mode 1
		.amdhsa_fp16_overflow 0
		.amdhsa_workgroup_processor_mode 1
		.amdhsa_memory_ordered 1
		.amdhsa_forward_progress 1
		.amdhsa_shared_vgpr_count 0
		.amdhsa_exception_fp_ieee_invalid_op 0
		.amdhsa_exception_fp_denorm_src 0
		.amdhsa_exception_fp_ieee_div_zero 0
		.amdhsa_exception_fp_ieee_overflow 0
		.amdhsa_exception_fp_ieee_underflow 0
		.amdhsa_exception_fp_ieee_inexact 0
		.amdhsa_exception_int_div_zero 0
	.end_amdhsa_kernel
	.section	.text._ZN7rocprim17ROCPRIM_400000_NS6detail17trampoline_kernelINS0_14default_configENS1_27scan_by_key_config_selectorIllEEZZNS1_16scan_by_key_implILNS1_25lookback_scan_determinismE0ELb0ES3_N6thrust23THRUST_200600_302600_NS16reverse_iteratorIPKlEESD_NSA_IPlEElN6hipcub16HIPCUB_304000_NS3MaxENSH_8EqualityElEE10hipError_tPvRmT2_T3_T4_T5_mT6_T7_P12ihipStream_tbENKUlT_T0_E_clISt17integral_constantIbLb1EES10_EEDaSV_SW_EUlSV_E_NS1_11comp_targetILNS1_3genE0ELNS1_11target_archE4294967295ELNS1_3gpuE0ELNS1_3repE0EEENS1_30default_config_static_selectorELNS0_4arch9wavefront6targetE0EEEvT1_,"axG",@progbits,_ZN7rocprim17ROCPRIM_400000_NS6detail17trampoline_kernelINS0_14default_configENS1_27scan_by_key_config_selectorIllEEZZNS1_16scan_by_key_implILNS1_25lookback_scan_determinismE0ELb0ES3_N6thrust23THRUST_200600_302600_NS16reverse_iteratorIPKlEESD_NSA_IPlEElN6hipcub16HIPCUB_304000_NS3MaxENSH_8EqualityElEE10hipError_tPvRmT2_T3_T4_T5_mT6_T7_P12ihipStream_tbENKUlT_T0_E_clISt17integral_constantIbLb1EES10_EEDaSV_SW_EUlSV_E_NS1_11comp_targetILNS1_3genE0ELNS1_11target_archE4294967295ELNS1_3gpuE0ELNS1_3repE0EEENS1_30default_config_static_selectorELNS0_4arch9wavefront6targetE0EEEvT1_,comdat
.Lfunc_end147:
	.size	_ZN7rocprim17ROCPRIM_400000_NS6detail17trampoline_kernelINS0_14default_configENS1_27scan_by_key_config_selectorIllEEZZNS1_16scan_by_key_implILNS1_25lookback_scan_determinismE0ELb0ES3_N6thrust23THRUST_200600_302600_NS16reverse_iteratorIPKlEESD_NSA_IPlEElN6hipcub16HIPCUB_304000_NS3MaxENSH_8EqualityElEE10hipError_tPvRmT2_T3_T4_T5_mT6_T7_P12ihipStream_tbENKUlT_T0_E_clISt17integral_constantIbLb1EES10_EEDaSV_SW_EUlSV_E_NS1_11comp_targetILNS1_3genE0ELNS1_11target_archE4294967295ELNS1_3gpuE0ELNS1_3repE0EEENS1_30default_config_static_selectorELNS0_4arch9wavefront6targetE0EEEvT1_, .Lfunc_end147-_ZN7rocprim17ROCPRIM_400000_NS6detail17trampoline_kernelINS0_14default_configENS1_27scan_by_key_config_selectorIllEEZZNS1_16scan_by_key_implILNS1_25lookback_scan_determinismE0ELb0ES3_N6thrust23THRUST_200600_302600_NS16reverse_iteratorIPKlEESD_NSA_IPlEElN6hipcub16HIPCUB_304000_NS3MaxENSH_8EqualityElEE10hipError_tPvRmT2_T3_T4_T5_mT6_T7_P12ihipStream_tbENKUlT_T0_E_clISt17integral_constantIbLb1EES10_EEDaSV_SW_EUlSV_E_NS1_11comp_targetILNS1_3genE0ELNS1_11target_archE4294967295ELNS1_3gpuE0ELNS1_3repE0EEENS1_30default_config_static_selectorELNS0_4arch9wavefront6targetE0EEEvT1_
                                        ; -- End function
	.set _ZN7rocprim17ROCPRIM_400000_NS6detail17trampoline_kernelINS0_14default_configENS1_27scan_by_key_config_selectorIllEEZZNS1_16scan_by_key_implILNS1_25lookback_scan_determinismE0ELb0ES3_N6thrust23THRUST_200600_302600_NS16reverse_iteratorIPKlEESD_NSA_IPlEElN6hipcub16HIPCUB_304000_NS3MaxENSH_8EqualityElEE10hipError_tPvRmT2_T3_T4_T5_mT6_T7_P12ihipStream_tbENKUlT_T0_E_clISt17integral_constantIbLb1EES10_EEDaSV_SW_EUlSV_E_NS1_11comp_targetILNS1_3genE0ELNS1_11target_archE4294967295ELNS1_3gpuE0ELNS1_3repE0EEENS1_30default_config_static_selectorELNS0_4arch9wavefront6targetE0EEEvT1_.num_vgpr, 0
	.set _ZN7rocprim17ROCPRIM_400000_NS6detail17trampoline_kernelINS0_14default_configENS1_27scan_by_key_config_selectorIllEEZZNS1_16scan_by_key_implILNS1_25lookback_scan_determinismE0ELb0ES3_N6thrust23THRUST_200600_302600_NS16reverse_iteratorIPKlEESD_NSA_IPlEElN6hipcub16HIPCUB_304000_NS3MaxENSH_8EqualityElEE10hipError_tPvRmT2_T3_T4_T5_mT6_T7_P12ihipStream_tbENKUlT_T0_E_clISt17integral_constantIbLb1EES10_EEDaSV_SW_EUlSV_E_NS1_11comp_targetILNS1_3genE0ELNS1_11target_archE4294967295ELNS1_3gpuE0ELNS1_3repE0EEENS1_30default_config_static_selectorELNS0_4arch9wavefront6targetE0EEEvT1_.num_agpr, 0
	.set _ZN7rocprim17ROCPRIM_400000_NS6detail17trampoline_kernelINS0_14default_configENS1_27scan_by_key_config_selectorIllEEZZNS1_16scan_by_key_implILNS1_25lookback_scan_determinismE0ELb0ES3_N6thrust23THRUST_200600_302600_NS16reverse_iteratorIPKlEESD_NSA_IPlEElN6hipcub16HIPCUB_304000_NS3MaxENSH_8EqualityElEE10hipError_tPvRmT2_T3_T4_T5_mT6_T7_P12ihipStream_tbENKUlT_T0_E_clISt17integral_constantIbLb1EES10_EEDaSV_SW_EUlSV_E_NS1_11comp_targetILNS1_3genE0ELNS1_11target_archE4294967295ELNS1_3gpuE0ELNS1_3repE0EEENS1_30default_config_static_selectorELNS0_4arch9wavefront6targetE0EEEvT1_.numbered_sgpr, 0
	.set _ZN7rocprim17ROCPRIM_400000_NS6detail17trampoline_kernelINS0_14default_configENS1_27scan_by_key_config_selectorIllEEZZNS1_16scan_by_key_implILNS1_25lookback_scan_determinismE0ELb0ES3_N6thrust23THRUST_200600_302600_NS16reverse_iteratorIPKlEESD_NSA_IPlEElN6hipcub16HIPCUB_304000_NS3MaxENSH_8EqualityElEE10hipError_tPvRmT2_T3_T4_T5_mT6_T7_P12ihipStream_tbENKUlT_T0_E_clISt17integral_constantIbLb1EES10_EEDaSV_SW_EUlSV_E_NS1_11comp_targetILNS1_3genE0ELNS1_11target_archE4294967295ELNS1_3gpuE0ELNS1_3repE0EEENS1_30default_config_static_selectorELNS0_4arch9wavefront6targetE0EEEvT1_.num_named_barrier, 0
	.set _ZN7rocprim17ROCPRIM_400000_NS6detail17trampoline_kernelINS0_14default_configENS1_27scan_by_key_config_selectorIllEEZZNS1_16scan_by_key_implILNS1_25lookback_scan_determinismE0ELb0ES3_N6thrust23THRUST_200600_302600_NS16reverse_iteratorIPKlEESD_NSA_IPlEElN6hipcub16HIPCUB_304000_NS3MaxENSH_8EqualityElEE10hipError_tPvRmT2_T3_T4_T5_mT6_T7_P12ihipStream_tbENKUlT_T0_E_clISt17integral_constantIbLb1EES10_EEDaSV_SW_EUlSV_E_NS1_11comp_targetILNS1_3genE0ELNS1_11target_archE4294967295ELNS1_3gpuE0ELNS1_3repE0EEENS1_30default_config_static_selectorELNS0_4arch9wavefront6targetE0EEEvT1_.private_seg_size, 0
	.set _ZN7rocprim17ROCPRIM_400000_NS6detail17trampoline_kernelINS0_14default_configENS1_27scan_by_key_config_selectorIllEEZZNS1_16scan_by_key_implILNS1_25lookback_scan_determinismE0ELb0ES3_N6thrust23THRUST_200600_302600_NS16reverse_iteratorIPKlEESD_NSA_IPlEElN6hipcub16HIPCUB_304000_NS3MaxENSH_8EqualityElEE10hipError_tPvRmT2_T3_T4_T5_mT6_T7_P12ihipStream_tbENKUlT_T0_E_clISt17integral_constantIbLb1EES10_EEDaSV_SW_EUlSV_E_NS1_11comp_targetILNS1_3genE0ELNS1_11target_archE4294967295ELNS1_3gpuE0ELNS1_3repE0EEENS1_30default_config_static_selectorELNS0_4arch9wavefront6targetE0EEEvT1_.uses_vcc, 0
	.set _ZN7rocprim17ROCPRIM_400000_NS6detail17trampoline_kernelINS0_14default_configENS1_27scan_by_key_config_selectorIllEEZZNS1_16scan_by_key_implILNS1_25lookback_scan_determinismE0ELb0ES3_N6thrust23THRUST_200600_302600_NS16reverse_iteratorIPKlEESD_NSA_IPlEElN6hipcub16HIPCUB_304000_NS3MaxENSH_8EqualityElEE10hipError_tPvRmT2_T3_T4_T5_mT6_T7_P12ihipStream_tbENKUlT_T0_E_clISt17integral_constantIbLb1EES10_EEDaSV_SW_EUlSV_E_NS1_11comp_targetILNS1_3genE0ELNS1_11target_archE4294967295ELNS1_3gpuE0ELNS1_3repE0EEENS1_30default_config_static_selectorELNS0_4arch9wavefront6targetE0EEEvT1_.uses_flat_scratch, 0
	.set _ZN7rocprim17ROCPRIM_400000_NS6detail17trampoline_kernelINS0_14default_configENS1_27scan_by_key_config_selectorIllEEZZNS1_16scan_by_key_implILNS1_25lookback_scan_determinismE0ELb0ES3_N6thrust23THRUST_200600_302600_NS16reverse_iteratorIPKlEESD_NSA_IPlEElN6hipcub16HIPCUB_304000_NS3MaxENSH_8EqualityElEE10hipError_tPvRmT2_T3_T4_T5_mT6_T7_P12ihipStream_tbENKUlT_T0_E_clISt17integral_constantIbLb1EES10_EEDaSV_SW_EUlSV_E_NS1_11comp_targetILNS1_3genE0ELNS1_11target_archE4294967295ELNS1_3gpuE0ELNS1_3repE0EEENS1_30default_config_static_selectorELNS0_4arch9wavefront6targetE0EEEvT1_.has_dyn_sized_stack, 0
	.set _ZN7rocprim17ROCPRIM_400000_NS6detail17trampoline_kernelINS0_14default_configENS1_27scan_by_key_config_selectorIllEEZZNS1_16scan_by_key_implILNS1_25lookback_scan_determinismE0ELb0ES3_N6thrust23THRUST_200600_302600_NS16reverse_iteratorIPKlEESD_NSA_IPlEElN6hipcub16HIPCUB_304000_NS3MaxENSH_8EqualityElEE10hipError_tPvRmT2_T3_T4_T5_mT6_T7_P12ihipStream_tbENKUlT_T0_E_clISt17integral_constantIbLb1EES10_EEDaSV_SW_EUlSV_E_NS1_11comp_targetILNS1_3genE0ELNS1_11target_archE4294967295ELNS1_3gpuE0ELNS1_3repE0EEENS1_30default_config_static_selectorELNS0_4arch9wavefront6targetE0EEEvT1_.has_recursion, 0
	.set _ZN7rocprim17ROCPRIM_400000_NS6detail17trampoline_kernelINS0_14default_configENS1_27scan_by_key_config_selectorIllEEZZNS1_16scan_by_key_implILNS1_25lookback_scan_determinismE0ELb0ES3_N6thrust23THRUST_200600_302600_NS16reverse_iteratorIPKlEESD_NSA_IPlEElN6hipcub16HIPCUB_304000_NS3MaxENSH_8EqualityElEE10hipError_tPvRmT2_T3_T4_T5_mT6_T7_P12ihipStream_tbENKUlT_T0_E_clISt17integral_constantIbLb1EES10_EEDaSV_SW_EUlSV_E_NS1_11comp_targetILNS1_3genE0ELNS1_11target_archE4294967295ELNS1_3gpuE0ELNS1_3repE0EEENS1_30default_config_static_selectorELNS0_4arch9wavefront6targetE0EEEvT1_.has_indirect_call, 0
	.section	.AMDGPU.csdata,"",@progbits
; Kernel info:
; codeLenInByte = 0
; TotalNumSgprs: 0
; NumVgprs: 0
; ScratchSize: 0
; MemoryBound: 0
; FloatMode: 240
; IeeeMode: 1
; LDSByteSize: 0 bytes/workgroup (compile time only)
; SGPRBlocks: 0
; VGPRBlocks: 0
; NumSGPRsForWavesPerEU: 1
; NumVGPRsForWavesPerEU: 1
; Occupancy: 16
; WaveLimiterHint : 0
; COMPUTE_PGM_RSRC2:SCRATCH_EN: 0
; COMPUTE_PGM_RSRC2:USER_SGPR: 6
; COMPUTE_PGM_RSRC2:TRAP_HANDLER: 0
; COMPUTE_PGM_RSRC2:TGID_X_EN: 1
; COMPUTE_PGM_RSRC2:TGID_Y_EN: 0
; COMPUTE_PGM_RSRC2:TGID_Z_EN: 0
; COMPUTE_PGM_RSRC2:TIDIG_COMP_CNT: 0
	.section	.text._ZN7rocprim17ROCPRIM_400000_NS6detail17trampoline_kernelINS0_14default_configENS1_27scan_by_key_config_selectorIllEEZZNS1_16scan_by_key_implILNS1_25lookback_scan_determinismE0ELb0ES3_N6thrust23THRUST_200600_302600_NS16reverse_iteratorIPKlEESD_NSA_IPlEElN6hipcub16HIPCUB_304000_NS3MaxENSH_8EqualityElEE10hipError_tPvRmT2_T3_T4_T5_mT6_T7_P12ihipStream_tbENKUlT_T0_E_clISt17integral_constantIbLb1EES10_EEDaSV_SW_EUlSV_E_NS1_11comp_targetILNS1_3genE10ELNS1_11target_archE1201ELNS1_3gpuE5ELNS1_3repE0EEENS1_30default_config_static_selectorELNS0_4arch9wavefront6targetE0EEEvT1_,"axG",@progbits,_ZN7rocprim17ROCPRIM_400000_NS6detail17trampoline_kernelINS0_14default_configENS1_27scan_by_key_config_selectorIllEEZZNS1_16scan_by_key_implILNS1_25lookback_scan_determinismE0ELb0ES3_N6thrust23THRUST_200600_302600_NS16reverse_iteratorIPKlEESD_NSA_IPlEElN6hipcub16HIPCUB_304000_NS3MaxENSH_8EqualityElEE10hipError_tPvRmT2_T3_T4_T5_mT6_T7_P12ihipStream_tbENKUlT_T0_E_clISt17integral_constantIbLb1EES10_EEDaSV_SW_EUlSV_E_NS1_11comp_targetILNS1_3genE10ELNS1_11target_archE1201ELNS1_3gpuE5ELNS1_3repE0EEENS1_30default_config_static_selectorELNS0_4arch9wavefront6targetE0EEEvT1_,comdat
	.protected	_ZN7rocprim17ROCPRIM_400000_NS6detail17trampoline_kernelINS0_14default_configENS1_27scan_by_key_config_selectorIllEEZZNS1_16scan_by_key_implILNS1_25lookback_scan_determinismE0ELb0ES3_N6thrust23THRUST_200600_302600_NS16reverse_iteratorIPKlEESD_NSA_IPlEElN6hipcub16HIPCUB_304000_NS3MaxENSH_8EqualityElEE10hipError_tPvRmT2_T3_T4_T5_mT6_T7_P12ihipStream_tbENKUlT_T0_E_clISt17integral_constantIbLb1EES10_EEDaSV_SW_EUlSV_E_NS1_11comp_targetILNS1_3genE10ELNS1_11target_archE1201ELNS1_3gpuE5ELNS1_3repE0EEENS1_30default_config_static_selectorELNS0_4arch9wavefront6targetE0EEEvT1_ ; -- Begin function _ZN7rocprim17ROCPRIM_400000_NS6detail17trampoline_kernelINS0_14default_configENS1_27scan_by_key_config_selectorIllEEZZNS1_16scan_by_key_implILNS1_25lookback_scan_determinismE0ELb0ES3_N6thrust23THRUST_200600_302600_NS16reverse_iteratorIPKlEESD_NSA_IPlEElN6hipcub16HIPCUB_304000_NS3MaxENSH_8EqualityElEE10hipError_tPvRmT2_T3_T4_T5_mT6_T7_P12ihipStream_tbENKUlT_T0_E_clISt17integral_constantIbLb1EES10_EEDaSV_SW_EUlSV_E_NS1_11comp_targetILNS1_3genE10ELNS1_11target_archE1201ELNS1_3gpuE5ELNS1_3repE0EEENS1_30default_config_static_selectorELNS0_4arch9wavefront6targetE0EEEvT1_
	.globl	_ZN7rocprim17ROCPRIM_400000_NS6detail17trampoline_kernelINS0_14default_configENS1_27scan_by_key_config_selectorIllEEZZNS1_16scan_by_key_implILNS1_25lookback_scan_determinismE0ELb0ES3_N6thrust23THRUST_200600_302600_NS16reverse_iteratorIPKlEESD_NSA_IPlEElN6hipcub16HIPCUB_304000_NS3MaxENSH_8EqualityElEE10hipError_tPvRmT2_T3_T4_T5_mT6_T7_P12ihipStream_tbENKUlT_T0_E_clISt17integral_constantIbLb1EES10_EEDaSV_SW_EUlSV_E_NS1_11comp_targetILNS1_3genE10ELNS1_11target_archE1201ELNS1_3gpuE5ELNS1_3repE0EEENS1_30default_config_static_selectorELNS0_4arch9wavefront6targetE0EEEvT1_
	.p2align	8
	.type	_ZN7rocprim17ROCPRIM_400000_NS6detail17trampoline_kernelINS0_14default_configENS1_27scan_by_key_config_selectorIllEEZZNS1_16scan_by_key_implILNS1_25lookback_scan_determinismE0ELb0ES3_N6thrust23THRUST_200600_302600_NS16reverse_iteratorIPKlEESD_NSA_IPlEElN6hipcub16HIPCUB_304000_NS3MaxENSH_8EqualityElEE10hipError_tPvRmT2_T3_T4_T5_mT6_T7_P12ihipStream_tbENKUlT_T0_E_clISt17integral_constantIbLb1EES10_EEDaSV_SW_EUlSV_E_NS1_11comp_targetILNS1_3genE10ELNS1_11target_archE1201ELNS1_3gpuE5ELNS1_3repE0EEENS1_30default_config_static_selectorELNS0_4arch9wavefront6targetE0EEEvT1_,@function
_ZN7rocprim17ROCPRIM_400000_NS6detail17trampoline_kernelINS0_14default_configENS1_27scan_by_key_config_selectorIllEEZZNS1_16scan_by_key_implILNS1_25lookback_scan_determinismE0ELb0ES3_N6thrust23THRUST_200600_302600_NS16reverse_iteratorIPKlEESD_NSA_IPlEElN6hipcub16HIPCUB_304000_NS3MaxENSH_8EqualityElEE10hipError_tPvRmT2_T3_T4_T5_mT6_T7_P12ihipStream_tbENKUlT_T0_E_clISt17integral_constantIbLb1EES10_EEDaSV_SW_EUlSV_E_NS1_11comp_targetILNS1_3genE10ELNS1_11target_archE1201ELNS1_3gpuE5ELNS1_3repE0EEENS1_30default_config_static_selectorELNS0_4arch9wavefront6targetE0EEEvT1_: ; @_ZN7rocprim17ROCPRIM_400000_NS6detail17trampoline_kernelINS0_14default_configENS1_27scan_by_key_config_selectorIllEEZZNS1_16scan_by_key_implILNS1_25lookback_scan_determinismE0ELb0ES3_N6thrust23THRUST_200600_302600_NS16reverse_iteratorIPKlEESD_NSA_IPlEElN6hipcub16HIPCUB_304000_NS3MaxENSH_8EqualityElEE10hipError_tPvRmT2_T3_T4_T5_mT6_T7_P12ihipStream_tbENKUlT_T0_E_clISt17integral_constantIbLb1EES10_EEDaSV_SW_EUlSV_E_NS1_11comp_targetILNS1_3genE10ELNS1_11target_archE1201ELNS1_3gpuE5ELNS1_3repE0EEENS1_30default_config_static_selectorELNS0_4arch9wavefront6targetE0EEEvT1_
; %bb.0:
	.section	.rodata,"a",@progbits
	.p2align	6, 0x0
	.amdhsa_kernel _ZN7rocprim17ROCPRIM_400000_NS6detail17trampoline_kernelINS0_14default_configENS1_27scan_by_key_config_selectorIllEEZZNS1_16scan_by_key_implILNS1_25lookback_scan_determinismE0ELb0ES3_N6thrust23THRUST_200600_302600_NS16reverse_iteratorIPKlEESD_NSA_IPlEElN6hipcub16HIPCUB_304000_NS3MaxENSH_8EqualityElEE10hipError_tPvRmT2_T3_T4_T5_mT6_T7_P12ihipStream_tbENKUlT_T0_E_clISt17integral_constantIbLb1EES10_EEDaSV_SW_EUlSV_E_NS1_11comp_targetILNS1_3genE10ELNS1_11target_archE1201ELNS1_3gpuE5ELNS1_3repE0EEENS1_30default_config_static_selectorELNS0_4arch9wavefront6targetE0EEEvT1_
		.amdhsa_group_segment_fixed_size 0
		.amdhsa_private_segment_fixed_size 0
		.amdhsa_kernarg_size 136
		.amdhsa_user_sgpr_count 6
		.amdhsa_user_sgpr_private_segment_buffer 1
		.amdhsa_user_sgpr_dispatch_ptr 0
		.amdhsa_user_sgpr_queue_ptr 0
		.amdhsa_user_sgpr_kernarg_segment_ptr 1
		.amdhsa_user_sgpr_dispatch_id 0
		.amdhsa_user_sgpr_flat_scratch_init 0
		.amdhsa_user_sgpr_private_segment_size 0
		.amdhsa_wavefront_size32 1
		.amdhsa_uses_dynamic_stack 0
		.amdhsa_system_sgpr_private_segment_wavefront_offset 0
		.amdhsa_system_sgpr_workgroup_id_x 1
		.amdhsa_system_sgpr_workgroup_id_y 0
		.amdhsa_system_sgpr_workgroup_id_z 0
		.amdhsa_system_sgpr_workgroup_info 0
		.amdhsa_system_vgpr_workitem_id 0
		.amdhsa_next_free_vgpr 1
		.amdhsa_next_free_sgpr 1
		.amdhsa_reserve_vcc 0
		.amdhsa_reserve_flat_scratch 0
		.amdhsa_float_round_mode_32 0
		.amdhsa_float_round_mode_16_64 0
		.amdhsa_float_denorm_mode_32 3
		.amdhsa_float_denorm_mode_16_64 3
		.amdhsa_dx10_clamp 1
		.amdhsa_ieee_mode 1
		.amdhsa_fp16_overflow 0
		.amdhsa_workgroup_processor_mode 1
		.amdhsa_memory_ordered 1
		.amdhsa_forward_progress 1
		.amdhsa_shared_vgpr_count 0
		.amdhsa_exception_fp_ieee_invalid_op 0
		.amdhsa_exception_fp_denorm_src 0
		.amdhsa_exception_fp_ieee_div_zero 0
		.amdhsa_exception_fp_ieee_overflow 0
		.amdhsa_exception_fp_ieee_underflow 0
		.amdhsa_exception_fp_ieee_inexact 0
		.amdhsa_exception_int_div_zero 0
	.end_amdhsa_kernel
	.section	.text._ZN7rocprim17ROCPRIM_400000_NS6detail17trampoline_kernelINS0_14default_configENS1_27scan_by_key_config_selectorIllEEZZNS1_16scan_by_key_implILNS1_25lookback_scan_determinismE0ELb0ES3_N6thrust23THRUST_200600_302600_NS16reverse_iteratorIPKlEESD_NSA_IPlEElN6hipcub16HIPCUB_304000_NS3MaxENSH_8EqualityElEE10hipError_tPvRmT2_T3_T4_T5_mT6_T7_P12ihipStream_tbENKUlT_T0_E_clISt17integral_constantIbLb1EES10_EEDaSV_SW_EUlSV_E_NS1_11comp_targetILNS1_3genE10ELNS1_11target_archE1201ELNS1_3gpuE5ELNS1_3repE0EEENS1_30default_config_static_selectorELNS0_4arch9wavefront6targetE0EEEvT1_,"axG",@progbits,_ZN7rocprim17ROCPRIM_400000_NS6detail17trampoline_kernelINS0_14default_configENS1_27scan_by_key_config_selectorIllEEZZNS1_16scan_by_key_implILNS1_25lookback_scan_determinismE0ELb0ES3_N6thrust23THRUST_200600_302600_NS16reverse_iteratorIPKlEESD_NSA_IPlEElN6hipcub16HIPCUB_304000_NS3MaxENSH_8EqualityElEE10hipError_tPvRmT2_T3_T4_T5_mT6_T7_P12ihipStream_tbENKUlT_T0_E_clISt17integral_constantIbLb1EES10_EEDaSV_SW_EUlSV_E_NS1_11comp_targetILNS1_3genE10ELNS1_11target_archE1201ELNS1_3gpuE5ELNS1_3repE0EEENS1_30default_config_static_selectorELNS0_4arch9wavefront6targetE0EEEvT1_,comdat
.Lfunc_end148:
	.size	_ZN7rocprim17ROCPRIM_400000_NS6detail17trampoline_kernelINS0_14default_configENS1_27scan_by_key_config_selectorIllEEZZNS1_16scan_by_key_implILNS1_25lookback_scan_determinismE0ELb0ES3_N6thrust23THRUST_200600_302600_NS16reverse_iteratorIPKlEESD_NSA_IPlEElN6hipcub16HIPCUB_304000_NS3MaxENSH_8EqualityElEE10hipError_tPvRmT2_T3_T4_T5_mT6_T7_P12ihipStream_tbENKUlT_T0_E_clISt17integral_constantIbLb1EES10_EEDaSV_SW_EUlSV_E_NS1_11comp_targetILNS1_3genE10ELNS1_11target_archE1201ELNS1_3gpuE5ELNS1_3repE0EEENS1_30default_config_static_selectorELNS0_4arch9wavefront6targetE0EEEvT1_, .Lfunc_end148-_ZN7rocprim17ROCPRIM_400000_NS6detail17trampoline_kernelINS0_14default_configENS1_27scan_by_key_config_selectorIllEEZZNS1_16scan_by_key_implILNS1_25lookback_scan_determinismE0ELb0ES3_N6thrust23THRUST_200600_302600_NS16reverse_iteratorIPKlEESD_NSA_IPlEElN6hipcub16HIPCUB_304000_NS3MaxENSH_8EqualityElEE10hipError_tPvRmT2_T3_T4_T5_mT6_T7_P12ihipStream_tbENKUlT_T0_E_clISt17integral_constantIbLb1EES10_EEDaSV_SW_EUlSV_E_NS1_11comp_targetILNS1_3genE10ELNS1_11target_archE1201ELNS1_3gpuE5ELNS1_3repE0EEENS1_30default_config_static_selectorELNS0_4arch9wavefront6targetE0EEEvT1_
                                        ; -- End function
	.set _ZN7rocprim17ROCPRIM_400000_NS6detail17trampoline_kernelINS0_14default_configENS1_27scan_by_key_config_selectorIllEEZZNS1_16scan_by_key_implILNS1_25lookback_scan_determinismE0ELb0ES3_N6thrust23THRUST_200600_302600_NS16reverse_iteratorIPKlEESD_NSA_IPlEElN6hipcub16HIPCUB_304000_NS3MaxENSH_8EqualityElEE10hipError_tPvRmT2_T3_T4_T5_mT6_T7_P12ihipStream_tbENKUlT_T0_E_clISt17integral_constantIbLb1EES10_EEDaSV_SW_EUlSV_E_NS1_11comp_targetILNS1_3genE10ELNS1_11target_archE1201ELNS1_3gpuE5ELNS1_3repE0EEENS1_30default_config_static_selectorELNS0_4arch9wavefront6targetE0EEEvT1_.num_vgpr, 0
	.set _ZN7rocprim17ROCPRIM_400000_NS6detail17trampoline_kernelINS0_14default_configENS1_27scan_by_key_config_selectorIllEEZZNS1_16scan_by_key_implILNS1_25lookback_scan_determinismE0ELb0ES3_N6thrust23THRUST_200600_302600_NS16reverse_iteratorIPKlEESD_NSA_IPlEElN6hipcub16HIPCUB_304000_NS3MaxENSH_8EqualityElEE10hipError_tPvRmT2_T3_T4_T5_mT6_T7_P12ihipStream_tbENKUlT_T0_E_clISt17integral_constantIbLb1EES10_EEDaSV_SW_EUlSV_E_NS1_11comp_targetILNS1_3genE10ELNS1_11target_archE1201ELNS1_3gpuE5ELNS1_3repE0EEENS1_30default_config_static_selectorELNS0_4arch9wavefront6targetE0EEEvT1_.num_agpr, 0
	.set _ZN7rocprim17ROCPRIM_400000_NS6detail17trampoline_kernelINS0_14default_configENS1_27scan_by_key_config_selectorIllEEZZNS1_16scan_by_key_implILNS1_25lookback_scan_determinismE0ELb0ES3_N6thrust23THRUST_200600_302600_NS16reverse_iteratorIPKlEESD_NSA_IPlEElN6hipcub16HIPCUB_304000_NS3MaxENSH_8EqualityElEE10hipError_tPvRmT2_T3_T4_T5_mT6_T7_P12ihipStream_tbENKUlT_T0_E_clISt17integral_constantIbLb1EES10_EEDaSV_SW_EUlSV_E_NS1_11comp_targetILNS1_3genE10ELNS1_11target_archE1201ELNS1_3gpuE5ELNS1_3repE0EEENS1_30default_config_static_selectorELNS0_4arch9wavefront6targetE0EEEvT1_.numbered_sgpr, 0
	.set _ZN7rocprim17ROCPRIM_400000_NS6detail17trampoline_kernelINS0_14default_configENS1_27scan_by_key_config_selectorIllEEZZNS1_16scan_by_key_implILNS1_25lookback_scan_determinismE0ELb0ES3_N6thrust23THRUST_200600_302600_NS16reverse_iteratorIPKlEESD_NSA_IPlEElN6hipcub16HIPCUB_304000_NS3MaxENSH_8EqualityElEE10hipError_tPvRmT2_T3_T4_T5_mT6_T7_P12ihipStream_tbENKUlT_T0_E_clISt17integral_constantIbLb1EES10_EEDaSV_SW_EUlSV_E_NS1_11comp_targetILNS1_3genE10ELNS1_11target_archE1201ELNS1_3gpuE5ELNS1_3repE0EEENS1_30default_config_static_selectorELNS0_4arch9wavefront6targetE0EEEvT1_.num_named_barrier, 0
	.set _ZN7rocprim17ROCPRIM_400000_NS6detail17trampoline_kernelINS0_14default_configENS1_27scan_by_key_config_selectorIllEEZZNS1_16scan_by_key_implILNS1_25lookback_scan_determinismE0ELb0ES3_N6thrust23THRUST_200600_302600_NS16reverse_iteratorIPKlEESD_NSA_IPlEElN6hipcub16HIPCUB_304000_NS3MaxENSH_8EqualityElEE10hipError_tPvRmT2_T3_T4_T5_mT6_T7_P12ihipStream_tbENKUlT_T0_E_clISt17integral_constantIbLb1EES10_EEDaSV_SW_EUlSV_E_NS1_11comp_targetILNS1_3genE10ELNS1_11target_archE1201ELNS1_3gpuE5ELNS1_3repE0EEENS1_30default_config_static_selectorELNS0_4arch9wavefront6targetE0EEEvT1_.private_seg_size, 0
	.set _ZN7rocprim17ROCPRIM_400000_NS6detail17trampoline_kernelINS0_14default_configENS1_27scan_by_key_config_selectorIllEEZZNS1_16scan_by_key_implILNS1_25lookback_scan_determinismE0ELb0ES3_N6thrust23THRUST_200600_302600_NS16reverse_iteratorIPKlEESD_NSA_IPlEElN6hipcub16HIPCUB_304000_NS3MaxENSH_8EqualityElEE10hipError_tPvRmT2_T3_T4_T5_mT6_T7_P12ihipStream_tbENKUlT_T0_E_clISt17integral_constantIbLb1EES10_EEDaSV_SW_EUlSV_E_NS1_11comp_targetILNS1_3genE10ELNS1_11target_archE1201ELNS1_3gpuE5ELNS1_3repE0EEENS1_30default_config_static_selectorELNS0_4arch9wavefront6targetE0EEEvT1_.uses_vcc, 0
	.set _ZN7rocprim17ROCPRIM_400000_NS6detail17trampoline_kernelINS0_14default_configENS1_27scan_by_key_config_selectorIllEEZZNS1_16scan_by_key_implILNS1_25lookback_scan_determinismE0ELb0ES3_N6thrust23THRUST_200600_302600_NS16reverse_iteratorIPKlEESD_NSA_IPlEElN6hipcub16HIPCUB_304000_NS3MaxENSH_8EqualityElEE10hipError_tPvRmT2_T3_T4_T5_mT6_T7_P12ihipStream_tbENKUlT_T0_E_clISt17integral_constantIbLb1EES10_EEDaSV_SW_EUlSV_E_NS1_11comp_targetILNS1_3genE10ELNS1_11target_archE1201ELNS1_3gpuE5ELNS1_3repE0EEENS1_30default_config_static_selectorELNS0_4arch9wavefront6targetE0EEEvT1_.uses_flat_scratch, 0
	.set _ZN7rocprim17ROCPRIM_400000_NS6detail17trampoline_kernelINS0_14default_configENS1_27scan_by_key_config_selectorIllEEZZNS1_16scan_by_key_implILNS1_25lookback_scan_determinismE0ELb0ES3_N6thrust23THRUST_200600_302600_NS16reverse_iteratorIPKlEESD_NSA_IPlEElN6hipcub16HIPCUB_304000_NS3MaxENSH_8EqualityElEE10hipError_tPvRmT2_T3_T4_T5_mT6_T7_P12ihipStream_tbENKUlT_T0_E_clISt17integral_constantIbLb1EES10_EEDaSV_SW_EUlSV_E_NS1_11comp_targetILNS1_3genE10ELNS1_11target_archE1201ELNS1_3gpuE5ELNS1_3repE0EEENS1_30default_config_static_selectorELNS0_4arch9wavefront6targetE0EEEvT1_.has_dyn_sized_stack, 0
	.set _ZN7rocprim17ROCPRIM_400000_NS6detail17trampoline_kernelINS0_14default_configENS1_27scan_by_key_config_selectorIllEEZZNS1_16scan_by_key_implILNS1_25lookback_scan_determinismE0ELb0ES3_N6thrust23THRUST_200600_302600_NS16reverse_iteratorIPKlEESD_NSA_IPlEElN6hipcub16HIPCUB_304000_NS3MaxENSH_8EqualityElEE10hipError_tPvRmT2_T3_T4_T5_mT6_T7_P12ihipStream_tbENKUlT_T0_E_clISt17integral_constantIbLb1EES10_EEDaSV_SW_EUlSV_E_NS1_11comp_targetILNS1_3genE10ELNS1_11target_archE1201ELNS1_3gpuE5ELNS1_3repE0EEENS1_30default_config_static_selectorELNS0_4arch9wavefront6targetE0EEEvT1_.has_recursion, 0
	.set _ZN7rocprim17ROCPRIM_400000_NS6detail17trampoline_kernelINS0_14default_configENS1_27scan_by_key_config_selectorIllEEZZNS1_16scan_by_key_implILNS1_25lookback_scan_determinismE0ELb0ES3_N6thrust23THRUST_200600_302600_NS16reverse_iteratorIPKlEESD_NSA_IPlEElN6hipcub16HIPCUB_304000_NS3MaxENSH_8EqualityElEE10hipError_tPvRmT2_T3_T4_T5_mT6_T7_P12ihipStream_tbENKUlT_T0_E_clISt17integral_constantIbLb1EES10_EEDaSV_SW_EUlSV_E_NS1_11comp_targetILNS1_3genE10ELNS1_11target_archE1201ELNS1_3gpuE5ELNS1_3repE0EEENS1_30default_config_static_selectorELNS0_4arch9wavefront6targetE0EEEvT1_.has_indirect_call, 0
	.section	.AMDGPU.csdata,"",@progbits
; Kernel info:
; codeLenInByte = 0
; TotalNumSgprs: 0
; NumVgprs: 0
; ScratchSize: 0
; MemoryBound: 0
; FloatMode: 240
; IeeeMode: 1
; LDSByteSize: 0 bytes/workgroup (compile time only)
; SGPRBlocks: 0
; VGPRBlocks: 0
; NumSGPRsForWavesPerEU: 1
; NumVGPRsForWavesPerEU: 1
; Occupancy: 16
; WaveLimiterHint : 0
; COMPUTE_PGM_RSRC2:SCRATCH_EN: 0
; COMPUTE_PGM_RSRC2:USER_SGPR: 6
; COMPUTE_PGM_RSRC2:TRAP_HANDLER: 0
; COMPUTE_PGM_RSRC2:TGID_X_EN: 1
; COMPUTE_PGM_RSRC2:TGID_Y_EN: 0
; COMPUTE_PGM_RSRC2:TGID_Z_EN: 0
; COMPUTE_PGM_RSRC2:TIDIG_COMP_CNT: 0
	.section	.text._ZN7rocprim17ROCPRIM_400000_NS6detail17trampoline_kernelINS0_14default_configENS1_27scan_by_key_config_selectorIllEEZZNS1_16scan_by_key_implILNS1_25lookback_scan_determinismE0ELb0ES3_N6thrust23THRUST_200600_302600_NS16reverse_iteratorIPKlEESD_NSA_IPlEElN6hipcub16HIPCUB_304000_NS3MaxENSH_8EqualityElEE10hipError_tPvRmT2_T3_T4_T5_mT6_T7_P12ihipStream_tbENKUlT_T0_E_clISt17integral_constantIbLb1EES10_EEDaSV_SW_EUlSV_E_NS1_11comp_targetILNS1_3genE5ELNS1_11target_archE942ELNS1_3gpuE9ELNS1_3repE0EEENS1_30default_config_static_selectorELNS0_4arch9wavefront6targetE0EEEvT1_,"axG",@progbits,_ZN7rocprim17ROCPRIM_400000_NS6detail17trampoline_kernelINS0_14default_configENS1_27scan_by_key_config_selectorIllEEZZNS1_16scan_by_key_implILNS1_25lookback_scan_determinismE0ELb0ES3_N6thrust23THRUST_200600_302600_NS16reverse_iteratorIPKlEESD_NSA_IPlEElN6hipcub16HIPCUB_304000_NS3MaxENSH_8EqualityElEE10hipError_tPvRmT2_T3_T4_T5_mT6_T7_P12ihipStream_tbENKUlT_T0_E_clISt17integral_constantIbLb1EES10_EEDaSV_SW_EUlSV_E_NS1_11comp_targetILNS1_3genE5ELNS1_11target_archE942ELNS1_3gpuE9ELNS1_3repE0EEENS1_30default_config_static_selectorELNS0_4arch9wavefront6targetE0EEEvT1_,comdat
	.protected	_ZN7rocprim17ROCPRIM_400000_NS6detail17trampoline_kernelINS0_14default_configENS1_27scan_by_key_config_selectorIllEEZZNS1_16scan_by_key_implILNS1_25lookback_scan_determinismE0ELb0ES3_N6thrust23THRUST_200600_302600_NS16reverse_iteratorIPKlEESD_NSA_IPlEElN6hipcub16HIPCUB_304000_NS3MaxENSH_8EqualityElEE10hipError_tPvRmT2_T3_T4_T5_mT6_T7_P12ihipStream_tbENKUlT_T0_E_clISt17integral_constantIbLb1EES10_EEDaSV_SW_EUlSV_E_NS1_11comp_targetILNS1_3genE5ELNS1_11target_archE942ELNS1_3gpuE9ELNS1_3repE0EEENS1_30default_config_static_selectorELNS0_4arch9wavefront6targetE0EEEvT1_ ; -- Begin function _ZN7rocprim17ROCPRIM_400000_NS6detail17trampoline_kernelINS0_14default_configENS1_27scan_by_key_config_selectorIllEEZZNS1_16scan_by_key_implILNS1_25lookback_scan_determinismE0ELb0ES3_N6thrust23THRUST_200600_302600_NS16reverse_iteratorIPKlEESD_NSA_IPlEElN6hipcub16HIPCUB_304000_NS3MaxENSH_8EqualityElEE10hipError_tPvRmT2_T3_T4_T5_mT6_T7_P12ihipStream_tbENKUlT_T0_E_clISt17integral_constantIbLb1EES10_EEDaSV_SW_EUlSV_E_NS1_11comp_targetILNS1_3genE5ELNS1_11target_archE942ELNS1_3gpuE9ELNS1_3repE0EEENS1_30default_config_static_selectorELNS0_4arch9wavefront6targetE0EEEvT1_
	.globl	_ZN7rocprim17ROCPRIM_400000_NS6detail17trampoline_kernelINS0_14default_configENS1_27scan_by_key_config_selectorIllEEZZNS1_16scan_by_key_implILNS1_25lookback_scan_determinismE0ELb0ES3_N6thrust23THRUST_200600_302600_NS16reverse_iteratorIPKlEESD_NSA_IPlEElN6hipcub16HIPCUB_304000_NS3MaxENSH_8EqualityElEE10hipError_tPvRmT2_T3_T4_T5_mT6_T7_P12ihipStream_tbENKUlT_T0_E_clISt17integral_constantIbLb1EES10_EEDaSV_SW_EUlSV_E_NS1_11comp_targetILNS1_3genE5ELNS1_11target_archE942ELNS1_3gpuE9ELNS1_3repE0EEENS1_30default_config_static_selectorELNS0_4arch9wavefront6targetE0EEEvT1_
	.p2align	8
	.type	_ZN7rocprim17ROCPRIM_400000_NS6detail17trampoline_kernelINS0_14default_configENS1_27scan_by_key_config_selectorIllEEZZNS1_16scan_by_key_implILNS1_25lookback_scan_determinismE0ELb0ES3_N6thrust23THRUST_200600_302600_NS16reverse_iteratorIPKlEESD_NSA_IPlEElN6hipcub16HIPCUB_304000_NS3MaxENSH_8EqualityElEE10hipError_tPvRmT2_T3_T4_T5_mT6_T7_P12ihipStream_tbENKUlT_T0_E_clISt17integral_constantIbLb1EES10_EEDaSV_SW_EUlSV_E_NS1_11comp_targetILNS1_3genE5ELNS1_11target_archE942ELNS1_3gpuE9ELNS1_3repE0EEENS1_30default_config_static_selectorELNS0_4arch9wavefront6targetE0EEEvT1_,@function
_ZN7rocprim17ROCPRIM_400000_NS6detail17trampoline_kernelINS0_14default_configENS1_27scan_by_key_config_selectorIllEEZZNS1_16scan_by_key_implILNS1_25lookback_scan_determinismE0ELb0ES3_N6thrust23THRUST_200600_302600_NS16reverse_iteratorIPKlEESD_NSA_IPlEElN6hipcub16HIPCUB_304000_NS3MaxENSH_8EqualityElEE10hipError_tPvRmT2_T3_T4_T5_mT6_T7_P12ihipStream_tbENKUlT_T0_E_clISt17integral_constantIbLb1EES10_EEDaSV_SW_EUlSV_E_NS1_11comp_targetILNS1_3genE5ELNS1_11target_archE942ELNS1_3gpuE9ELNS1_3repE0EEENS1_30default_config_static_selectorELNS0_4arch9wavefront6targetE0EEEvT1_: ; @_ZN7rocprim17ROCPRIM_400000_NS6detail17trampoline_kernelINS0_14default_configENS1_27scan_by_key_config_selectorIllEEZZNS1_16scan_by_key_implILNS1_25lookback_scan_determinismE0ELb0ES3_N6thrust23THRUST_200600_302600_NS16reverse_iteratorIPKlEESD_NSA_IPlEElN6hipcub16HIPCUB_304000_NS3MaxENSH_8EqualityElEE10hipError_tPvRmT2_T3_T4_T5_mT6_T7_P12ihipStream_tbENKUlT_T0_E_clISt17integral_constantIbLb1EES10_EEDaSV_SW_EUlSV_E_NS1_11comp_targetILNS1_3genE5ELNS1_11target_archE942ELNS1_3gpuE9ELNS1_3repE0EEENS1_30default_config_static_selectorELNS0_4arch9wavefront6targetE0EEEvT1_
; %bb.0:
	.section	.rodata,"a",@progbits
	.p2align	6, 0x0
	.amdhsa_kernel _ZN7rocprim17ROCPRIM_400000_NS6detail17trampoline_kernelINS0_14default_configENS1_27scan_by_key_config_selectorIllEEZZNS1_16scan_by_key_implILNS1_25lookback_scan_determinismE0ELb0ES3_N6thrust23THRUST_200600_302600_NS16reverse_iteratorIPKlEESD_NSA_IPlEElN6hipcub16HIPCUB_304000_NS3MaxENSH_8EqualityElEE10hipError_tPvRmT2_T3_T4_T5_mT6_T7_P12ihipStream_tbENKUlT_T0_E_clISt17integral_constantIbLb1EES10_EEDaSV_SW_EUlSV_E_NS1_11comp_targetILNS1_3genE5ELNS1_11target_archE942ELNS1_3gpuE9ELNS1_3repE0EEENS1_30default_config_static_selectorELNS0_4arch9wavefront6targetE0EEEvT1_
		.amdhsa_group_segment_fixed_size 0
		.amdhsa_private_segment_fixed_size 0
		.amdhsa_kernarg_size 136
		.amdhsa_user_sgpr_count 6
		.amdhsa_user_sgpr_private_segment_buffer 1
		.amdhsa_user_sgpr_dispatch_ptr 0
		.amdhsa_user_sgpr_queue_ptr 0
		.amdhsa_user_sgpr_kernarg_segment_ptr 1
		.amdhsa_user_sgpr_dispatch_id 0
		.amdhsa_user_sgpr_flat_scratch_init 0
		.amdhsa_user_sgpr_private_segment_size 0
		.amdhsa_wavefront_size32 1
		.amdhsa_uses_dynamic_stack 0
		.amdhsa_system_sgpr_private_segment_wavefront_offset 0
		.amdhsa_system_sgpr_workgroup_id_x 1
		.amdhsa_system_sgpr_workgroup_id_y 0
		.amdhsa_system_sgpr_workgroup_id_z 0
		.amdhsa_system_sgpr_workgroup_info 0
		.amdhsa_system_vgpr_workitem_id 0
		.amdhsa_next_free_vgpr 1
		.amdhsa_next_free_sgpr 1
		.amdhsa_reserve_vcc 0
		.amdhsa_reserve_flat_scratch 0
		.amdhsa_float_round_mode_32 0
		.amdhsa_float_round_mode_16_64 0
		.amdhsa_float_denorm_mode_32 3
		.amdhsa_float_denorm_mode_16_64 3
		.amdhsa_dx10_clamp 1
		.amdhsa_ieee_mode 1
		.amdhsa_fp16_overflow 0
		.amdhsa_workgroup_processor_mode 1
		.amdhsa_memory_ordered 1
		.amdhsa_forward_progress 1
		.amdhsa_shared_vgpr_count 0
		.amdhsa_exception_fp_ieee_invalid_op 0
		.amdhsa_exception_fp_denorm_src 0
		.amdhsa_exception_fp_ieee_div_zero 0
		.amdhsa_exception_fp_ieee_overflow 0
		.amdhsa_exception_fp_ieee_underflow 0
		.amdhsa_exception_fp_ieee_inexact 0
		.amdhsa_exception_int_div_zero 0
	.end_amdhsa_kernel
	.section	.text._ZN7rocprim17ROCPRIM_400000_NS6detail17trampoline_kernelINS0_14default_configENS1_27scan_by_key_config_selectorIllEEZZNS1_16scan_by_key_implILNS1_25lookback_scan_determinismE0ELb0ES3_N6thrust23THRUST_200600_302600_NS16reverse_iteratorIPKlEESD_NSA_IPlEElN6hipcub16HIPCUB_304000_NS3MaxENSH_8EqualityElEE10hipError_tPvRmT2_T3_T4_T5_mT6_T7_P12ihipStream_tbENKUlT_T0_E_clISt17integral_constantIbLb1EES10_EEDaSV_SW_EUlSV_E_NS1_11comp_targetILNS1_3genE5ELNS1_11target_archE942ELNS1_3gpuE9ELNS1_3repE0EEENS1_30default_config_static_selectorELNS0_4arch9wavefront6targetE0EEEvT1_,"axG",@progbits,_ZN7rocprim17ROCPRIM_400000_NS6detail17trampoline_kernelINS0_14default_configENS1_27scan_by_key_config_selectorIllEEZZNS1_16scan_by_key_implILNS1_25lookback_scan_determinismE0ELb0ES3_N6thrust23THRUST_200600_302600_NS16reverse_iteratorIPKlEESD_NSA_IPlEElN6hipcub16HIPCUB_304000_NS3MaxENSH_8EqualityElEE10hipError_tPvRmT2_T3_T4_T5_mT6_T7_P12ihipStream_tbENKUlT_T0_E_clISt17integral_constantIbLb1EES10_EEDaSV_SW_EUlSV_E_NS1_11comp_targetILNS1_3genE5ELNS1_11target_archE942ELNS1_3gpuE9ELNS1_3repE0EEENS1_30default_config_static_selectorELNS0_4arch9wavefront6targetE0EEEvT1_,comdat
.Lfunc_end149:
	.size	_ZN7rocprim17ROCPRIM_400000_NS6detail17trampoline_kernelINS0_14default_configENS1_27scan_by_key_config_selectorIllEEZZNS1_16scan_by_key_implILNS1_25lookback_scan_determinismE0ELb0ES3_N6thrust23THRUST_200600_302600_NS16reverse_iteratorIPKlEESD_NSA_IPlEElN6hipcub16HIPCUB_304000_NS3MaxENSH_8EqualityElEE10hipError_tPvRmT2_T3_T4_T5_mT6_T7_P12ihipStream_tbENKUlT_T0_E_clISt17integral_constantIbLb1EES10_EEDaSV_SW_EUlSV_E_NS1_11comp_targetILNS1_3genE5ELNS1_11target_archE942ELNS1_3gpuE9ELNS1_3repE0EEENS1_30default_config_static_selectorELNS0_4arch9wavefront6targetE0EEEvT1_, .Lfunc_end149-_ZN7rocprim17ROCPRIM_400000_NS6detail17trampoline_kernelINS0_14default_configENS1_27scan_by_key_config_selectorIllEEZZNS1_16scan_by_key_implILNS1_25lookback_scan_determinismE0ELb0ES3_N6thrust23THRUST_200600_302600_NS16reverse_iteratorIPKlEESD_NSA_IPlEElN6hipcub16HIPCUB_304000_NS3MaxENSH_8EqualityElEE10hipError_tPvRmT2_T3_T4_T5_mT6_T7_P12ihipStream_tbENKUlT_T0_E_clISt17integral_constantIbLb1EES10_EEDaSV_SW_EUlSV_E_NS1_11comp_targetILNS1_3genE5ELNS1_11target_archE942ELNS1_3gpuE9ELNS1_3repE0EEENS1_30default_config_static_selectorELNS0_4arch9wavefront6targetE0EEEvT1_
                                        ; -- End function
	.set _ZN7rocprim17ROCPRIM_400000_NS6detail17trampoline_kernelINS0_14default_configENS1_27scan_by_key_config_selectorIllEEZZNS1_16scan_by_key_implILNS1_25lookback_scan_determinismE0ELb0ES3_N6thrust23THRUST_200600_302600_NS16reverse_iteratorIPKlEESD_NSA_IPlEElN6hipcub16HIPCUB_304000_NS3MaxENSH_8EqualityElEE10hipError_tPvRmT2_T3_T4_T5_mT6_T7_P12ihipStream_tbENKUlT_T0_E_clISt17integral_constantIbLb1EES10_EEDaSV_SW_EUlSV_E_NS1_11comp_targetILNS1_3genE5ELNS1_11target_archE942ELNS1_3gpuE9ELNS1_3repE0EEENS1_30default_config_static_selectorELNS0_4arch9wavefront6targetE0EEEvT1_.num_vgpr, 0
	.set _ZN7rocprim17ROCPRIM_400000_NS6detail17trampoline_kernelINS0_14default_configENS1_27scan_by_key_config_selectorIllEEZZNS1_16scan_by_key_implILNS1_25lookback_scan_determinismE0ELb0ES3_N6thrust23THRUST_200600_302600_NS16reverse_iteratorIPKlEESD_NSA_IPlEElN6hipcub16HIPCUB_304000_NS3MaxENSH_8EqualityElEE10hipError_tPvRmT2_T3_T4_T5_mT6_T7_P12ihipStream_tbENKUlT_T0_E_clISt17integral_constantIbLb1EES10_EEDaSV_SW_EUlSV_E_NS1_11comp_targetILNS1_3genE5ELNS1_11target_archE942ELNS1_3gpuE9ELNS1_3repE0EEENS1_30default_config_static_selectorELNS0_4arch9wavefront6targetE0EEEvT1_.num_agpr, 0
	.set _ZN7rocprim17ROCPRIM_400000_NS6detail17trampoline_kernelINS0_14default_configENS1_27scan_by_key_config_selectorIllEEZZNS1_16scan_by_key_implILNS1_25lookback_scan_determinismE0ELb0ES3_N6thrust23THRUST_200600_302600_NS16reverse_iteratorIPKlEESD_NSA_IPlEElN6hipcub16HIPCUB_304000_NS3MaxENSH_8EqualityElEE10hipError_tPvRmT2_T3_T4_T5_mT6_T7_P12ihipStream_tbENKUlT_T0_E_clISt17integral_constantIbLb1EES10_EEDaSV_SW_EUlSV_E_NS1_11comp_targetILNS1_3genE5ELNS1_11target_archE942ELNS1_3gpuE9ELNS1_3repE0EEENS1_30default_config_static_selectorELNS0_4arch9wavefront6targetE0EEEvT1_.numbered_sgpr, 0
	.set _ZN7rocprim17ROCPRIM_400000_NS6detail17trampoline_kernelINS0_14default_configENS1_27scan_by_key_config_selectorIllEEZZNS1_16scan_by_key_implILNS1_25lookback_scan_determinismE0ELb0ES3_N6thrust23THRUST_200600_302600_NS16reverse_iteratorIPKlEESD_NSA_IPlEElN6hipcub16HIPCUB_304000_NS3MaxENSH_8EqualityElEE10hipError_tPvRmT2_T3_T4_T5_mT6_T7_P12ihipStream_tbENKUlT_T0_E_clISt17integral_constantIbLb1EES10_EEDaSV_SW_EUlSV_E_NS1_11comp_targetILNS1_3genE5ELNS1_11target_archE942ELNS1_3gpuE9ELNS1_3repE0EEENS1_30default_config_static_selectorELNS0_4arch9wavefront6targetE0EEEvT1_.num_named_barrier, 0
	.set _ZN7rocprim17ROCPRIM_400000_NS6detail17trampoline_kernelINS0_14default_configENS1_27scan_by_key_config_selectorIllEEZZNS1_16scan_by_key_implILNS1_25lookback_scan_determinismE0ELb0ES3_N6thrust23THRUST_200600_302600_NS16reverse_iteratorIPKlEESD_NSA_IPlEElN6hipcub16HIPCUB_304000_NS3MaxENSH_8EqualityElEE10hipError_tPvRmT2_T3_T4_T5_mT6_T7_P12ihipStream_tbENKUlT_T0_E_clISt17integral_constantIbLb1EES10_EEDaSV_SW_EUlSV_E_NS1_11comp_targetILNS1_3genE5ELNS1_11target_archE942ELNS1_3gpuE9ELNS1_3repE0EEENS1_30default_config_static_selectorELNS0_4arch9wavefront6targetE0EEEvT1_.private_seg_size, 0
	.set _ZN7rocprim17ROCPRIM_400000_NS6detail17trampoline_kernelINS0_14default_configENS1_27scan_by_key_config_selectorIllEEZZNS1_16scan_by_key_implILNS1_25lookback_scan_determinismE0ELb0ES3_N6thrust23THRUST_200600_302600_NS16reverse_iteratorIPKlEESD_NSA_IPlEElN6hipcub16HIPCUB_304000_NS3MaxENSH_8EqualityElEE10hipError_tPvRmT2_T3_T4_T5_mT6_T7_P12ihipStream_tbENKUlT_T0_E_clISt17integral_constantIbLb1EES10_EEDaSV_SW_EUlSV_E_NS1_11comp_targetILNS1_3genE5ELNS1_11target_archE942ELNS1_3gpuE9ELNS1_3repE0EEENS1_30default_config_static_selectorELNS0_4arch9wavefront6targetE0EEEvT1_.uses_vcc, 0
	.set _ZN7rocprim17ROCPRIM_400000_NS6detail17trampoline_kernelINS0_14default_configENS1_27scan_by_key_config_selectorIllEEZZNS1_16scan_by_key_implILNS1_25lookback_scan_determinismE0ELb0ES3_N6thrust23THRUST_200600_302600_NS16reverse_iteratorIPKlEESD_NSA_IPlEElN6hipcub16HIPCUB_304000_NS3MaxENSH_8EqualityElEE10hipError_tPvRmT2_T3_T4_T5_mT6_T7_P12ihipStream_tbENKUlT_T0_E_clISt17integral_constantIbLb1EES10_EEDaSV_SW_EUlSV_E_NS1_11comp_targetILNS1_3genE5ELNS1_11target_archE942ELNS1_3gpuE9ELNS1_3repE0EEENS1_30default_config_static_selectorELNS0_4arch9wavefront6targetE0EEEvT1_.uses_flat_scratch, 0
	.set _ZN7rocprim17ROCPRIM_400000_NS6detail17trampoline_kernelINS0_14default_configENS1_27scan_by_key_config_selectorIllEEZZNS1_16scan_by_key_implILNS1_25lookback_scan_determinismE0ELb0ES3_N6thrust23THRUST_200600_302600_NS16reverse_iteratorIPKlEESD_NSA_IPlEElN6hipcub16HIPCUB_304000_NS3MaxENSH_8EqualityElEE10hipError_tPvRmT2_T3_T4_T5_mT6_T7_P12ihipStream_tbENKUlT_T0_E_clISt17integral_constantIbLb1EES10_EEDaSV_SW_EUlSV_E_NS1_11comp_targetILNS1_3genE5ELNS1_11target_archE942ELNS1_3gpuE9ELNS1_3repE0EEENS1_30default_config_static_selectorELNS0_4arch9wavefront6targetE0EEEvT1_.has_dyn_sized_stack, 0
	.set _ZN7rocprim17ROCPRIM_400000_NS6detail17trampoline_kernelINS0_14default_configENS1_27scan_by_key_config_selectorIllEEZZNS1_16scan_by_key_implILNS1_25lookback_scan_determinismE0ELb0ES3_N6thrust23THRUST_200600_302600_NS16reverse_iteratorIPKlEESD_NSA_IPlEElN6hipcub16HIPCUB_304000_NS3MaxENSH_8EqualityElEE10hipError_tPvRmT2_T3_T4_T5_mT6_T7_P12ihipStream_tbENKUlT_T0_E_clISt17integral_constantIbLb1EES10_EEDaSV_SW_EUlSV_E_NS1_11comp_targetILNS1_3genE5ELNS1_11target_archE942ELNS1_3gpuE9ELNS1_3repE0EEENS1_30default_config_static_selectorELNS0_4arch9wavefront6targetE0EEEvT1_.has_recursion, 0
	.set _ZN7rocprim17ROCPRIM_400000_NS6detail17trampoline_kernelINS0_14default_configENS1_27scan_by_key_config_selectorIllEEZZNS1_16scan_by_key_implILNS1_25lookback_scan_determinismE0ELb0ES3_N6thrust23THRUST_200600_302600_NS16reverse_iteratorIPKlEESD_NSA_IPlEElN6hipcub16HIPCUB_304000_NS3MaxENSH_8EqualityElEE10hipError_tPvRmT2_T3_T4_T5_mT6_T7_P12ihipStream_tbENKUlT_T0_E_clISt17integral_constantIbLb1EES10_EEDaSV_SW_EUlSV_E_NS1_11comp_targetILNS1_3genE5ELNS1_11target_archE942ELNS1_3gpuE9ELNS1_3repE0EEENS1_30default_config_static_selectorELNS0_4arch9wavefront6targetE0EEEvT1_.has_indirect_call, 0
	.section	.AMDGPU.csdata,"",@progbits
; Kernel info:
; codeLenInByte = 0
; TotalNumSgprs: 0
; NumVgprs: 0
; ScratchSize: 0
; MemoryBound: 0
; FloatMode: 240
; IeeeMode: 1
; LDSByteSize: 0 bytes/workgroup (compile time only)
; SGPRBlocks: 0
; VGPRBlocks: 0
; NumSGPRsForWavesPerEU: 1
; NumVGPRsForWavesPerEU: 1
; Occupancy: 16
; WaveLimiterHint : 0
; COMPUTE_PGM_RSRC2:SCRATCH_EN: 0
; COMPUTE_PGM_RSRC2:USER_SGPR: 6
; COMPUTE_PGM_RSRC2:TRAP_HANDLER: 0
; COMPUTE_PGM_RSRC2:TGID_X_EN: 1
; COMPUTE_PGM_RSRC2:TGID_Y_EN: 0
; COMPUTE_PGM_RSRC2:TGID_Z_EN: 0
; COMPUTE_PGM_RSRC2:TIDIG_COMP_CNT: 0
	.section	.text._ZN7rocprim17ROCPRIM_400000_NS6detail17trampoline_kernelINS0_14default_configENS1_27scan_by_key_config_selectorIllEEZZNS1_16scan_by_key_implILNS1_25lookback_scan_determinismE0ELb0ES3_N6thrust23THRUST_200600_302600_NS16reverse_iteratorIPKlEESD_NSA_IPlEElN6hipcub16HIPCUB_304000_NS3MaxENSH_8EqualityElEE10hipError_tPvRmT2_T3_T4_T5_mT6_T7_P12ihipStream_tbENKUlT_T0_E_clISt17integral_constantIbLb1EES10_EEDaSV_SW_EUlSV_E_NS1_11comp_targetILNS1_3genE4ELNS1_11target_archE910ELNS1_3gpuE8ELNS1_3repE0EEENS1_30default_config_static_selectorELNS0_4arch9wavefront6targetE0EEEvT1_,"axG",@progbits,_ZN7rocprim17ROCPRIM_400000_NS6detail17trampoline_kernelINS0_14default_configENS1_27scan_by_key_config_selectorIllEEZZNS1_16scan_by_key_implILNS1_25lookback_scan_determinismE0ELb0ES3_N6thrust23THRUST_200600_302600_NS16reverse_iteratorIPKlEESD_NSA_IPlEElN6hipcub16HIPCUB_304000_NS3MaxENSH_8EqualityElEE10hipError_tPvRmT2_T3_T4_T5_mT6_T7_P12ihipStream_tbENKUlT_T0_E_clISt17integral_constantIbLb1EES10_EEDaSV_SW_EUlSV_E_NS1_11comp_targetILNS1_3genE4ELNS1_11target_archE910ELNS1_3gpuE8ELNS1_3repE0EEENS1_30default_config_static_selectorELNS0_4arch9wavefront6targetE0EEEvT1_,comdat
	.protected	_ZN7rocprim17ROCPRIM_400000_NS6detail17trampoline_kernelINS0_14default_configENS1_27scan_by_key_config_selectorIllEEZZNS1_16scan_by_key_implILNS1_25lookback_scan_determinismE0ELb0ES3_N6thrust23THRUST_200600_302600_NS16reverse_iteratorIPKlEESD_NSA_IPlEElN6hipcub16HIPCUB_304000_NS3MaxENSH_8EqualityElEE10hipError_tPvRmT2_T3_T4_T5_mT6_T7_P12ihipStream_tbENKUlT_T0_E_clISt17integral_constantIbLb1EES10_EEDaSV_SW_EUlSV_E_NS1_11comp_targetILNS1_3genE4ELNS1_11target_archE910ELNS1_3gpuE8ELNS1_3repE0EEENS1_30default_config_static_selectorELNS0_4arch9wavefront6targetE0EEEvT1_ ; -- Begin function _ZN7rocprim17ROCPRIM_400000_NS6detail17trampoline_kernelINS0_14default_configENS1_27scan_by_key_config_selectorIllEEZZNS1_16scan_by_key_implILNS1_25lookback_scan_determinismE0ELb0ES3_N6thrust23THRUST_200600_302600_NS16reverse_iteratorIPKlEESD_NSA_IPlEElN6hipcub16HIPCUB_304000_NS3MaxENSH_8EqualityElEE10hipError_tPvRmT2_T3_T4_T5_mT6_T7_P12ihipStream_tbENKUlT_T0_E_clISt17integral_constantIbLb1EES10_EEDaSV_SW_EUlSV_E_NS1_11comp_targetILNS1_3genE4ELNS1_11target_archE910ELNS1_3gpuE8ELNS1_3repE0EEENS1_30default_config_static_selectorELNS0_4arch9wavefront6targetE0EEEvT1_
	.globl	_ZN7rocprim17ROCPRIM_400000_NS6detail17trampoline_kernelINS0_14default_configENS1_27scan_by_key_config_selectorIllEEZZNS1_16scan_by_key_implILNS1_25lookback_scan_determinismE0ELb0ES3_N6thrust23THRUST_200600_302600_NS16reverse_iteratorIPKlEESD_NSA_IPlEElN6hipcub16HIPCUB_304000_NS3MaxENSH_8EqualityElEE10hipError_tPvRmT2_T3_T4_T5_mT6_T7_P12ihipStream_tbENKUlT_T0_E_clISt17integral_constantIbLb1EES10_EEDaSV_SW_EUlSV_E_NS1_11comp_targetILNS1_3genE4ELNS1_11target_archE910ELNS1_3gpuE8ELNS1_3repE0EEENS1_30default_config_static_selectorELNS0_4arch9wavefront6targetE0EEEvT1_
	.p2align	8
	.type	_ZN7rocprim17ROCPRIM_400000_NS6detail17trampoline_kernelINS0_14default_configENS1_27scan_by_key_config_selectorIllEEZZNS1_16scan_by_key_implILNS1_25lookback_scan_determinismE0ELb0ES3_N6thrust23THRUST_200600_302600_NS16reverse_iteratorIPKlEESD_NSA_IPlEElN6hipcub16HIPCUB_304000_NS3MaxENSH_8EqualityElEE10hipError_tPvRmT2_T3_T4_T5_mT6_T7_P12ihipStream_tbENKUlT_T0_E_clISt17integral_constantIbLb1EES10_EEDaSV_SW_EUlSV_E_NS1_11comp_targetILNS1_3genE4ELNS1_11target_archE910ELNS1_3gpuE8ELNS1_3repE0EEENS1_30default_config_static_selectorELNS0_4arch9wavefront6targetE0EEEvT1_,@function
_ZN7rocprim17ROCPRIM_400000_NS6detail17trampoline_kernelINS0_14default_configENS1_27scan_by_key_config_selectorIllEEZZNS1_16scan_by_key_implILNS1_25lookback_scan_determinismE0ELb0ES3_N6thrust23THRUST_200600_302600_NS16reverse_iteratorIPKlEESD_NSA_IPlEElN6hipcub16HIPCUB_304000_NS3MaxENSH_8EqualityElEE10hipError_tPvRmT2_T3_T4_T5_mT6_T7_P12ihipStream_tbENKUlT_T0_E_clISt17integral_constantIbLb1EES10_EEDaSV_SW_EUlSV_E_NS1_11comp_targetILNS1_3genE4ELNS1_11target_archE910ELNS1_3gpuE8ELNS1_3repE0EEENS1_30default_config_static_selectorELNS0_4arch9wavefront6targetE0EEEvT1_: ; @_ZN7rocprim17ROCPRIM_400000_NS6detail17trampoline_kernelINS0_14default_configENS1_27scan_by_key_config_selectorIllEEZZNS1_16scan_by_key_implILNS1_25lookback_scan_determinismE0ELb0ES3_N6thrust23THRUST_200600_302600_NS16reverse_iteratorIPKlEESD_NSA_IPlEElN6hipcub16HIPCUB_304000_NS3MaxENSH_8EqualityElEE10hipError_tPvRmT2_T3_T4_T5_mT6_T7_P12ihipStream_tbENKUlT_T0_E_clISt17integral_constantIbLb1EES10_EEDaSV_SW_EUlSV_E_NS1_11comp_targetILNS1_3genE4ELNS1_11target_archE910ELNS1_3gpuE8ELNS1_3repE0EEENS1_30default_config_static_selectorELNS0_4arch9wavefront6targetE0EEEvT1_
; %bb.0:
	.section	.rodata,"a",@progbits
	.p2align	6, 0x0
	.amdhsa_kernel _ZN7rocprim17ROCPRIM_400000_NS6detail17trampoline_kernelINS0_14default_configENS1_27scan_by_key_config_selectorIllEEZZNS1_16scan_by_key_implILNS1_25lookback_scan_determinismE0ELb0ES3_N6thrust23THRUST_200600_302600_NS16reverse_iteratorIPKlEESD_NSA_IPlEElN6hipcub16HIPCUB_304000_NS3MaxENSH_8EqualityElEE10hipError_tPvRmT2_T3_T4_T5_mT6_T7_P12ihipStream_tbENKUlT_T0_E_clISt17integral_constantIbLb1EES10_EEDaSV_SW_EUlSV_E_NS1_11comp_targetILNS1_3genE4ELNS1_11target_archE910ELNS1_3gpuE8ELNS1_3repE0EEENS1_30default_config_static_selectorELNS0_4arch9wavefront6targetE0EEEvT1_
		.amdhsa_group_segment_fixed_size 0
		.amdhsa_private_segment_fixed_size 0
		.amdhsa_kernarg_size 136
		.amdhsa_user_sgpr_count 6
		.amdhsa_user_sgpr_private_segment_buffer 1
		.amdhsa_user_sgpr_dispatch_ptr 0
		.amdhsa_user_sgpr_queue_ptr 0
		.amdhsa_user_sgpr_kernarg_segment_ptr 1
		.amdhsa_user_sgpr_dispatch_id 0
		.amdhsa_user_sgpr_flat_scratch_init 0
		.amdhsa_user_sgpr_private_segment_size 0
		.amdhsa_wavefront_size32 1
		.amdhsa_uses_dynamic_stack 0
		.amdhsa_system_sgpr_private_segment_wavefront_offset 0
		.amdhsa_system_sgpr_workgroup_id_x 1
		.amdhsa_system_sgpr_workgroup_id_y 0
		.amdhsa_system_sgpr_workgroup_id_z 0
		.amdhsa_system_sgpr_workgroup_info 0
		.amdhsa_system_vgpr_workitem_id 0
		.amdhsa_next_free_vgpr 1
		.amdhsa_next_free_sgpr 1
		.amdhsa_reserve_vcc 0
		.amdhsa_reserve_flat_scratch 0
		.amdhsa_float_round_mode_32 0
		.amdhsa_float_round_mode_16_64 0
		.amdhsa_float_denorm_mode_32 3
		.amdhsa_float_denorm_mode_16_64 3
		.amdhsa_dx10_clamp 1
		.amdhsa_ieee_mode 1
		.amdhsa_fp16_overflow 0
		.amdhsa_workgroup_processor_mode 1
		.amdhsa_memory_ordered 1
		.amdhsa_forward_progress 1
		.amdhsa_shared_vgpr_count 0
		.amdhsa_exception_fp_ieee_invalid_op 0
		.amdhsa_exception_fp_denorm_src 0
		.amdhsa_exception_fp_ieee_div_zero 0
		.amdhsa_exception_fp_ieee_overflow 0
		.amdhsa_exception_fp_ieee_underflow 0
		.amdhsa_exception_fp_ieee_inexact 0
		.amdhsa_exception_int_div_zero 0
	.end_amdhsa_kernel
	.section	.text._ZN7rocprim17ROCPRIM_400000_NS6detail17trampoline_kernelINS0_14default_configENS1_27scan_by_key_config_selectorIllEEZZNS1_16scan_by_key_implILNS1_25lookback_scan_determinismE0ELb0ES3_N6thrust23THRUST_200600_302600_NS16reverse_iteratorIPKlEESD_NSA_IPlEElN6hipcub16HIPCUB_304000_NS3MaxENSH_8EqualityElEE10hipError_tPvRmT2_T3_T4_T5_mT6_T7_P12ihipStream_tbENKUlT_T0_E_clISt17integral_constantIbLb1EES10_EEDaSV_SW_EUlSV_E_NS1_11comp_targetILNS1_3genE4ELNS1_11target_archE910ELNS1_3gpuE8ELNS1_3repE0EEENS1_30default_config_static_selectorELNS0_4arch9wavefront6targetE0EEEvT1_,"axG",@progbits,_ZN7rocprim17ROCPRIM_400000_NS6detail17trampoline_kernelINS0_14default_configENS1_27scan_by_key_config_selectorIllEEZZNS1_16scan_by_key_implILNS1_25lookback_scan_determinismE0ELb0ES3_N6thrust23THRUST_200600_302600_NS16reverse_iteratorIPKlEESD_NSA_IPlEElN6hipcub16HIPCUB_304000_NS3MaxENSH_8EqualityElEE10hipError_tPvRmT2_T3_T4_T5_mT6_T7_P12ihipStream_tbENKUlT_T0_E_clISt17integral_constantIbLb1EES10_EEDaSV_SW_EUlSV_E_NS1_11comp_targetILNS1_3genE4ELNS1_11target_archE910ELNS1_3gpuE8ELNS1_3repE0EEENS1_30default_config_static_selectorELNS0_4arch9wavefront6targetE0EEEvT1_,comdat
.Lfunc_end150:
	.size	_ZN7rocprim17ROCPRIM_400000_NS6detail17trampoline_kernelINS0_14default_configENS1_27scan_by_key_config_selectorIllEEZZNS1_16scan_by_key_implILNS1_25lookback_scan_determinismE0ELb0ES3_N6thrust23THRUST_200600_302600_NS16reverse_iteratorIPKlEESD_NSA_IPlEElN6hipcub16HIPCUB_304000_NS3MaxENSH_8EqualityElEE10hipError_tPvRmT2_T3_T4_T5_mT6_T7_P12ihipStream_tbENKUlT_T0_E_clISt17integral_constantIbLb1EES10_EEDaSV_SW_EUlSV_E_NS1_11comp_targetILNS1_3genE4ELNS1_11target_archE910ELNS1_3gpuE8ELNS1_3repE0EEENS1_30default_config_static_selectorELNS0_4arch9wavefront6targetE0EEEvT1_, .Lfunc_end150-_ZN7rocprim17ROCPRIM_400000_NS6detail17trampoline_kernelINS0_14default_configENS1_27scan_by_key_config_selectorIllEEZZNS1_16scan_by_key_implILNS1_25lookback_scan_determinismE0ELb0ES3_N6thrust23THRUST_200600_302600_NS16reverse_iteratorIPKlEESD_NSA_IPlEElN6hipcub16HIPCUB_304000_NS3MaxENSH_8EqualityElEE10hipError_tPvRmT2_T3_T4_T5_mT6_T7_P12ihipStream_tbENKUlT_T0_E_clISt17integral_constantIbLb1EES10_EEDaSV_SW_EUlSV_E_NS1_11comp_targetILNS1_3genE4ELNS1_11target_archE910ELNS1_3gpuE8ELNS1_3repE0EEENS1_30default_config_static_selectorELNS0_4arch9wavefront6targetE0EEEvT1_
                                        ; -- End function
	.set _ZN7rocprim17ROCPRIM_400000_NS6detail17trampoline_kernelINS0_14default_configENS1_27scan_by_key_config_selectorIllEEZZNS1_16scan_by_key_implILNS1_25lookback_scan_determinismE0ELb0ES3_N6thrust23THRUST_200600_302600_NS16reverse_iteratorIPKlEESD_NSA_IPlEElN6hipcub16HIPCUB_304000_NS3MaxENSH_8EqualityElEE10hipError_tPvRmT2_T3_T4_T5_mT6_T7_P12ihipStream_tbENKUlT_T0_E_clISt17integral_constantIbLb1EES10_EEDaSV_SW_EUlSV_E_NS1_11comp_targetILNS1_3genE4ELNS1_11target_archE910ELNS1_3gpuE8ELNS1_3repE0EEENS1_30default_config_static_selectorELNS0_4arch9wavefront6targetE0EEEvT1_.num_vgpr, 0
	.set _ZN7rocprim17ROCPRIM_400000_NS6detail17trampoline_kernelINS0_14default_configENS1_27scan_by_key_config_selectorIllEEZZNS1_16scan_by_key_implILNS1_25lookback_scan_determinismE0ELb0ES3_N6thrust23THRUST_200600_302600_NS16reverse_iteratorIPKlEESD_NSA_IPlEElN6hipcub16HIPCUB_304000_NS3MaxENSH_8EqualityElEE10hipError_tPvRmT2_T3_T4_T5_mT6_T7_P12ihipStream_tbENKUlT_T0_E_clISt17integral_constantIbLb1EES10_EEDaSV_SW_EUlSV_E_NS1_11comp_targetILNS1_3genE4ELNS1_11target_archE910ELNS1_3gpuE8ELNS1_3repE0EEENS1_30default_config_static_selectorELNS0_4arch9wavefront6targetE0EEEvT1_.num_agpr, 0
	.set _ZN7rocprim17ROCPRIM_400000_NS6detail17trampoline_kernelINS0_14default_configENS1_27scan_by_key_config_selectorIllEEZZNS1_16scan_by_key_implILNS1_25lookback_scan_determinismE0ELb0ES3_N6thrust23THRUST_200600_302600_NS16reverse_iteratorIPKlEESD_NSA_IPlEElN6hipcub16HIPCUB_304000_NS3MaxENSH_8EqualityElEE10hipError_tPvRmT2_T3_T4_T5_mT6_T7_P12ihipStream_tbENKUlT_T0_E_clISt17integral_constantIbLb1EES10_EEDaSV_SW_EUlSV_E_NS1_11comp_targetILNS1_3genE4ELNS1_11target_archE910ELNS1_3gpuE8ELNS1_3repE0EEENS1_30default_config_static_selectorELNS0_4arch9wavefront6targetE0EEEvT1_.numbered_sgpr, 0
	.set _ZN7rocprim17ROCPRIM_400000_NS6detail17trampoline_kernelINS0_14default_configENS1_27scan_by_key_config_selectorIllEEZZNS1_16scan_by_key_implILNS1_25lookback_scan_determinismE0ELb0ES3_N6thrust23THRUST_200600_302600_NS16reverse_iteratorIPKlEESD_NSA_IPlEElN6hipcub16HIPCUB_304000_NS3MaxENSH_8EqualityElEE10hipError_tPvRmT2_T3_T4_T5_mT6_T7_P12ihipStream_tbENKUlT_T0_E_clISt17integral_constantIbLb1EES10_EEDaSV_SW_EUlSV_E_NS1_11comp_targetILNS1_3genE4ELNS1_11target_archE910ELNS1_3gpuE8ELNS1_3repE0EEENS1_30default_config_static_selectorELNS0_4arch9wavefront6targetE0EEEvT1_.num_named_barrier, 0
	.set _ZN7rocprim17ROCPRIM_400000_NS6detail17trampoline_kernelINS0_14default_configENS1_27scan_by_key_config_selectorIllEEZZNS1_16scan_by_key_implILNS1_25lookback_scan_determinismE0ELb0ES3_N6thrust23THRUST_200600_302600_NS16reverse_iteratorIPKlEESD_NSA_IPlEElN6hipcub16HIPCUB_304000_NS3MaxENSH_8EqualityElEE10hipError_tPvRmT2_T3_T4_T5_mT6_T7_P12ihipStream_tbENKUlT_T0_E_clISt17integral_constantIbLb1EES10_EEDaSV_SW_EUlSV_E_NS1_11comp_targetILNS1_3genE4ELNS1_11target_archE910ELNS1_3gpuE8ELNS1_3repE0EEENS1_30default_config_static_selectorELNS0_4arch9wavefront6targetE0EEEvT1_.private_seg_size, 0
	.set _ZN7rocprim17ROCPRIM_400000_NS6detail17trampoline_kernelINS0_14default_configENS1_27scan_by_key_config_selectorIllEEZZNS1_16scan_by_key_implILNS1_25lookback_scan_determinismE0ELb0ES3_N6thrust23THRUST_200600_302600_NS16reverse_iteratorIPKlEESD_NSA_IPlEElN6hipcub16HIPCUB_304000_NS3MaxENSH_8EqualityElEE10hipError_tPvRmT2_T3_T4_T5_mT6_T7_P12ihipStream_tbENKUlT_T0_E_clISt17integral_constantIbLb1EES10_EEDaSV_SW_EUlSV_E_NS1_11comp_targetILNS1_3genE4ELNS1_11target_archE910ELNS1_3gpuE8ELNS1_3repE0EEENS1_30default_config_static_selectorELNS0_4arch9wavefront6targetE0EEEvT1_.uses_vcc, 0
	.set _ZN7rocprim17ROCPRIM_400000_NS6detail17trampoline_kernelINS0_14default_configENS1_27scan_by_key_config_selectorIllEEZZNS1_16scan_by_key_implILNS1_25lookback_scan_determinismE0ELb0ES3_N6thrust23THRUST_200600_302600_NS16reverse_iteratorIPKlEESD_NSA_IPlEElN6hipcub16HIPCUB_304000_NS3MaxENSH_8EqualityElEE10hipError_tPvRmT2_T3_T4_T5_mT6_T7_P12ihipStream_tbENKUlT_T0_E_clISt17integral_constantIbLb1EES10_EEDaSV_SW_EUlSV_E_NS1_11comp_targetILNS1_3genE4ELNS1_11target_archE910ELNS1_3gpuE8ELNS1_3repE0EEENS1_30default_config_static_selectorELNS0_4arch9wavefront6targetE0EEEvT1_.uses_flat_scratch, 0
	.set _ZN7rocprim17ROCPRIM_400000_NS6detail17trampoline_kernelINS0_14default_configENS1_27scan_by_key_config_selectorIllEEZZNS1_16scan_by_key_implILNS1_25lookback_scan_determinismE0ELb0ES3_N6thrust23THRUST_200600_302600_NS16reverse_iteratorIPKlEESD_NSA_IPlEElN6hipcub16HIPCUB_304000_NS3MaxENSH_8EqualityElEE10hipError_tPvRmT2_T3_T4_T5_mT6_T7_P12ihipStream_tbENKUlT_T0_E_clISt17integral_constantIbLb1EES10_EEDaSV_SW_EUlSV_E_NS1_11comp_targetILNS1_3genE4ELNS1_11target_archE910ELNS1_3gpuE8ELNS1_3repE0EEENS1_30default_config_static_selectorELNS0_4arch9wavefront6targetE0EEEvT1_.has_dyn_sized_stack, 0
	.set _ZN7rocprim17ROCPRIM_400000_NS6detail17trampoline_kernelINS0_14default_configENS1_27scan_by_key_config_selectorIllEEZZNS1_16scan_by_key_implILNS1_25lookback_scan_determinismE0ELb0ES3_N6thrust23THRUST_200600_302600_NS16reverse_iteratorIPKlEESD_NSA_IPlEElN6hipcub16HIPCUB_304000_NS3MaxENSH_8EqualityElEE10hipError_tPvRmT2_T3_T4_T5_mT6_T7_P12ihipStream_tbENKUlT_T0_E_clISt17integral_constantIbLb1EES10_EEDaSV_SW_EUlSV_E_NS1_11comp_targetILNS1_3genE4ELNS1_11target_archE910ELNS1_3gpuE8ELNS1_3repE0EEENS1_30default_config_static_selectorELNS0_4arch9wavefront6targetE0EEEvT1_.has_recursion, 0
	.set _ZN7rocprim17ROCPRIM_400000_NS6detail17trampoline_kernelINS0_14default_configENS1_27scan_by_key_config_selectorIllEEZZNS1_16scan_by_key_implILNS1_25lookback_scan_determinismE0ELb0ES3_N6thrust23THRUST_200600_302600_NS16reverse_iteratorIPKlEESD_NSA_IPlEElN6hipcub16HIPCUB_304000_NS3MaxENSH_8EqualityElEE10hipError_tPvRmT2_T3_T4_T5_mT6_T7_P12ihipStream_tbENKUlT_T0_E_clISt17integral_constantIbLb1EES10_EEDaSV_SW_EUlSV_E_NS1_11comp_targetILNS1_3genE4ELNS1_11target_archE910ELNS1_3gpuE8ELNS1_3repE0EEENS1_30default_config_static_selectorELNS0_4arch9wavefront6targetE0EEEvT1_.has_indirect_call, 0
	.section	.AMDGPU.csdata,"",@progbits
; Kernel info:
; codeLenInByte = 0
; TotalNumSgprs: 0
; NumVgprs: 0
; ScratchSize: 0
; MemoryBound: 0
; FloatMode: 240
; IeeeMode: 1
; LDSByteSize: 0 bytes/workgroup (compile time only)
; SGPRBlocks: 0
; VGPRBlocks: 0
; NumSGPRsForWavesPerEU: 1
; NumVGPRsForWavesPerEU: 1
; Occupancy: 16
; WaveLimiterHint : 0
; COMPUTE_PGM_RSRC2:SCRATCH_EN: 0
; COMPUTE_PGM_RSRC2:USER_SGPR: 6
; COMPUTE_PGM_RSRC2:TRAP_HANDLER: 0
; COMPUTE_PGM_RSRC2:TGID_X_EN: 1
; COMPUTE_PGM_RSRC2:TGID_Y_EN: 0
; COMPUTE_PGM_RSRC2:TGID_Z_EN: 0
; COMPUTE_PGM_RSRC2:TIDIG_COMP_CNT: 0
	.section	.text._ZN7rocprim17ROCPRIM_400000_NS6detail17trampoline_kernelINS0_14default_configENS1_27scan_by_key_config_selectorIllEEZZNS1_16scan_by_key_implILNS1_25lookback_scan_determinismE0ELb0ES3_N6thrust23THRUST_200600_302600_NS16reverse_iteratorIPKlEESD_NSA_IPlEElN6hipcub16HIPCUB_304000_NS3MaxENSH_8EqualityElEE10hipError_tPvRmT2_T3_T4_T5_mT6_T7_P12ihipStream_tbENKUlT_T0_E_clISt17integral_constantIbLb1EES10_EEDaSV_SW_EUlSV_E_NS1_11comp_targetILNS1_3genE3ELNS1_11target_archE908ELNS1_3gpuE7ELNS1_3repE0EEENS1_30default_config_static_selectorELNS0_4arch9wavefront6targetE0EEEvT1_,"axG",@progbits,_ZN7rocprim17ROCPRIM_400000_NS6detail17trampoline_kernelINS0_14default_configENS1_27scan_by_key_config_selectorIllEEZZNS1_16scan_by_key_implILNS1_25lookback_scan_determinismE0ELb0ES3_N6thrust23THRUST_200600_302600_NS16reverse_iteratorIPKlEESD_NSA_IPlEElN6hipcub16HIPCUB_304000_NS3MaxENSH_8EqualityElEE10hipError_tPvRmT2_T3_T4_T5_mT6_T7_P12ihipStream_tbENKUlT_T0_E_clISt17integral_constantIbLb1EES10_EEDaSV_SW_EUlSV_E_NS1_11comp_targetILNS1_3genE3ELNS1_11target_archE908ELNS1_3gpuE7ELNS1_3repE0EEENS1_30default_config_static_selectorELNS0_4arch9wavefront6targetE0EEEvT1_,comdat
	.protected	_ZN7rocprim17ROCPRIM_400000_NS6detail17trampoline_kernelINS0_14default_configENS1_27scan_by_key_config_selectorIllEEZZNS1_16scan_by_key_implILNS1_25lookback_scan_determinismE0ELb0ES3_N6thrust23THRUST_200600_302600_NS16reverse_iteratorIPKlEESD_NSA_IPlEElN6hipcub16HIPCUB_304000_NS3MaxENSH_8EqualityElEE10hipError_tPvRmT2_T3_T4_T5_mT6_T7_P12ihipStream_tbENKUlT_T0_E_clISt17integral_constantIbLb1EES10_EEDaSV_SW_EUlSV_E_NS1_11comp_targetILNS1_3genE3ELNS1_11target_archE908ELNS1_3gpuE7ELNS1_3repE0EEENS1_30default_config_static_selectorELNS0_4arch9wavefront6targetE0EEEvT1_ ; -- Begin function _ZN7rocprim17ROCPRIM_400000_NS6detail17trampoline_kernelINS0_14default_configENS1_27scan_by_key_config_selectorIllEEZZNS1_16scan_by_key_implILNS1_25lookback_scan_determinismE0ELb0ES3_N6thrust23THRUST_200600_302600_NS16reverse_iteratorIPKlEESD_NSA_IPlEElN6hipcub16HIPCUB_304000_NS3MaxENSH_8EqualityElEE10hipError_tPvRmT2_T3_T4_T5_mT6_T7_P12ihipStream_tbENKUlT_T0_E_clISt17integral_constantIbLb1EES10_EEDaSV_SW_EUlSV_E_NS1_11comp_targetILNS1_3genE3ELNS1_11target_archE908ELNS1_3gpuE7ELNS1_3repE0EEENS1_30default_config_static_selectorELNS0_4arch9wavefront6targetE0EEEvT1_
	.globl	_ZN7rocprim17ROCPRIM_400000_NS6detail17trampoline_kernelINS0_14default_configENS1_27scan_by_key_config_selectorIllEEZZNS1_16scan_by_key_implILNS1_25lookback_scan_determinismE0ELb0ES3_N6thrust23THRUST_200600_302600_NS16reverse_iteratorIPKlEESD_NSA_IPlEElN6hipcub16HIPCUB_304000_NS3MaxENSH_8EqualityElEE10hipError_tPvRmT2_T3_T4_T5_mT6_T7_P12ihipStream_tbENKUlT_T0_E_clISt17integral_constantIbLb1EES10_EEDaSV_SW_EUlSV_E_NS1_11comp_targetILNS1_3genE3ELNS1_11target_archE908ELNS1_3gpuE7ELNS1_3repE0EEENS1_30default_config_static_selectorELNS0_4arch9wavefront6targetE0EEEvT1_
	.p2align	8
	.type	_ZN7rocprim17ROCPRIM_400000_NS6detail17trampoline_kernelINS0_14default_configENS1_27scan_by_key_config_selectorIllEEZZNS1_16scan_by_key_implILNS1_25lookback_scan_determinismE0ELb0ES3_N6thrust23THRUST_200600_302600_NS16reverse_iteratorIPKlEESD_NSA_IPlEElN6hipcub16HIPCUB_304000_NS3MaxENSH_8EqualityElEE10hipError_tPvRmT2_T3_T4_T5_mT6_T7_P12ihipStream_tbENKUlT_T0_E_clISt17integral_constantIbLb1EES10_EEDaSV_SW_EUlSV_E_NS1_11comp_targetILNS1_3genE3ELNS1_11target_archE908ELNS1_3gpuE7ELNS1_3repE0EEENS1_30default_config_static_selectorELNS0_4arch9wavefront6targetE0EEEvT1_,@function
_ZN7rocprim17ROCPRIM_400000_NS6detail17trampoline_kernelINS0_14default_configENS1_27scan_by_key_config_selectorIllEEZZNS1_16scan_by_key_implILNS1_25lookback_scan_determinismE0ELb0ES3_N6thrust23THRUST_200600_302600_NS16reverse_iteratorIPKlEESD_NSA_IPlEElN6hipcub16HIPCUB_304000_NS3MaxENSH_8EqualityElEE10hipError_tPvRmT2_T3_T4_T5_mT6_T7_P12ihipStream_tbENKUlT_T0_E_clISt17integral_constantIbLb1EES10_EEDaSV_SW_EUlSV_E_NS1_11comp_targetILNS1_3genE3ELNS1_11target_archE908ELNS1_3gpuE7ELNS1_3repE0EEENS1_30default_config_static_selectorELNS0_4arch9wavefront6targetE0EEEvT1_: ; @_ZN7rocprim17ROCPRIM_400000_NS6detail17trampoline_kernelINS0_14default_configENS1_27scan_by_key_config_selectorIllEEZZNS1_16scan_by_key_implILNS1_25lookback_scan_determinismE0ELb0ES3_N6thrust23THRUST_200600_302600_NS16reverse_iteratorIPKlEESD_NSA_IPlEElN6hipcub16HIPCUB_304000_NS3MaxENSH_8EqualityElEE10hipError_tPvRmT2_T3_T4_T5_mT6_T7_P12ihipStream_tbENKUlT_T0_E_clISt17integral_constantIbLb1EES10_EEDaSV_SW_EUlSV_E_NS1_11comp_targetILNS1_3genE3ELNS1_11target_archE908ELNS1_3gpuE7ELNS1_3repE0EEENS1_30default_config_static_selectorELNS0_4arch9wavefront6targetE0EEEvT1_
; %bb.0:
	.section	.rodata,"a",@progbits
	.p2align	6, 0x0
	.amdhsa_kernel _ZN7rocprim17ROCPRIM_400000_NS6detail17trampoline_kernelINS0_14default_configENS1_27scan_by_key_config_selectorIllEEZZNS1_16scan_by_key_implILNS1_25lookback_scan_determinismE0ELb0ES3_N6thrust23THRUST_200600_302600_NS16reverse_iteratorIPKlEESD_NSA_IPlEElN6hipcub16HIPCUB_304000_NS3MaxENSH_8EqualityElEE10hipError_tPvRmT2_T3_T4_T5_mT6_T7_P12ihipStream_tbENKUlT_T0_E_clISt17integral_constantIbLb1EES10_EEDaSV_SW_EUlSV_E_NS1_11comp_targetILNS1_3genE3ELNS1_11target_archE908ELNS1_3gpuE7ELNS1_3repE0EEENS1_30default_config_static_selectorELNS0_4arch9wavefront6targetE0EEEvT1_
		.amdhsa_group_segment_fixed_size 0
		.amdhsa_private_segment_fixed_size 0
		.amdhsa_kernarg_size 136
		.amdhsa_user_sgpr_count 6
		.amdhsa_user_sgpr_private_segment_buffer 1
		.amdhsa_user_sgpr_dispatch_ptr 0
		.amdhsa_user_sgpr_queue_ptr 0
		.amdhsa_user_sgpr_kernarg_segment_ptr 1
		.amdhsa_user_sgpr_dispatch_id 0
		.amdhsa_user_sgpr_flat_scratch_init 0
		.amdhsa_user_sgpr_private_segment_size 0
		.amdhsa_wavefront_size32 1
		.amdhsa_uses_dynamic_stack 0
		.amdhsa_system_sgpr_private_segment_wavefront_offset 0
		.amdhsa_system_sgpr_workgroup_id_x 1
		.amdhsa_system_sgpr_workgroup_id_y 0
		.amdhsa_system_sgpr_workgroup_id_z 0
		.amdhsa_system_sgpr_workgroup_info 0
		.amdhsa_system_vgpr_workitem_id 0
		.amdhsa_next_free_vgpr 1
		.amdhsa_next_free_sgpr 1
		.amdhsa_reserve_vcc 0
		.amdhsa_reserve_flat_scratch 0
		.amdhsa_float_round_mode_32 0
		.amdhsa_float_round_mode_16_64 0
		.amdhsa_float_denorm_mode_32 3
		.amdhsa_float_denorm_mode_16_64 3
		.amdhsa_dx10_clamp 1
		.amdhsa_ieee_mode 1
		.amdhsa_fp16_overflow 0
		.amdhsa_workgroup_processor_mode 1
		.amdhsa_memory_ordered 1
		.amdhsa_forward_progress 1
		.amdhsa_shared_vgpr_count 0
		.amdhsa_exception_fp_ieee_invalid_op 0
		.amdhsa_exception_fp_denorm_src 0
		.amdhsa_exception_fp_ieee_div_zero 0
		.amdhsa_exception_fp_ieee_overflow 0
		.amdhsa_exception_fp_ieee_underflow 0
		.amdhsa_exception_fp_ieee_inexact 0
		.amdhsa_exception_int_div_zero 0
	.end_amdhsa_kernel
	.section	.text._ZN7rocprim17ROCPRIM_400000_NS6detail17trampoline_kernelINS0_14default_configENS1_27scan_by_key_config_selectorIllEEZZNS1_16scan_by_key_implILNS1_25lookback_scan_determinismE0ELb0ES3_N6thrust23THRUST_200600_302600_NS16reverse_iteratorIPKlEESD_NSA_IPlEElN6hipcub16HIPCUB_304000_NS3MaxENSH_8EqualityElEE10hipError_tPvRmT2_T3_T4_T5_mT6_T7_P12ihipStream_tbENKUlT_T0_E_clISt17integral_constantIbLb1EES10_EEDaSV_SW_EUlSV_E_NS1_11comp_targetILNS1_3genE3ELNS1_11target_archE908ELNS1_3gpuE7ELNS1_3repE0EEENS1_30default_config_static_selectorELNS0_4arch9wavefront6targetE0EEEvT1_,"axG",@progbits,_ZN7rocprim17ROCPRIM_400000_NS6detail17trampoline_kernelINS0_14default_configENS1_27scan_by_key_config_selectorIllEEZZNS1_16scan_by_key_implILNS1_25lookback_scan_determinismE0ELb0ES3_N6thrust23THRUST_200600_302600_NS16reverse_iteratorIPKlEESD_NSA_IPlEElN6hipcub16HIPCUB_304000_NS3MaxENSH_8EqualityElEE10hipError_tPvRmT2_T3_T4_T5_mT6_T7_P12ihipStream_tbENKUlT_T0_E_clISt17integral_constantIbLb1EES10_EEDaSV_SW_EUlSV_E_NS1_11comp_targetILNS1_3genE3ELNS1_11target_archE908ELNS1_3gpuE7ELNS1_3repE0EEENS1_30default_config_static_selectorELNS0_4arch9wavefront6targetE0EEEvT1_,comdat
.Lfunc_end151:
	.size	_ZN7rocprim17ROCPRIM_400000_NS6detail17trampoline_kernelINS0_14default_configENS1_27scan_by_key_config_selectorIllEEZZNS1_16scan_by_key_implILNS1_25lookback_scan_determinismE0ELb0ES3_N6thrust23THRUST_200600_302600_NS16reverse_iteratorIPKlEESD_NSA_IPlEElN6hipcub16HIPCUB_304000_NS3MaxENSH_8EqualityElEE10hipError_tPvRmT2_T3_T4_T5_mT6_T7_P12ihipStream_tbENKUlT_T0_E_clISt17integral_constantIbLb1EES10_EEDaSV_SW_EUlSV_E_NS1_11comp_targetILNS1_3genE3ELNS1_11target_archE908ELNS1_3gpuE7ELNS1_3repE0EEENS1_30default_config_static_selectorELNS0_4arch9wavefront6targetE0EEEvT1_, .Lfunc_end151-_ZN7rocprim17ROCPRIM_400000_NS6detail17trampoline_kernelINS0_14default_configENS1_27scan_by_key_config_selectorIllEEZZNS1_16scan_by_key_implILNS1_25lookback_scan_determinismE0ELb0ES3_N6thrust23THRUST_200600_302600_NS16reverse_iteratorIPKlEESD_NSA_IPlEElN6hipcub16HIPCUB_304000_NS3MaxENSH_8EqualityElEE10hipError_tPvRmT2_T3_T4_T5_mT6_T7_P12ihipStream_tbENKUlT_T0_E_clISt17integral_constantIbLb1EES10_EEDaSV_SW_EUlSV_E_NS1_11comp_targetILNS1_3genE3ELNS1_11target_archE908ELNS1_3gpuE7ELNS1_3repE0EEENS1_30default_config_static_selectorELNS0_4arch9wavefront6targetE0EEEvT1_
                                        ; -- End function
	.set _ZN7rocprim17ROCPRIM_400000_NS6detail17trampoline_kernelINS0_14default_configENS1_27scan_by_key_config_selectorIllEEZZNS1_16scan_by_key_implILNS1_25lookback_scan_determinismE0ELb0ES3_N6thrust23THRUST_200600_302600_NS16reverse_iteratorIPKlEESD_NSA_IPlEElN6hipcub16HIPCUB_304000_NS3MaxENSH_8EqualityElEE10hipError_tPvRmT2_T3_T4_T5_mT6_T7_P12ihipStream_tbENKUlT_T0_E_clISt17integral_constantIbLb1EES10_EEDaSV_SW_EUlSV_E_NS1_11comp_targetILNS1_3genE3ELNS1_11target_archE908ELNS1_3gpuE7ELNS1_3repE0EEENS1_30default_config_static_selectorELNS0_4arch9wavefront6targetE0EEEvT1_.num_vgpr, 0
	.set _ZN7rocprim17ROCPRIM_400000_NS6detail17trampoline_kernelINS0_14default_configENS1_27scan_by_key_config_selectorIllEEZZNS1_16scan_by_key_implILNS1_25lookback_scan_determinismE0ELb0ES3_N6thrust23THRUST_200600_302600_NS16reverse_iteratorIPKlEESD_NSA_IPlEElN6hipcub16HIPCUB_304000_NS3MaxENSH_8EqualityElEE10hipError_tPvRmT2_T3_T4_T5_mT6_T7_P12ihipStream_tbENKUlT_T0_E_clISt17integral_constantIbLb1EES10_EEDaSV_SW_EUlSV_E_NS1_11comp_targetILNS1_3genE3ELNS1_11target_archE908ELNS1_3gpuE7ELNS1_3repE0EEENS1_30default_config_static_selectorELNS0_4arch9wavefront6targetE0EEEvT1_.num_agpr, 0
	.set _ZN7rocprim17ROCPRIM_400000_NS6detail17trampoline_kernelINS0_14default_configENS1_27scan_by_key_config_selectorIllEEZZNS1_16scan_by_key_implILNS1_25lookback_scan_determinismE0ELb0ES3_N6thrust23THRUST_200600_302600_NS16reverse_iteratorIPKlEESD_NSA_IPlEElN6hipcub16HIPCUB_304000_NS3MaxENSH_8EqualityElEE10hipError_tPvRmT2_T3_T4_T5_mT6_T7_P12ihipStream_tbENKUlT_T0_E_clISt17integral_constantIbLb1EES10_EEDaSV_SW_EUlSV_E_NS1_11comp_targetILNS1_3genE3ELNS1_11target_archE908ELNS1_3gpuE7ELNS1_3repE0EEENS1_30default_config_static_selectorELNS0_4arch9wavefront6targetE0EEEvT1_.numbered_sgpr, 0
	.set _ZN7rocprim17ROCPRIM_400000_NS6detail17trampoline_kernelINS0_14default_configENS1_27scan_by_key_config_selectorIllEEZZNS1_16scan_by_key_implILNS1_25lookback_scan_determinismE0ELb0ES3_N6thrust23THRUST_200600_302600_NS16reverse_iteratorIPKlEESD_NSA_IPlEElN6hipcub16HIPCUB_304000_NS3MaxENSH_8EqualityElEE10hipError_tPvRmT2_T3_T4_T5_mT6_T7_P12ihipStream_tbENKUlT_T0_E_clISt17integral_constantIbLb1EES10_EEDaSV_SW_EUlSV_E_NS1_11comp_targetILNS1_3genE3ELNS1_11target_archE908ELNS1_3gpuE7ELNS1_3repE0EEENS1_30default_config_static_selectorELNS0_4arch9wavefront6targetE0EEEvT1_.num_named_barrier, 0
	.set _ZN7rocprim17ROCPRIM_400000_NS6detail17trampoline_kernelINS0_14default_configENS1_27scan_by_key_config_selectorIllEEZZNS1_16scan_by_key_implILNS1_25lookback_scan_determinismE0ELb0ES3_N6thrust23THRUST_200600_302600_NS16reverse_iteratorIPKlEESD_NSA_IPlEElN6hipcub16HIPCUB_304000_NS3MaxENSH_8EqualityElEE10hipError_tPvRmT2_T3_T4_T5_mT6_T7_P12ihipStream_tbENKUlT_T0_E_clISt17integral_constantIbLb1EES10_EEDaSV_SW_EUlSV_E_NS1_11comp_targetILNS1_3genE3ELNS1_11target_archE908ELNS1_3gpuE7ELNS1_3repE0EEENS1_30default_config_static_selectorELNS0_4arch9wavefront6targetE0EEEvT1_.private_seg_size, 0
	.set _ZN7rocprim17ROCPRIM_400000_NS6detail17trampoline_kernelINS0_14default_configENS1_27scan_by_key_config_selectorIllEEZZNS1_16scan_by_key_implILNS1_25lookback_scan_determinismE0ELb0ES3_N6thrust23THRUST_200600_302600_NS16reverse_iteratorIPKlEESD_NSA_IPlEElN6hipcub16HIPCUB_304000_NS3MaxENSH_8EqualityElEE10hipError_tPvRmT2_T3_T4_T5_mT6_T7_P12ihipStream_tbENKUlT_T0_E_clISt17integral_constantIbLb1EES10_EEDaSV_SW_EUlSV_E_NS1_11comp_targetILNS1_3genE3ELNS1_11target_archE908ELNS1_3gpuE7ELNS1_3repE0EEENS1_30default_config_static_selectorELNS0_4arch9wavefront6targetE0EEEvT1_.uses_vcc, 0
	.set _ZN7rocprim17ROCPRIM_400000_NS6detail17trampoline_kernelINS0_14default_configENS1_27scan_by_key_config_selectorIllEEZZNS1_16scan_by_key_implILNS1_25lookback_scan_determinismE0ELb0ES3_N6thrust23THRUST_200600_302600_NS16reverse_iteratorIPKlEESD_NSA_IPlEElN6hipcub16HIPCUB_304000_NS3MaxENSH_8EqualityElEE10hipError_tPvRmT2_T3_T4_T5_mT6_T7_P12ihipStream_tbENKUlT_T0_E_clISt17integral_constantIbLb1EES10_EEDaSV_SW_EUlSV_E_NS1_11comp_targetILNS1_3genE3ELNS1_11target_archE908ELNS1_3gpuE7ELNS1_3repE0EEENS1_30default_config_static_selectorELNS0_4arch9wavefront6targetE0EEEvT1_.uses_flat_scratch, 0
	.set _ZN7rocprim17ROCPRIM_400000_NS6detail17trampoline_kernelINS0_14default_configENS1_27scan_by_key_config_selectorIllEEZZNS1_16scan_by_key_implILNS1_25lookback_scan_determinismE0ELb0ES3_N6thrust23THRUST_200600_302600_NS16reverse_iteratorIPKlEESD_NSA_IPlEElN6hipcub16HIPCUB_304000_NS3MaxENSH_8EqualityElEE10hipError_tPvRmT2_T3_T4_T5_mT6_T7_P12ihipStream_tbENKUlT_T0_E_clISt17integral_constantIbLb1EES10_EEDaSV_SW_EUlSV_E_NS1_11comp_targetILNS1_3genE3ELNS1_11target_archE908ELNS1_3gpuE7ELNS1_3repE0EEENS1_30default_config_static_selectorELNS0_4arch9wavefront6targetE0EEEvT1_.has_dyn_sized_stack, 0
	.set _ZN7rocprim17ROCPRIM_400000_NS6detail17trampoline_kernelINS0_14default_configENS1_27scan_by_key_config_selectorIllEEZZNS1_16scan_by_key_implILNS1_25lookback_scan_determinismE0ELb0ES3_N6thrust23THRUST_200600_302600_NS16reverse_iteratorIPKlEESD_NSA_IPlEElN6hipcub16HIPCUB_304000_NS3MaxENSH_8EqualityElEE10hipError_tPvRmT2_T3_T4_T5_mT6_T7_P12ihipStream_tbENKUlT_T0_E_clISt17integral_constantIbLb1EES10_EEDaSV_SW_EUlSV_E_NS1_11comp_targetILNS1_3genE3ELNS1_11target_archE908ELNS1_3gpuE7ELNS1_3repE0EEENS1_30default_config_static_selectorELNS0_4arch9wavefront6targetE0EEEvT1_.has_recursion, 0
	.set _ZN7rocprim17ROCPRIM_400000_NS6detail17trampoline_kernelINS0_14default_configENS1_27scan_by_key_config_selectorIllEEZZNS1_16scan_by_key_implILNS1_25lookback_scan_determinismE0ELb0ES3_N6thrust23THRUST_200600_302600_NS16reverse_iteratorIPKlEESD_NSA_IPlEElN6hipcub16HIPCUB_304000_NS3MaxENSH_8EqualityElEE10hipError_tPvRmT2_T3_T4_T5_mT6_T7_P12ihipStream_tbENKUlT_T0_E_clISt17integral_constantIbLb1EES10_EEDaSV_SW_EUlSV_E_NS1_11comp_targetILNS1_3genE3ELNS1_11target_archE908ELNS1_3gpuE7ELNS1_3repE0EEENS1_30default_config_static_selectorELNS0_4arch9wavefront6targetE0EEEvT1_.has_indirect_call, 0
	.section	.AMDGPU.csdata,"",@progbits
; Kernel info:
; codeLenInByte = 0
; TotalNumSgprs: 0
; NumVgprs: 0
; ScratchSize: 0
; MemoryBound: 0
; FloatMode: 240
; IeeeMode: 1
; LDSByteSize: 0 bytes/workgroup (compile time only)
; SGPRBlocks: 0
; VGPRBlocks: 0
; NumSGPRsForWavesPerEU: 1
; NumVGPRsForWavesPerEU: 1
; Occupancy: 16
; WaveLimiterHint : 0
; COMPUTE_PGM_RSRC2:SCRATCH_EN: 0
; COMPUTE_PGM_RSRC2:USER_SGPR: 6
; COMPUTE_PGM_RSRC2:TRAP_HANDLER: 0
; COMPUTE_PGM_RSRC2:TGID_X_EN: 1
; COMPUTE_PGM_RSRC2:TGID_Y_EN: 0
; COMPUTE_PGM_RSRC2:TGID_Z_EN: 0
; COMPUTE_PGM_RSRC2:TIDIG_COMP_CNT: 0
	.section	.text._ZN7rocprim17ROCPRIM_400000_NS6detail17trampoline_kernelINS0_14default_configENS1_27scan_by_key_config_selectorIllEEZZNS1_16scan_by_key_implILNS1_25lookback_scan_determinismE0ELb0ES3_N6thrust23THRUST_200600_302600_NS16reverse_iteratorIPKlEESD_NSA_IPlEElN6hipcub16HIPCUB_304000_NS3MaxENSH_8EqualityElEE10hipError_tPvRmT2_T3_T4_T5_mT6_T7_P12ihipStream_tbENKUlT_T0_E_clISt17integral_constantIbLb1EES10_EEDaSV_SW_EUlSV_E_NS1_11comp_targetILNS1_3genE2ELNS1_11target_archE906ELNS1_3gpuE6ELNS1_3repE0EEENS1_30default_config_static_selectorELNS0_4arch9wavefront6targetE0EEEvT1_,"axG",@progbits,_ZN7rocprim17ROCPRIM_400000_NS6detail17trampoline_kernelINS0_14default_configENS1_27scan_by_key_config_selectorIllEEZZNS1_16scan_by_key_implILNS1_25lookback_scan_determinismE0ELb0ES3_N6thrust23THRUST_200600_302600_NS16reverse_iteratorIPKlEESD_NSA_IPlEElN6hipcub16HIPCUB_304000_NS3MaxENSH_8EqualityElEE10hipError_tPvRmT2_T3_T4_T5_mT6_T7_P12ihipStream_tbENKUlT_T0_E_clISt17integral_constantIbLb1EES10_EEDaSV_SW_EUlSV_E_NS1_11comp_targetILNS1_3genE2ELNS1_11target_archE906ELNS1_3gpuE6ELNS1_3repE0EEENS1_30default_config_static_selectorELNS0_4arch9wavefront6targetE0EEEvT1_,comdat
	.protected	_ZN7rocprim17ROCPRIM_400000_NS6detail17trampoline_kernelINS0_14default_configENS1_27scan_by_key_config_selectorIllEEZZNS1_16scan_by_key_implILNS1_25lookback_scan_determinismE0ELb0ES3_N6thrust23THRUST_200600_302600_NS16reverse_iteratorIPKlEESD_NSA_IPlEElN6hipcub16HIPCUB_304000_NS3MaxENSH_8EqualityElEE10hipError_tPvRmT2_T3_T4_T5_mT6_T7_P12ihipStream_tbENKUlT_T0_E_clISt17integral_constantIbLb1EES10_EEDaSV_SW_EUlSV_E_NS1_11comp_targetILNS1_3genE2ELNS1_11target_archE906ELNS1_3gpuE6ELNS1_3repE0EEENS1_30default_config_static_selectorELNS0_4arch9wavefront6targetE0EEEvT1_ ; -- Begin function _ZN7rocprim17ROCPRIM_400000_NS6detail17trampoline_kernelINS0_14default_configENS1_27scan_by_key_config_selectorIllEEZZNS1_16scan_by_key_implILNS1_25lookback_scan_determinismE0ELb0ES3_N6thrust23THRUST_200600_302600_NS16reverse_iteratorIPKlEESD_NSA_IPlEElN6hipcub16HIPCUB_304000_NS3MaxENSH_8EqualityElEE10hipError_tPvRmT2_T3_T4_T5_mT6_T7_P12ihipStream_tbENKUlT_T0_E_clISt17integral_constantIbLb1EES10_EEDaSV_SW_EUlSV_E_NS1_11comp_targetILNS1_3genE2ELNS1_11target_archE906ELNS1_3gpuE6ELNS1_3repE0EEENS1_30default_config_static_selectorELNS0_4arch9wavefront6targetE0EEEvT1_
	.globl	_ZN7rocprim17ROCPRIM_400000_NS6detail17trampoline_kernelINS0_14default_configENS1_27scan_by_key_config_selectorIllEEZZNS1_16scan_by_key_implILNS1_25lookback_scan_determinismE0ELb0ES3_N6thrust23THRUST_200600_302600_NS16reverse_iteratorIPKlEESD_NSA_IPlEElN6hipcub16HIPCUB_304000_NS3MaxENSH_8EqualityElEE10hipError_tPvRmT2_T3_T4_T5_mT6_T7_P12ihipStream_tbENKUlT_T0_E_clISt17integral_constantIbLb1EES10_EEDaSV_SW_EUlSV_E_NS1_11comp_targetILNS1_3genE2ELNS1_11target_archE906ELNS1_3gpuE6ELNS1_3repE0EEENS1_30default_config_static_selectorELNS0_4arch9wavefront6targetE0EEEvT1_
	.p2align	8
	.type	_ZN7rocprim17ROCPRIM_400000_NS6detail17trampoline_kernelINS0_14default_configENS1_27scan_by_key_config_selectorIllEEZZNS1_16scan_by_key_implILNS1_25lookback_scan_determinismE0ELb0ES3_N6thrust23THRUST_200600_302600_NS16reverse_iteratorIPKlEESD_NSA_IPlEElN6hipcub16HIPCUB_304000_NS3MaxENSH_8EqualityElEE10hipError_tPvRmT2_T3_T4_T5_mT6_T7_P12ihipStream_tbENKUlT_T0_E_clISt17integral_constantIbLb1EES10_EEDaSV_SW_EUlSV_E_NS1_11comp_targetILNS1_3genE2ELNS1_11target_archE906ELNS1_3gpuE6ELNS1_3repE0EEENS1_30default_config_static_selectorELNS0_4arch9wavefront6targetE0EEEvT1_,@function
_ZN7rocprim17ROCPRIM_400000_NS6detail17trampoline_kernelINS0_14default_configENS1_27scan_by_key_config_selectorIllEEZZNS1_16scan_by_key_implILNS1_25lookback_scan_determinismE0ELb0ES3_N6thrust23THRUST_200600_302600_NS16reverse_iteratorIPKlEESD_NSA_IPlEElN6hipcub16HIPCUB_304000_NS3MaxENSH_8EqualityElEE10hipError_tPvRmT2_T3_T4_T5_mT6_T7_P12ihipStream_tbENKUlT_T0_E_clISt17integral_constantIbLb1EES10_EEDaSV_SW_EUlSV_E_NS1_11comp_targetILNS1_3genE2ELNS1_11target_archE906ELNS1_3gpuE6ELNS1_3repE0EEENS1_30default_config_static_selectorELNS0_4arch9wavefront6targetE0EEEvT1_: ; @_ZN7rocprim17ROCPRIM_400000_NS6detail17trampoline_kernelINS0_14default_configENS1_27scan_by_key_config_selectorIllEEZZNS1_16scan_by_key_implILNS1_25lookback_scan_determinismE0ELb0ES3_N6thrust23THRUST_200600_302600_NS16reverse_iteratorIPKlEESD_NSA_IPlEElN6hipcub16HIPCUB_304000_NS3MaxENSH_8EqualityElEE10hipError_tPvRmT2_T3_T4_T5_mT6_T7_P12ihipStream_tbENKUlT_T0_E_clISt17integral_constantIbLb1EES10_EEDaSV_SW_EUlSV_E_NS1_11comp_targetILNS1_3genE2ELNS1_11target_archE906ELNS1_3gpuE6ELNS1_3repE0EEENS1_30default_config_static_selectorELNS0_4arch9wavefront6targetE0EEEvT1_
; %bb.0:
	.section	.rodata,"a",@progbits
	.p2align	6, 0x0
	.amdhsa_kernel _ZN7rocprim17ROCPRIM_400000_NS6detail17trampoline_kernelINS0_14default_configENS1_27scan_by_key_config_selectorIllEEZZNS1_16scan_by_key_implILNS1_25lookback_scan_determinismE0ELb0ES3_N6thrust23THRUST_200600_302600_NS16reverse_iteratorIPKlEESD_NSA_IPlEElN6hipcub16HIPCUB_304000_NS3MaxENSH_8EqualityElEE10hipError_tPvRmT2_T3_T4_T5_mT6_T7_P12ihipStream_tbENKUlT_T0_E_clISt17integral_constantIbLb1EES10_EEDaSV_SW_EUlSV_E_NS1_11comp_targetILNS1_3genE2ELNS1_11target_archE906ELNS1_3gpuE6ELNS1_3repE0EEENS1_30default_config_static_selectorELNS0_4arch9wavefront6targetE0EEEvT1_
		.amdhsa_group_segment_fixed_size 0
		.amdhsa_private_segment_fixed_size 0
		.amdhsa_kernarg_size 136
		.amdhsa_user_sgpr_count 6
		.amdhsa_user_sgpr_private_segment_buffer 1
		.amdhsa_user_sgpr_dispatch_ptr 0
		.amdhsa_user_sgpr_queue_ptr 0
		.amdhsa_user_sgpr_kernarg_segment_ptr 1
		.amdhsa_user_sgpr_dispatch_id 0
		.amdhsa_user_sgpr_flat_scratch_init 0
		.amdhsa_user_sgpr_private_segment_size 0
		.amdhsa_wavefront_size32 1
		.amdhsa_uses_dynamic_stack 0
		.amdhsa_system_sgpr_private_segment_wavefront_offset 0
		.amdhsa_system_sgpr_workgroup_id_x 1
		.amdhsa_system_sgpr_workgroup_id_y 0
		.amdhsa_system_sgpr_workgroup_id_z 0
		.amdhsa_system_sgpr_workgroup_info 0
		.amdhsa_system_vgpr_workitem_id 0
		.amdhsa_next_free_vgpr 1
		.amdhsa_next_free_sgpr 1
		.amdhsa_reserve_vcc 0
		.amdhsa_reserve_flat_scratch 0
		.amdhsa_float_round_mode_32 0
		.amdhsa_float_round_mode_16_64 0
		.amdhsa_float_denorm_mode_32 3
		.amdhsa_float_denorm_mode_16_64 3
		.amdhsa_dx10_clamp 1
		.amdhsa_ieee_mode 1
		.amdhsa_fp16_overflow 0
		.amdhsa_workgroup_processor_mode 1
		.amdhsa_memory_ordered 1
		.amdhsa_forward_progress 1
		.amdhsa_shared_vgpr_count 0
		.amdhsa_exception_fp_ieee_invalid_op 0
		.amdhsa_exception_fp_denorm_src 0
		.amdhsa_exception_fp_ieee_div_zero 0
		.amdhsa_exception_fp_ieee_overflow 0
		.amdhsa_exception_fp_ieee_underflow 0
		.amdhsa_exception_fp_ieee_inexact 0
		.amdhsa_exception_int_div_zero 0
	.end_amdhsa_kernel
	.section	.text._ZN7rocprim17ROCPRIM_400000_NS6detail17trampoline_kernelINS0_14default_configENS1_27scan_by_key_config_selectorIllEEZZNS1_16scan_by_key_implILNS1_25lookback_scan_determinismE0ELb0ES3_N6thrust23THRUST_200600_302600_NS16reverse_iteratorIPKlEESD_NSA_IPlEElN6hipcub16HIPCUB_304000_NS3MaxENSH_8EqualityElEE10hipError_tPvRmT2_T3_T4_T5_mT6_T7_P12ihipStream_tbENKUlT_T0_E_clISt17integral_constantIbLb1EES10_EEDaSV_SW_EUlSV_E_NS1_11comp_targetILNS1_3genE2ELNS1_11target_archE906ELNS1_3gpuE6ELNS1_3repE0EEENS1_30default_config_static_selectorELNS0_4arch9wavefront6targetE0EEEvT1_,"axG",@progbits,_ZN7rocprim17ROCPRIM_400000_NS6detail17trampoline_kernelINS0_14default_configENS1_27scan_by_key_config_selectorIllEEZZNS1_16scan_by_key_implILNS1_25lookback_scan_determinismE0ELb0ES3_N6thrust23THRUST_200600_302600_NS16reverse_iteratorIPKlEESD_NSA_IPlEElN6hipcub16HIPCUB_304000_NS3MaxENSH_8EqualityElEE10hipError_tPvRmT2_T3_T4_T5_mT6_T7_P12ihipStream_tbENKUlT_T0_E_clISt17integral_constantIbLb1EES10_EEDaSV_SW_EUlSV_E_NS1_11comp_targetILNS1_3genE2ELNS1_11target_archE906ELNS1_3gpuE6ELNS1_3repE0EEENS1_30default_config_static_selectorELNS0_4arch9wavefront6targetE0EEEvT1_,comdat
.Lfunc_end152:
	.size	_ZN7rocprim17ROCPRIM_400000_NS6detail17trampoline_kernelINS0_14default_configENS1_27scan_by_key_config_selectorIllEEZZNS1_16scan_by_key_implILNS1_25lookback_scan_determinismE0ELb0ES3_N6thrust23THRUST_200600_302600_NS16reverse_iteratorIPKlEESD_NSA_IPlEElN6hipcub16HIPCUB_304000_NS3MaxENSH_8EqualityElEE10hipError_tPvRmT2_T3_T4_T5_mT6_T7_P12ihipStream_tbENKUlT_T0_E_clISt17integral_constantIbLb1EES10_EEDaSV_SW_EUlSV_E_NS1_11comp_targetILNS1_3genE2ELNS1_11target_archE906ELNS1_3gpuE6ELNS1_3repE0EEENS1_30default_config_static_selectorELNS0_4arch9wavefront6targetE0EEEvT1_, .Lfunc_end152-_ZN7rocprim17ROCPRIM_400000_NS6detail17trampoline_kernelINS0_14default_configENS1_27scan_by_key_config_selectorIllEEZZNS1_16scan_by_key_implILNS1_25lookback_scan_determinismE0ELb0ES3_N6thrust23THRUST_200600_302600_NS16reverse_iteratorIPKlEESD_NSA_IPlEElN6hipcub16HIPCUB_304000_NS3MaxENSH_8EqualityElEE10hipError_tPvRmT2_T3_T4_T5_mT6_T7_P12ihipStream_tbENKUlT_T0_E_clISt17integral_constantIbLb1EES10_EEDaSV_SW_EUlSV_E_NS1_11comp_targetILNS1_3genE2ELNS1_11target_archE906ELNS1_3gpuE6ELNS1_3repE0EEENS1_30default_config_static_selectorELNS0_4arch9wavefront6targetE0EEEvT1_
                                        ; -- End function
	.set _ZN7rocprim17ROCPRIM_400000_NS6detail17trampoline_kernelINS0_14default_configENS1_27scan_by_key_config_selectorIllEEZZNS1_16scan_by_key_implILNS1_25lookback_scan_determinismE0ELb0ES3_N6thrust23THRUST_200600_302600_NS16reverse_iteratorIPKlEESD_NSA_IPlEElN6hipcub16HIPCUB_304000_NS3MaxENSH_8EqualityElEE10hipError_tPvRmT2_T3_T4_T5_mT6_T7_P12ihipStream_tbENKUlT_T0_E_clISt17integral_constantIbLb1EES10_EEDaSV_SW_EUlSV_E_NS1_11comp_targetILNS1_3genE2ELNS1_11target_archE906ELNS1_3gpuE6ELNS1_3repE0EEENS1_30default_config_static_selectorELNS0_4arch9wavefront6targetE0EEEvT1_.num_vgpr, 0
	.set _ZN7rocprim17ROCPRIM_400000_NS6detail17trampoline_kernelINS0_14default_configENS1_27scan_by_key_config_selectorIllEEZZNS1_16scan_by_key_implILNS1_25lookback_scan_determinismE0ELb0ES3_N6thrust23THRUST_200600_302600_NS16reverse_iteratorIPKlEESD_NSA_IPlEElN6hipcub16HIPCUB_304000_NS3MaxENSH_8EqualityElEE10hipError_tPvRmT2_T3_T4_T5_mT6_T7_P12ihipStream_tbENKUlT_T0_E_clISt17integral_constantIbLb1EES10_EEDaSV_SW_EUlSV_E_NS1_11comp_targetILNS1_3genE2ELNS1_11target_archE906ELNS1_3gpuE6ELNS1_3repE0EEENS1_30default_config_static_selectorELNS0_4arch9wavefront6targetE0EEEvT1_.num_agpr, 0
	.set _ZN7rocprim17ROCPRIM_400000_NS6detail17trampoline_kernelINS0_14default_configENS1_27scan_by_key_config_selectorIllEEZZNS1_16scan_by_key_implILNS1_25lookback_scan_determinismE0ELb0ES3_N6thrust23THRUST_200600_302600_NS16reverse_iteratorIPKlEESD_NSA_IPlEElN6hipcub16HIPCUB_304000_NS3MaxENSH_8EqualityElEE10hipError_tPvRmT2_T3_T4_T5_mT6_T7_P12ihipStream_tbENKUlT_T0_E_clISt17integral_constantIbLb1EES10_EEDaSV_SW_EUlSV_E_NS1_11comp_targetILNS1_3genE2ELNS1_11target_archE906ELNS1_3gpuE6ELNS1_3repE0EEENS1_30default_config_static_selectorELNS0_4arch9wavefront6targetE0EEEvT1_.numbered_sgpr, 0
	.set _ZN7rocprim17ROCPRIM_400000_NS6detail17trampoline_kernelINS0_14default_configENS1_27scan_by_key_config_selectorIllEEZZNS1_16scan_by_key_implILNS1_25lookback_scan_determinismE0ELb0ES3_N6thrust23THRUST_200600_302600_NS16reverse_iteratorIPKlEESD_NSA_IPlEElN6hipcub16HIPCUB_304000_NS3MaxENSH_8EqualityElEE10hipError_tPvRmT2_T3_T4_T5_mT6_T7_P12ihipStream_tbENKUlT_T0_E_clISt17integral_constantIbLb1EES10_EEDaSV_SW_EUlSV_E_NS1_11comp_targetILNS1_3genE2ELNS1_11target_archE906ELNS1_3gpuE6ELNS1_3repE0EEENS1_30default_config_static_selectorELNS0_4arch9wavefront6targetE0EEEvT1_.num_named_barrier, 0
	.set _ZN7rocprim17ROCPRIM_400000_NS6detail17trampoline_kernelINS0_14default_configENS1_27scan_by_key_config_selectorIllEEZZNS1_16scan_by_key_implILNS1_25lookback_scan_determinismE0ELb0ES3_N6thrust23THRUST_200600_302600_NS16reverse_iteratorIPKlEESD_NSA_IPlEElN6hipcub16HIPCUB_304000_NS3MaxENSH_8EqualityElEE10hipError_tPvRmT2_T3_T4_T5_mT6_T7_P12ihipStream_tbENKUlT_T0_E_clISt17integral_constantIbLb1EES10_EEDaSV_SW_EUlSV_E_NS1_11comp_targetILNS1_3genE2ELNS1_11target_archE906ELNS1_3gpuE6ELNS1_3repE0EEENS1_30default_config_static_selectorELNS0_4arch9wavefront6targetE0EEEvT1_.private_seg_size, 0
	.set _ZN7rocprim17ROCPRIM_400000_NS6detail17trampoline_kernelINS0_14default_configENS1_27scan_by_key_config_selectorIllEEZZNS1_16scan_by_key_implILNS1_25lookback_scan_determinismE0ELb0ES3_N6thrust23THRUST_200600_302600_NS16reverse_iteratorIPKlEESD_NSA_IPlEElN6hipcub16HIPCUB_304000_NS3MaxENSH_8EqualityElEE10hipError_tPvRmT2_T3_T4_T5_mT6_T7_P12ihipStream_tbENKUlT_T0_E_clISt17integral_constantIbLb1EES10_EEDaSV_SW_EUlSV_E_NS1_11comp_targetILNS1_3genE2ELNS1_11target_archE906ELNS1_3gpuE6ELNS1_3repE0EEENS1_30default_config_static_selectorELNS0_4arch9wavefront6targetE0EEEvT1_.uses_vcc, 0
	.set _ZN7rocprim17ROCPRIM_400000_NS6detail17trampoline_kernelINS0_14default_configENS1_27scan_by_key_config_selectorIllEEZZNS1_16scan_by_key_implILNS1_25lookback_scan_determinismE0ELb0ES3_N6thrust23THRUST_200600_302600_NS16reverse_iteratorIPKlEESD_NSA_IPlEElN6hipcub16HIPCUB_304000_NS3MaxENSH_8EqualityElEE10hipError_tPvRmT2_T3_T4_T5_mT6_T7_P12ihipStream_tbENKUlT_T0_E_clISt17integral_constantIbLb1EES10_EEDaSV_SW_EUlSV_E_NS1_11comp_targetILNS1_3genE2ELNS1_11target_archE906ELNS1_3gpuE6ELNS1_3repE0EEENS1_30default_config_static_selectorELNS0_4arch9wavefront6targetE0EEEvT1_.uses_flat_scratch, 0
	.set _ZN7rocprim17ROCPRIM_400000_NS6detail17trampoline_kernelINS0_14default_configENS1_27scan_by_key_config_selectorIllEEZZNS1_16scan_by_key_implILNS1_25lookback_scan_determinismE0ELb0ES3_N6thrust23THRUST_200600_302600_NS16reverse_iteratorIPKlEESD_NSA_IPlEElN6hipcub16HIPCUB_304000_NS3MaxENSH_8EqualityElEE10hipError_tPvRmT2_T3_T4_T5_mT6_T7_P12ihipStream_tbENKUlT_T0_E_clISt17integral_constantIbLb1EES10_EEDaSV_SW_EUlSV_E_NS1_11comp_targetILNS1_3genE2ELNS1_11target_archE906ELNS1_3gpuE6ELNS1_3repE0EEENS1_30default_config_static_selectorELNS0_4arch9wavefront6targetE0EEEvT1_.has_dyn_sized_stack, 0
	.set _ZN7rocprim17ROCPRIM_400000_NS6detail17trampoline_kernelINS0_14default_configENS1_27scan_by_key_config_selectorIllEEZZNS1_16scan_by_key_implILNS1_25lookback_scan_determinismE0ELb0ES3_N6thrust23THRUST_200600_302600_NS16reverse_iteratorIPKlEESD_NSA_IPlEElN6hipcub16HIPCUB_304000_NS3MaxENSH_8EqualityElEE10hipError_tPvRmT2_T3_T4_T5_mT6_T7_P12ihipStream_tbENKUlT_T0_E_clISt17integral_constantIbLb1EES10_EEDaSV_SW_EUlSV_E_NS1_11comp_targetILNS1_3genE2ELNS1_11target_archE906ELNS1_3gpuE6ELNS1_3repE0EEENS1_30default_config_static_selectorELNS0_4arch9wavefront6targetE0EEEvT1_.has_recursion, 0
	.set _ZN7rocprim17ROCPRIM_400000_NS6detail17trampoline_kernelINS0_14default_configENS1_27scan_by_key_config_selectorIllEEZZNS1_16scan_by_key_implILNS1_25lookback_scan_determinismE0ELb0ES3_N6thrust23THRUST_200600_302600_NS16reverse_iteratorIPKlEESD_NSA_IPlEElN6hipcub16HIPCUB_304000_NS3MaxENSH_8EqualityElEE10hipError_tPvRmT2_T3_T4_T5_mT6_T7_P12ihipStream_tbENKUlT_T0_E_clISt17integral_constantIbLb1EES10_EEDaSV_SW_EUlSV_E_NS1_11comp_targetILNS1_3genE2ELNS1_11target_archE906ELNS1_3gpuE6ELNS1_3repE0EEENS1_30default_config_static_selectorELNS0_4arch9wavefront6targetE0EEEvT1_.has_indirect_call, 0
	.section	.AMDGPU.csdata,"",@progbits
; Kernel info:
; codeLenInByte = 0
; TotalNumSgprs: 0
; NumVgprs: 0
; ScratchSize: 0
; MemoryBound: 0
; FloatMode: 240
; IeeeMode: 1
; LDSByteSize: 0 bytes/workgroup (compile time only)
; SGPRBlocks: 0
; VGPRBlocks: 0
; NumSGPRsForWavesPerEU: 1
; NumVGPRsForWavesPerEU: 1
; Occupancy: 16
; WaveLimiterHint : 0
; COMPUTE_PGM_RSRC2:SCRATCH_EN: 0
; COMPUTE_PGM_RSRC2:USER_SGPR: 6
; COMPUTE_PGM_RSRC2:TRAP_HANDLER: 0
; COMPUTE_PGM_RSRC2:TGID_X_EN: 1
; COMPUTE_PGM_RSRC2:TGID_Y_EN: 0
; COMPUTE_PGM_RSRC2:TGID_Z_EN: 0
; COMPUTE_PGM_RSRC2:TIDIG_COMP_CNT: 0
	.section	.text._ZN7rocprim17ROCPRIM_400000_NS6detail17trampoline_kernelINS0_14default_configENS1_27scan_by_key_config_selectorIllEEZZNS1_16scan_by_key_implILNS1_25lookback_scan_determinismE0ELb0ES3_N6thrust23THRUST_200600_302600_NS16reverse_iteratorIPKlEESD_NSA_IPlEElN6hipcub16HIPCUB_304000_NS3MaxENSH_8EqualityElEE10hipError_tPvRmT2_T3_T4_T5_mT6_T7_P12ihipStream_tbENKUlT_T0_E_clISt17integral_constantIbLb1EES10_EEDaSV_SW_EUlSV_E_NS1_11comp_targetILNS1_3genE10ELNS1_11target_archE1200ELNS1_3gpuE4ELNS1_3repE0EEENS1_30default_config_static_selectorELNS0_4arch9wavefront6targetE0EEEvT1_,"axG",@progbits,_ZN7rocprim17ROCPRIM_400000_NS6detail17trampoline_kernelINS0_14default_configENS1_27scan_by_key_config_selectorIllEEZZNS1_16scan_by_key_implILNS1_25lookback_scan_determinismE0ELb0ES3_N6thrust23THRUST_200600_302600_NS16reverse_iteratorIPKlEESD_NSA_IPlEElN6hipcub16HIPCUB_304000_NS3MaxENSH_8EqualityElEE10hipError_tPvRmT2_T3_T4_T5_mT6_T7_P12ihipStream_tbENKUlT_T0_E_clISt17integral_constantIbLb1EES10_EEDaSV_SW_EUlSV_E_NS1_11comp_targetILNS1_3genE10ELNS1_11target_archE1200ELNS1_3gpuE4ELNS1_3repE0EEENS1_30default_config_static_selectorELNS0_4arch9wavefront6targetE0EEEvT1_,comdat
	.protected	_ZN7rocprim17ROCPRIM_400000_NS6detail17trampoline_kernelINS0_14default_configENS1_27scan_by_key_config_selectorIllEEZZNS1_16scan_by_key_implILNS1_25lookback_scan_determinismE0ELb0ES3_N6thrust23THRUST_200600_302600_NS16reverse_iteratorIPKlEESD_NSA_IPlEElN6hipcub16HIPCUB_304000_NS3MaxENSH_8EqualityElEE10hipError_tPvRmT2_T3_T4_T5_mT6_T7_P12ihipStream_tbENKUlT_T0_E_clISt17integral_constantIbLb1EES10_EEDaSV_SW_EUlSV_E_NS1_11comp_targetILNS1_3genE10ELNS1_11target_archE1200ELNS1_3gpuE4ELNS1_3repE0EEENS1_30default_config_static_selectorELNS0_4arch9wavefront6targetE0EEEvT1_ ; -- Begin function _ZN7rocprim17ROCPRIM_400000_NS6detail17trampoline_kernelINS0_14default_configENS1_27scan_by_key_config_selectorIllEEZZNS1_16scan_by_key_implILNS1_25lookback_scan_determinismE0ELb0ES3_N6thrust23THRUST_200600_302600_NS16reverse_iteratorIPKlEESD_NSA_IPlEElN6hipcub16HIPCUB_304000_NS3MaxENSH_8EqualityElEE10hipError_tPvRmT2_T3_T4_T5_mT6_T7_P12ihipStream_tbENKUlT_T0_E_clISt17integral_constantIbLb1EES10_EEDaSV_SW_EUlSV_E_NS1_11comp_targetILNS1_3genE10ELNS1_11target_archE1200ELNS1_3gpuE4ELNS1_3repE0EEENS1_30default_config_static_selectorELNS0_4arch9wavefront6targetE0EEEvT1_
	.globl	_ZN7rocprim17ROCPRIM_400000_NS6detail17trampoline_kernelINS0_14default_configENS1_27scan_by_key_config_selectorIllEEZZNS1_16scan_by_key_implILNS1_25lookback_scan_determinismE0ELb0ES3_N6thrust23THRUST_200600_302600_NS16reverse_iteratorIPKlEESD_NSA_IPlEElN6hipcub16HIPCUB_304000_NS3MaxENSH_8EqualityElEE10hipError_tPvRmT2_T3_T4_T5_mT6_T7_P12ihipStream_tbENKUlT_T0_E_clISt17integral_constantIbLb1EES10_EEDaSV_SW_EUlSV_E_NS1_11comp_targetILNS1_3genE10ELNS1_11target_archE1200ELNS1_3gpuE4ELNS1_3repE0EEENS1_30default_config_static_selectorELNS0_4arch9wavefront6targetE0EEEvT1_
	.p2align	8
	.type	_ZN7rocprim17ROCPRIM_400000_NS6detail17trampoline_kernelINS0_14default_configENS1_27scan_by_key_config_selectorIllEEZZNS1_16scan_by_key_implILNS1_25lookback_scan_determinismE0ELb0ES3_N6thrust23THRUST_200600_302600_NS16reverse_iteratorIPKlEESD_NSA_IPlEElN6hipcub16HIPCUB_304000_NS3MaxENSH_8EqualityElEE10hipError_tPvRmT2_T3_T4_T5_mT6_T7_P12ihipStream_tbENKUlT_T0_E_clISt17integral_constantIbLb1EES10_EEDaSV_SW_EUlSV_E_NS1_11comp_targetILNS1_3genE10ELNS1_11target_archE1200ELNS1_3gpuE4ELNS1_3repE0EEENS1_30default_config_static_selectorELNS0_4arch9wavefront6targetE0EEEvT1_,@function
_ZN7rocprim17ROCPRIM_400000_NS6detail17trampoline_kernelINS0_14default_configENS1_27scan_by_key_config_selectorIllEEZZNS1_16scan_by_key_implILNS1_25lookback_scan_determinismE0ELb0ES3_N6thrust23THRUST_200600_302600_NS16reverse_iteratorIPKlEESD_NSA_IPlEElN6hipcub16HIPCUB_304000_NS3MaxENSH_8EqualityElEE10hipError_tPvRmT2_T3_T4_T5_mT6_T7_P12ihipStream_tbENKUlT_T0_E_clISt17integral_constantIbLb1EES10_EEDaSV_SW_EUlSV_E_NS1_11comp_targetILNS1_3genE10ELNS1_11target_archE1200ELNS1_3gpuE4ELNS1_3repE0EEENS1_30default_config_static_selectorELNS0_4arch9wavefront6targetE0EEEvT1_: ; @_ZN7rocprim17ROCPRIM_400000_NS6detail17trampoline_kernelINS0_14default_configENS1_27scan_by_key_config_selectorIllEEZZNS1_16scan_by_key_implILNS1_25lookback_scan_determinismE0ELb0ES3_N6thrust23THRUST_200600_302600_NS16reverse_iteratorIPKlEESD_NSA_IPlEElN6hipcub16HIPCUB_304000_NS3MaxENSH_8EqualityElEE10hipError_tPvRmT2_T3_T4_T5_mT6_T7_P12ihipStream_tbENKUlT_T0_E_clISt17integral_constantIbLb1EES10_EEDaSV_SW_EUlSV_E_NS1_11comp_targetILNS1_3genE10ELNS1_11target_archE1200ELNS1_3gpuE4ELNS1_3repE0EEENS1_30default_config_static_selectorELNS0_4arch9wavefront6targetE0EEEvT1_
; %bb.0:
	.section	.rodata,"a",@progbits
	.p2align	6, 0x0
	.amdhsa_kernel _ZN7rocprim17ROCPRIM_400000_NS6detail17trampoline_kernelINS0_14default_configENS1_27scan_by_key_config_selectorIllEEZZNS1_16scan_by_key_implILNS1_25lookback_scan_determinismE0ELb0ES3_N6thrust23THRUST_200600_302600_NS16reverse_iteratorIPKlEESD_NSA_IPlEElN6hipcub16HIPCUB_304000_NS3MaxENSH_8EqualityElEE10hipError_tPvRmT2_T3_T4_T5_mT6_T7_P12ihipStream_tbENKUlT_T0_E_clISt17integral_constantIbLb1EES10_EEDaSV_SW_EUlSV_E_NS1_11comp_targetILNS1_3genE10ELNS1_11target_archE1200ELNS1_3gpuE4ELNS1_3repE0EEENS1_30default_config_static_selectorELNS0_4arch9wavefront6targetE0EEEvT1_
		.amdhsa_group_segment_fixed_size 0
		.amdhsa_private_segment_fixed_size 0
		.amdhsa_kernarg_size 136
		.amdhsa_user_sgpr_count 6
		.amdhsa_user_sgpr_private_segment_buffer 1
		.amdhsa_user_sgpr_dispatch_ptr 0
		.amdhsa_user_sgpr_queue_ptr 0
		.amdhsa_user_sgpr_kernarg_segment_ptr 1
		.amdhsa_user_sgpr_dispatch_id 0
		.amdhsa_user_sgpr_flat_scratch_init 0
		.amdhsa_user_sgpr_private_segment_size 0
		.amdhsa_wavefront_size32 1
		.amdhsa_uses_dynamic_stack 0
		.amdhsa_system_sgpr_private_segment_wavefront_offset 0
		.amdhsa_system_sgpr_workgroup_id_x 1
		.amdhsa_system_sgpr_workgroup_id_y 0
		.amdhsa_system_sgpr_workgroup_id_z 0
		.amdhsa_system_sgpr_workgroup_info 0
		.amdhsa_system_vgpr_workitem_id 0
		.amdhsa_next_free_vgpr 1
		.amdhsa_next_free_sgpr 1
		.amdhsa_reserve_vcc 0
		.amdhsa_reserve_flat_scratch 0
		.amdhsa_float_round_mode_32 0
		.amdhsa_float_round_mode_16_64 0
		.amdhsa_float_denorm_mode_32 3
		.amdhsa_float_denorm_mode_16_64 3
		.amdhsa_dx10_clamp 1
		.amdhsa_ieee_mode 1
		.amdhsa_fp16_overflow 0
		.amdhsa_workgroup_processor_mode 1
		.amdhsa_memory_ordered 1
		.amdhsa_forward_progress 1
		.amdhsa_shared_vgpr_count 0
		.amdhsa_exception_fp_ieee_invalid_op 0
		.amdhsa_exception_fp_denorm_src 0
		.amdhsa_exception_fp_ieee_div_zero 0
		.amdhsa_exception_fp_ieee_overflow 0
		.amdhsa_exception_fp_ieee_underflow 0
		.amdhsa_exception_fp_ieee_inexact 0
		.amdhsa_exception_int_div_zero 0
	.end_amdhsa_kernel
	.section	.text._ZN7rocprim17ROCPRIM_400000_NS6detail17trampoline_kernelINS0_14default_configENS1_27scan_by_key_config_selectorIllEEZZNS1_16scan_by_key_implILNS1_25lookback_scan_determinismE0ELb0ES3_N6thrust23THRUST_200600_302600_NS16reverse_iteratorIPKlEESD_NSA_IPlEElN6hipcub16HIPCUB_304000_NS3MaxENSH_8EqualityElEE10hipError_tPvRmT2_T3_T4_T5_mT6_T7_P12ihipStream_tbENKUlT_T0_E_clISt17integral_constantIbLb1EES10_EEDaSV_SW_EUlSV_E_NS1_11comp_targetILNS1_3genE10ELNS1_11target_archE1200ELNS1_3gpuE4ELNS1_3repE0EEENS1_30default_config_static_selectorELNS0_4arch9wavefront6targetE0EEEvT1_,"axG",@progbits,_ZN7rocprim17ROCPRIM_400000_NS6detail17trampoline_kernelINS0_14default_configENS1_27scan_by_key_config_selectorIllEEZZNS1_16scan_by_key_implILNS1_25lookback_scan_determinismE0ELb0ES3_N6thrust23THRUST_200600_302600_NS16reverse_iteratorIPKlEESD_NSA_IPlEElN6hipcub16HIPCUB_304000_NS3MaxENSH_8EqualityElEE10hipError_tPvRmT2_T3_T4_T5_mT6_T7_P12ihipStream_tbENKUlT_T0_E_clISt17integral_constantIbLb1EES10_EEDaSV_SW_EUlSV_E_NS1_11comp_targetILNS1_3genE10ELNS1_11target_archE1200ELNS1_3gpuE4ELNS1_3repE0EEENS1_30default_config_static_selectorELNS0_4arch9wavefront6targetE0EEEvT1_,comdat
.Lfunc_end153:
	.size	_ZN7rocprim17ROCPRIM_400000_NS6detail17trampoline_kernelINS0_14default_configENS1_27scan_by_key_config_selectorIllEEZZNS1_16scan_by_key_implILNS1_25lookback_scan_determinismE0ELb0ES3_N6thrust23THRUST_200600_302600_NS16reverse_iteratorIPKlEESD_NSA_IPlEElN6hipcub16HIPCUB_304000_NS3MaxENSH_8EqualityElEE10hipError_tPvRmT2_T3_T4_T5_mT6_T7_P12ihipStream_tbENKUlT_T0_E_clISt17integral_constantIbLb1EES10_EEDaSV_SW_EUlSV_E_NS1_11comp_targetILNS1_3genE10ELNS1_11target_archE1200ELNS1_3gpuE4ELNS1_3repE0EEENS1_30default_config_static_selectorELNS0_4arch9wavefront6targetE0EEEvT1_, .Lfunc_end153-_ZN7rocprim17ROCPRIM_400000_NS6detail17trampoline_kernelINS0_14default_configENS1_27scan_by_key_config_selectorIllEEZZNS1_16scan_by_key_implILNS1_25lookback_scan_determinismE0ELb0ES3_N6thrust23THRUST_200600_302600_NS16reverse_iteratorIPKlEESD_NSA_IPlEElN6hipcub16HIPCUB_304000_NS3MaxENSH_8EqualityElEE10hipError_tPvRmT2_T3_T4_T5_mT6_T7_P12ihipStream_tbENKUlT_T0_E_clISt17integral_constantIbLb1EES10_EEDaSV_SW_EUlSV_E_NS1_11comp_targetILNS1_3genE10ELNS1_11target_archE1200ELNS1_3gpuE4ELNS1_3repE0EEENS1_30default_config_static_selectorELNS0_4arch9wavefront6targetE0EEEvT1_
                                        ; -- End function
	.set _ZN7rocprim17ROCPRIM_400000_NS6detail17trampoline_kernelINS0_14default_configENS1_27scan_by_key_config_selectorIllEEZZNS1_16scan_by_key_implILNS1_25lookback_scan_determinismE0ELb0ES3_N6thrust23THRUST_200600_302600_NS16reverse_iteratorIPKlEESD_NSA_IPlEElN6hipcub16HIPCUB_304000_NS3MaxENSH_8EqualityElEE10hipError_tPvRmT2_T3_T4_T5_mT6_T7_P12ihipStream_tbENKUlT_T0_E_clISt17integral_constantIbLb1EES10_EEDaSV_SW_EUlSV_E_NS1_11comp_targetILNS1_3genE10ELNS1_11target_archE1200ELNS1_3gpuE4ELNS1_3repE0EEENS1_30default_config_static_selectorELNS0_4arch9wavefront6targetE0EEEvT1_.num_vgpr, 0
	.set _ZN7rocprim17ROCPRIM_400000_NS6detail17trampoline_kernelINS0_14default_configENS1_27scan_by_key_config_selectorIllEEZZNS1_16scan_by_key_implILNS1_25lookback_scan_determinismE0ELb0ES3_N6thrust23THRUST_200600_302600_NS16reverse_iteratorIPKlEESD_NSA_IPlEElN6hipcub16HIPCUB_304000_NS3MaxENSH_8EqualityElEE10hipError_tPvRmT2_T3_T4_T5_mT6_T7_P12ihipStream_tbENKUlT_T0_E_clISt17integral_constantIbLb1EES10_EEDaSV_SW_EUlSV_E_NS1_11comp_targetILNS1_3genE10ELNS1_11target_archE1200ELNS1_3gpuE4ELNS1_3repE0EEENS1_30default_config_static_selectorELNS0_4arch9wavefront6targetE0EEEvT1_.num_agpr, 0
	.set _ZN7rocprim17ROCPRIM_400000_NS6detail17trampoline_kernelINS0_14default_configENS1_27scan_by_key_config_selectorIllEEZZNS1_16scan_by_key_implILNS1_25lookback_scan_determinismE0ELb0ES3_N6thrust23THRUST_200600_302600_NS16reverse_iteratorIPKlEESD_NSA_IPlEElN6hipcub16HIPCUB_304000_NS3MaxENSH_8EqualityElEE10hipError_tPvRmT2_T3_T4_T5_mT6_T7_P12ihipStream_tbENKUlT_T0_E_clISt17integral_constantIbLb1EES10_EEDaSV_SW_EUlSV_E_NS1_11comp_targetILNS1_3genE10ELNS1_11target_archE1200ELNS1_3gpuE4ELNS1_3repE0EEENS1_30default_config_static_selectorELNS0_4arch9wavefront6targetE0EEEvT1_.numbered_sgpr, 0
	.set _ZN7rocprim17ROCPRIM_400000_NS6detail17trampoline_kernelINS0_14default_configENS1_27scan_by_key_config_selectorIllEEZZNS1_16scan_by_key_implILNS1_25lookback_scan_determinismE0ELb0ES3_N6thrust23THRUST_200600_302600_NS16reverse_iteratorIPKlEESD_NSA_IPlEElN6hipcub16HIPCUB_304000_NS3MaxENSH_8EqualityElEE10hipError_tPvRmT2_T3_T4_T5_mT6_T7_P12ihipStream_tbENKUlT_T0_E_clISt17integral_constantIbLb1EES10_EEDaSV_SW_EUlSV_E_NS1_11comp_targetILNS1_3genE10ELNS1_11target_archE1200ELNS1_3gpuE4ELNS1_3repE0EEENS1_30default_config_static_selectorELNS0_4arch9wavefront6targetE0EEEvT1_.num_named_barrier, 0
	.set _ZN7rocprim17ROCPRIM_400000_NS6detail17trampoline_kernelINS0_14default_configENS1_27scan_by_key_config_selectorIllEEZZNS1_16scan_by_key_implILNS1_25lookback_scan_determinismE0ELb0ES3_N6thrust23THRUST_200600_302600_NS16reverse_iteratorIPKlEESD_NSA_IPlEElN6hipcub16HIPCUB_304000_NS3MaxENSH_8EqualityElEE10hipError_tPvRmT2_T3_T4_T5_mT6_T7_P12ihipStream_tbENKUlT_T0_E_clISt17integral_constantIbLb1EES10_EEDaSV_SW_EUlSV_E_NS1_11comp_targetILNS1_3genE10ELNS1_11target_archE1200ELNS1_3gpuE4ELNS1_3repE0EEENS1_30default_config_static_selectorELNS0_4arch9wavefront6targetE0EEEvT1_.private_seg_size, 0
	.set _ZN7rocprim17ROCPRIM_400000_NS6detail17trampoline_kernelINS0_14default_configENS1_27scan_by_key_config_selectorIllEEZZNS1_16scan_by_key_implILNS1_25lookback_scan_determinismE0ELb0ES3_N6thrust23THRUST_200600_302600_NS16reverse_iteratorIPKlEESD_NSA_IPlEElN6hipcub16HIPCUB_304000_NS3MaxENSH_8EqualityElEE10hipError_tPvRmT2_T3_T4_T5_mT6_T7_P12ihipStream_tbENKUlT_T0_E_clISt17integral_constantIbLb1EES10_EEDaSV_SW_EUlSV_E_NS1_11comp_targetILNS1_3genE10ELNS1_11target_archE1200ELNS1_3gpuE4ELNS1_3repE0EEENS1_30default_config_static_selectorELNS0_4arch9wavefront6targetE0EEEvT1_.uses_vcc, 0
	.set _ZN7rocprim17ROCPRIM_400000_NS6detail17trampoline_kernelINS0_14default_configENS1_27scan_by_key_config_selectorIllEEZZNS1_16scan_by_key_implILNS1_25lookback_scan_determinismE0ELb0ES3_N6thrust23THRUST_200600_302600_NS16reverse_iteratorIPKlEESD_NSA_IPlEElN6hipcub16HIPCUB_304000_NS3MaxENSH_8EqualityElEE10hipError_tPvRmT2_T3_T4_T5_mT6_T7_P12ihipStream_tbENKUlT_T0_E_clISt17integral_constantIbLb1EES10_EEDaSV_SW_EUlSV_E_NS1_11comp_targetILNS1_3genE10ELNS1_11target_archE1200ELNS1_3gpuE4ELNS1_3repE0EEENS1_30default_config_static_selectorELNS0_4arch9wavefront6targetE0EEEvT1_.uses_flat_scratch, 0
	.set _ZN7rocprim17ROCPRIM_400000_NS6detail17trampoline_kernelINS0_14default_configENS1_27scan_by_key_config_selectorIllEEZZNS1_16scan_by_key_implILNS1_25lookback_scan_determinismE0ELb0ES3_N6thrust23THRUST_200600_302600_NS16reverse_iteratorIPKlEESD_NSA_IPlEElN6hipcub16HIPCUB_304000_NS3MaxENSH_8EqualityElEE10hipError_tPvRmT2_T3_T4_T5_mT6_T7_P12ihipStream_tbENKUlT_T0_E_clISt17integral_constantIbLb1EES10_EEDaSV_SW_EUlSV_E_NS1_11comp_targetILNS1_3genE10ELNS1_11target_archE1200ELNS1_3gpuE4ELNS1_3repE0EEENS1_30default_config_static_selectorELNS0_4arch9wavefront6targetE0EEEvT1_.has_dyn_sized_stack, 0
	.set _ZN7rocprim17ROCPRIM_400000_NS6detail17trampoline_kernelINS0_14default_configENS1_27scan_by_key_config_selectorIllEEZZNS1_16scan_by_key_implILNS1_25lookback_scan_determinismE0ELb0ES3_N6thrust23THRUST_200600_302600_NS16reverse_iteratorIPKlEESD_NSA_IPlEElN6hipcub16HIPCUB_304000_NS3MaxENSH_8EqualityElEE10hipError_tPvRmT2_T3_T4_T5_mT6_T7_P12ihipStream_tbENKUlT_T0_E_clISt17integral_constantIbLb1EES10_EEDaSV_SW_EUlSV_E_NS1_11comp_targetILNS1_3genE10ELNS1_11target_archE1200ELNS1_3gpuE4ELNS1_3repE0EEENS1_30default_config_static_selectorELNS0_4arch9wavefront6targetE0EEEvT1_.has_recursion, 0
	.set _ZN7rocprim17ROCPRIM_400000_NS6detail17trampoline_kernelINS0_14default_configENS1_27scan_by_key_config_selectorIllEEZZNS1_16scan_by_key_implILNS1_25lookback_scan_determinismE0ELb0ES3_N6thrust23THRUST_200600_302600_NS16reverse_iteratorIPKlEESD_NSA_IPlEElN6hipcub16HIPCUB_304000_NS3MaxENSH_8EqualityElEE10hipError_tPvRmT2_T3_T4_T5_mT6_T7_P12ihipStream_tbENKUlT_T0_E_clISt17integral_constantIbLb1EES10_EEDaSV_SW_EUlSV_E_NS1_11comp_targetILNS1_3genE10ELNS1_11target_archE1200ELNS1_3gpuE4ELNS1_3repE0EEENS1_30default_config_static_selectorELNS0_4arch9wavefront6targetE0EEEvT1_.has_indirect_call, 0
	.section	.AMDGPU.csdata,"",@progbits
; Kernel info:
; codeLenInByte = 0
; TotalNumSgprs: 0
; NumVgprs: 0
; ScratchSize: 0
; MemoryBound: 0
; FloatMode: 240
; IeeeMode: 1
; LDSByteSize: 0 bytes/workgroup (compile time only)
; SGPRBlocks: 0
; VGPRBlocks: 0
; NumSGPRsForWavesPerEU: 1
; NumVGPRsForWavesPerEU: 1
; Occupancy: 16
; WaveLimiterHint : 0
; COMPUTE_PGM_RSRC2:SCRATCH_EN: 0
; COMPUTE_PGM_RSRC2:USER_SGPR: 6
; COMPUTE_PGM_RSRC2:TRAP_HANDLER: 0
; COMPUTE_PGM_RSRC2:TGID_X_EN: 1
; COMPUTE_PGM_RSRC2:TGID_Y_EN: 0
; COMPUTE_PGM_RSRC2:TGID_Z_EN: 0
; COMPUTE_PGM_RSRC2:TIDIG_COMP_CNT: 0
	.section	.text._ZN7rocprim17ROCPRIM_400000_NS6detail17trampoline_kernelINS0_14default_configENS1_27scan_by_key_config_selectorIllEEZZNS1_16scan_by_key_implILNS1_25lookback_scan_determinismE0ELb0ES3_N6thrust23THRUST_200600_302600_NS16reverse_iteratorIPKlEESD_NSA_IPlEElN6hipcub16HIPCUB_304000_NS3MaxENSH_8EqualityElEE10hipError_tPvRmT2_T3_T4_T5_mT6_T7_P12ihipStream_tbENKUlT_T0_E_clISt17integral_constantIbLb1EES10_EEDaSV_SW_EUlSV_E_NS1_11comp_targetILNS1_3genE9ELNS1_11target_archE1100ELNS1_3gpuE3ELNS1_3repE0EEENS1_30default_config_static_selectorELNS0_4arch9wavefront6targetE0EEEvT1_,"axG",@progbits,_ZN7rocprim17ROCPRIM_400000_NS6detail17trampoline_kernelINS0_14default_configENS1_27scan_by_key_config_selectorIllEEZZNS1_16scan_by_key_implILNS1_25lookback_scan_determinismE0ELb0ES3_N6thrust23THRUST_200600_302600_NS16reverse_iteratorIPKlEESD_NSA_IPlEElN6hipcub16HIPCUB_304000_NS3MaxENSH_8EqualityElEE10hipError_tPvRmT2_T3_T4_T5_mT6_T7_P12ihipStream_tbENKUlT_T0_E_clISt17integral_constantIbLb1EES10_EEDaSV_SW_EUlSV_E_NS1_11comp_targetILNS1_3genE9ELNS1_11target_archE1100ELNS1_3gpuE3ELNS1_3repE0EEENS1_30default_config_static_selectorELNS0_4arch9wavefront6targetE0EEEvT1_,comdat
	.protected	_ZN7rocprim17ROCPRIM_400000_NS6detail17trampoline_kernelINS0_14default_configENS1_27scan_by_key_config_selectorIllEEZZNS1_16scan_by_key_implILNS1_25lookback_scan_determinismE0ELb0ES3_N6thrust23THRUST_200600_302600_NS16reverse_iteratorIPKlEESD_NSA_IPlEElN6hipcub16HIPCUB_304000_NS3MaxENSH_8EqualityElEE10hipError_tPvRmT2_T3_T4_T5_mT6_T7_P12ihipStream_tbENKUlT_T0_E_clISt17integral_constantIbLb1EES10_EEDaSV_SW_EUlSV_E_NS1_11comp_targetILNS1_3genE9ELNS1_11target_archE1100ELNS1_3gpuE3ELNS1_3repE0EEENS1_30default_config_static_selectorELNS0_4arch9wavefront6targetE0EEEvT1_ ; -- Begin function _ZN7rocprim17ROCPRIM_400000_NS6detail17trampoline_kernelINS0_14default_configENS1_27scan_by_key_config_selectorIllEEZZNS1_16scan_by_key_implILNS1_25lookback_scan_determinismE0ELb0ES3_N6thrust23THRUST_200600_302600_NS16reverse_iteratorIPKlEESD_NSA_IPlEElN6hipcub16HIPCUB_304000_NS3MaxENSH_8EqualityElEE10hipError_tPvRmT2_T3_T4_T5_mT6_T7_P12ihipStream_tbENKUlT_T0_E_clISt17integral_constantIbLb1EES10_EEDaSV_SW_EUlSV_E_NS1_11comp_targetILNS1_3genE9ELNS1_11target_archE1100ELNS1_3gpuE3ELNS1_3repE0EEENS1_30default_config_static_selectorELNS0_4arch9wavefront6targetE0EEEvT1_
	.globl	_ZN7rocprim17ROCPRIM_400000_NS6detail17trampoline_kernelINS0_14default_configENS1_27scan_by_key_config_selectorIllEEZZNS1_16scan_by_key_implILNS1_25lookback_scan_determinismE0ELb0ES3_N6thrust23THRUST_200600_302600_NS16reverse_iteratorIPKlEESD_NSA_IPlEElN6hipcub16HIPCUB_304000_NS3MaxENSH_8EqualityElEE10hipError_tPvRmT2_T3_T4_T5_mT6_T7_P12ihipStream_tbENKUlT_T0_E_clISt17integral_constantIbLb1EES10_EEDaSV_SW_EUlSV_E_NS1_11comp_targetILNS1_3genE9ELNS1_11target_archE1100ELNS1_3gpuE3ELNS1_3repE0EEENS1_30default_config_static_selectorELNS0_4arch9wavefront6targetE0EEEvT1_
	.p2align	8
	.type	_ZN7rocprim17ROCPRIM_400000_NS6detail17trampoline_kernelINS0_14default_configENS1_27scan_by_key_config_selectorIllEEZZNS1_16scan_by_key_implILNS1_25lookback_scan_determinismE0ELb0ES3_N6thrust23THRUST_200600_302600_NS16reverse_iteratorIPKlEESD_NSA_IPlEElN6hipcub16HIPCUB_304000_NS3MaxENSH_8EqualityElEE10hipError_tPvRmT2_T3_T4_T5_mT6_T7_P12ihipStream_tbENKUlT_T0_E_clISt17integral_constantIbLb1EES10_EEDaSV_SW_EUlSV_E_NS1_11comp_targetILNS1_3genE9ELNS1_11target_archE1100ELNS1_3gpuE3ELNS1_3repE0EEENS1_30default_config_static_selectorELNS0_4arch9wavefront6targetE0EEEvT1_,@function
_ZN7rocprim17ROCPRIM_400000_NS6detail17trampoline_kernelINS0_14default_configENS1_27scan_by_key_config_selectorIllEEZZNS1_16scan_by_key_implILNS1_25lookback_scan_determinismE0ELb0ES3_N6thrust23THRUST_200600_302600_NS16reverse_iteratorIPKlEESD_NSA_IPlEElN6hipcub16HIPCUB_304000_NS3MaxENSH_8EqualityElEE10hipError_tPvRmT2_T3_T4_T5_mT6_T7_P12ihipStream_tbENKUlT_T0_E_clISt17integral_constantIbLb1EES10_EEDaSV_SW_EUlSV_E_NS1_11comp_targetILNS1_3genE9ELNS1_11target_archE1100ELNS1_3gpuE3ELNS1_3repE0EEENS1_30default_config_static_selectorELNS0_4arch9wavefront6targetE0EEEvT1_: ; @_ZN7rocprim17ROCPRIM_400000_NS6detail17trampoline_kernelINS0_14default_configENS1_27scan_by_key_config_selectorIllEEZZNS1_16scan_by_key_implILNS1_25lookback_scan_determinismE0ELb0ES3_N6thrust23THRUST_200600_302600_NS16reverse_iteratorIPKlEESD_NSA_IPlEElN6hipcub16HIPCUB_304000_NS3MaxENSH_8EqualityElEE10hipError_tPvRmT2_T3_T4_T5_mT6_T7_P12ihipStream_tbENKUlT_T0_E_clISt17integral_constantIbLb1EES10_EEDaSV_SW_EUlSV_E_NS1_11comp_targetILNS1_3genE9ELNS1_11target_archE1100ELNS1_3gpuE3ELNS1_3repE0EEENS1_30default_config_static_selectorELNS0_4arch9wavefront6targetE0EEEvT1_
; %bb.0:
	.section	.rodata,"a",@progbits
	.p2align	6, 0x0
	.amdhsa_kernel _ZN7rocprim17ROCPRIM_400000_NS6detail17trampoline_kernelINS0_14default_configENS1_27scan_by_key_config_selectorIllEEZZNS1_16scan_by_key_implILNS1_25lookback_scan_determinismE0ELb0ES3_N6thrust23THRUST_200600_302600_NS16reverse_iteratorIPKlEESD_NSA_IPlEElN6hipcub16HIPCUB_304000_NS3MaxENSH_8EqualityElEE10hipError_tPvRmT2_T3_T4_T5_mT6_T7_P12ihipStream_tbENKUlT_T0_E_clISt17integral_constantIbLb1EES10_EEDaSV_SW_EUlSV_E_NS1_11comp_targetILNS1_3genE9ELNS1_11target_archE1100ELNS1_3gpuE3ELNS1_3repE0EEENS1_30default_config_static_selectorELNS0_4arch9wavefront6targetE0EEEvT1_
		.amdhsa_group_segment_fixed_size 0
		.amdhsa_private_segment_fixed_size 0
		.amdhsa_kernarg_size 136
		.amdhsa_user_sgpr_count 6
		.amdhsa_user_sgpr_private_segment_buffer 1
		.amdhsa_user_sgpr_dispatch_ptr 0
		.amdhsa_user_sgpr_queue_ptr 0
		.amdhsa_user_sgpr_kernarg_segment_ptr 1
		.amdhsa_user_sgpr_dispatch_id 0
		.amdhsa_user_sgpr_flat_scratch_init 0
		.amdhsa_user_sgpr_private_segment_size 0
		.amdhsa_wavefront_size32 1
		.amdhsa_uses_dynamic_stack 0
		.amdhsa_system_sgpr_private_segment_wavefront_offset 0
		.amdhsa_system_sgpr_workgroup_id_x 1
		.amdhsa_system_sgpr_workgroup_id_y 0
		.amdhsa_system_sgpr_workgroup_id_z 0
		.amdhsa_system_sgpr_workgroup_info 0
		.amdhsa_system_vgpr_workitem_id 0
		.amdhsa_next_free_vgpr 1
		.amdhsa_next_free_sgpr 1
		.amdhsa_reserve_vcc 0
		.amdhsa_reserve_flat_scratch 0
		.amdhsa_float_round_mode_32 0
		.amdhsa_float_round_mode_16_64 0
		.amdhsa_float_denorm_mode_32 3
		.amdhsa_float_denorm_mode_16_64 3
		.amdhsa_dx10_clamp 1
		.amdhsa_ieee_mode 1
		.amdhsa_fp16_overflow 0
		.amdhsa_workgroup_processor_mode 1
		.amdhsa_memory_ordered 1
		.amdhsa_forward_progress 1
		.amdhsa_shared_vgpr_count 0
		.amdhsa_exception_fp_ieee_invalid_op 0
		.amdhsa_exception_fp_denorm_src 0
		.amdhsa_exception_fp_ieee_div_zero 0
		.amdhsa_exception_fp_ieee_overflow 0
		.amdhsa_exception_fp_ieee_underflow 0
		.amdhsa_exception_fp_ieee_inexact 0
		.amdhsa_exception_int_div_zero 0
	.end_amdhsa_kernel
	.section	.text._ZN7rocprim17ROCPRIM_400000_NS6detail17trampoline_kernelINS0_14default_configENS1_27scan_by_key_config_selectorIllEEZZNS1_16scan_by_key_implILNS1_25lookback_scan_determinismE0ELb0ES3_N6thrust23THRUST_200600_302600_NS16reverse_iteratorIPKlEESD_NSA_IPlEElN6hipcub16HIPCUB_304000_NS3MaxENSH_8EqualityElEE10hipError_tPvRmT2_T3_T4_T5_mT6_T7_P12ihipStream_tbENKUlT_T0_E_clISt17integral_constantIbLb1EES10_EEDaSV_SW_EUlSV_E_NS1_11comp_targetILNS1_3genE9ELNS1_11target_archE1100ELNS1_3gpuE3ELNS1_3repE0EEENS1_30default_config_static_selectorELNS0_4arch9wavefront6targetE0EEEvT1_,"axG",@progbits,_ZN7rocprim17ROCPRIM_400000_NS6detail17trampoline_kernelINS0_14default_configENS1_27scan_by_key_config_selectorIllEEZZNS1_16scan_by_key_implILNS1_25lookback_scan_determinismE0ELb0ES3_N6thrust23THRUST_200600_302600_NS16reverse_iteratorIPKlEESD_NSA_IPlEElN6hipcub16HIPCUB_304000_NS3MaxENSH_8EqualityElEE10hipError_tPvRmT2_T3_T4_T5_mT6_T7_P12ihipStream_tbENKUlT_T0_E_clISt17integral_constantIbLb1EES10_EEDaSV_SW_EUlSV_E_NS1_11comp_targetILNS1_3genE9ELNS1_11target_archE1100ELNS1_3gpuE3ELNS1_3repE0EEENS1_30default_config_static_selectorELNS0_4arch9wavefront6targetE0EEEvT1_,comdat
.Lfunc_end154:
	.size	_ZN7rocprim17ROCPRIM_400000_NS6detail17trampoline_kernelINS0_14default_configENS1_27scan_by_key_config_selectorIllEEZZNS1_16scan_by_key_implILNS1_25lookback_scan_determinismE0ELb0ES3_N6thrust23THRUST_200600_302600_NS16reverse_iteratorIPKlEESD_NSA_IPlEElN6hipcub16HIPCUB_304000_NS3MaxENSH_8EqualityElEE10hipError_tPvRmT2_T3_T4_T5_mT6_T7_P12ihipStream_tbENKUlT_T0_E_clISt17integral_constantIbLb1EES10_EEDaSV_SW_EUlSV_E_NS1_11comp_targetILNS1_3genE9ELNS1_11target_archE1100ELNS1_3gpuE3ELNS1_3repE0EEENS1_30default_config_static_selectorELNS0_4arch9wavefront6targetE0EEEvT1_, .Lfunc_end154-_ZN7rocprim17ROCPRIM_400000_NS6detail17trampoline_kernelINS0_14default_configENS1_27scan_by_key_config_selectorIllEEZZNS1_16scan_by_key_implILNS1_25lookback_scan_determinismE0ELb0ES3_N6thrust23THRUST_200600_302600_NS16reverse_iteratorIPKlEESD_NSA_IPlEElN6hipcub16HIPCUB_304000_NS3MaxENSH_8EqualityElEE10hipError_tPvRmT2_T3_T4_T5_mT6_T7_P12ihipStream_tbENKUlT_T0_E_clISt17integral_constantIbLb1EES10_EEDaSV_SW_EUlSV_E_NS1_11comp_targetILNS1_3genE9ELNS1_11target_archE1100ELNS1_3gpuE3ELNS1_3repE0EEENS1_30default_config_static_selectorELNS0_4arch9wavefront6targetE0EEEvT1_
                                        ; -- End function
	.set _ZN7rocprim17ROCPRIM_400000_NS6detail17trampoline_kernelINS0_14default_configENS1_27scan_by_key_config_selectorIllEEZZNS1_16scan_by_key_implILNS1_25lookback_scan_determinismE0ELb0ES3_N6thrust23THRUST_200600_302600_NS16reverse_iteratorIPKlEESD_NSA_IPlEElN6hipcub16HIPCUB_304000_NS3MaxENSH_8EqualityElEE10hipError_tPvRmT2_T3_T4_T5_mT6_T7_P12ihipStream_tbENKUlT_T0_E_clISt17integral_constantIbLb1EES10_EEDaSV_SW_EUlSV_E_NS1_11comp_targetILNS1_3genE9ELNS1_11target_archE1100ELNS1_3gpuE3ELNS1_3repE0EEENS1_30default_config_static_selectorELNS0_4arch9wavefront6targetE0EEEvT1_.num_vgpr, 0
	.set _ZN7rocprim17ROCPRIM_400000_NS6detail17trampoline_kernelINS0_14default_configENS1_27scan_by_key_config_selectorIllEEZZNS1_16scan_by_key_implILNS1_25lookback_scan_determinismE0ELb0ES3_N6thrust23THRUST_200600_302600_NS16reverse_iteratorIPKlEESD_NSA_IPlEElN6hipcub16HIPCUB_304000_NS3MaxENSH_8EqualityElEE10hipError_tPvRmT2_T3_T4_T5_mT6_T7_P12ihipStream_tbENKUlT_T0_E_clISt17integral_constantIbLb1EES10_EEDaSV_SW_EUlSV_E_NS1_11comp_targetILNS1_3genE9ELNS1_11target_archE1100ELNS1_3gpuE3ELNS1_3repE0EEENS1_30default_config_static_selectorELNS0_4arch9wavefront6targetE0EEEvT1_.num_agpr, 0
	.set _ZN7rocprim17ROCPRIM_400000_NS6detail17trampoline_kernelINS0_14default_configENS1_27scan_by_key_config_selectorIllEEZZNS1_16scan_by_key_implILNS1_25lookback_scan_determinismE0ELb0ES3_N6thrust23THRUST_200600_302600_NS16reverse_iteratorIPKlEESD_NSA_IPlEElN6hipcub16HIPCUB_304000_NS3MaxENSH_8EqualityElEE10hipError_tPvRmT2_T3_T4_T5_mT6_T7_P12ihipStream_tbENKUlT_T0_E_clISt17integral_constantIbLb1EES10_EEDaSV_SW_EUlSV_E_NS1_11comp_targetILNS1_3genE9ELNS1_11target_archE1100ELNS1_3gpuE3ELNS1_3repE0EEENS1_30default_config_static_selectorELNS0_4arch9wavefront6targetE0EEEvT1_.numbered_sgpr, 0
	.set _ZN7rocprim17ROCPRIM_400000_NS6detail17trampoline_kernelINS0_14default_configENS1_27scan_by_key_config_selectorIllEEZZNS1_16scan_by_key_implILNS1_25lookback_scan_determinismE0ELb0ES3_N6thrust23THRUST_200600_302600_NS16reverse_iteratorIPKlEESD_NSA_IPlEElN6hipcub16HIPCUB_304000_NS3MaxENSH_8EqualityElEE10hipError_tPvRmT2_T3_T4_T5_mT6_T7_P12ihipStream_tbENKUlT_T0_E_clISt17integral_constantIbLb1EES10_EEDaSV_SW_EUlSV_E_NS1_11comp_targetILNS1_3genE9ELNS1_11target_archE1100ELNS1_3gpuE3ELNS1_3repE0EEENS1_30default_config_static_selectorELNS0_4arch9wavefront6targetE0EEEvT1_.num_named_barrier, 0
	.set _ZN7rocprim17ROCPRIM_400000_NS6detail17trampoline_kernelINS0_14default_configENS1_27scan_by_key_config_selectorIllEEZZNS1_16scan_by_key_implILNS1_25lookback_scan_determinismE0ELb0ES3_N6thrust23THRUST_200600_302600_NS16reverse_iteratorIPKlEESD_NSA_IPlEElN6hipcub16HIPCUB_304000_NS3MaxENSH_8EqualityElEE10hipError_tPvRmT2_T3_T4_T5_mT6_T7_P12ihipStream_tbENKUlT_T0_E_clISt17integral_constantIbLb1EES10_EEDaSV_SW_EUlSV_E_NS1_11comp_targetILNS1_3genE9ELNS1_11target_archE1100ELNS1_3gpuE3ELNS1_3repE0EEENS1_30default_config_static_selectorELNS0_4arch9wavefront6targetE0EEEvT1_.private_seg_size, 0
	.set _ZN7rocprim17ROCPRIM_400000_NS6detail17trampoline_kernelINS0_14default_configENS1_27scan_by_key_config_selectorIllEEZZNS1_16scan_by_key_implILNS1_25lookback_scan_determinismE0ELb0ES3_N6thrust23THRUST_200600_302600_NS16reverse_iteratorIPKlEESD_NSA_IPlEElN6hipcub16HIPCUB_304000_NS3MaxENSH_8EqualityElEE10hipError_tPvRmT2_T3_T4_T5_mT6_T7_P12ihipStream_tbENKUlT_T0_E_clISt17integral_constantIbLb1EES10_EEDaSV_SW_EUlSV_E_NS1_11comp_targetILNS1_3genE9ELNS1_11target_archE1100ELNS1_3gpuE3ELNS1_3repE0EEENS1_30default_config_static_selectorELNS0_4arch9wavefront6targetE0EEEvT1_.uses_vcc, 0
	.set _ZN7rocprim17ROCPRIM_400000_NS6detail17trampoline_kernelINS0_14default_configENS1_27scan_by_key_config_selectorIllEEZZNS1_16scan_by_key_implILNS1_25lookback_scan_determinismE0ELb0ES3_N6thrust23THRUST_200600_302600_NS16reverse_iteratorIPKlEESD_NSA_IPlEElN6hipcub16HIPCUB_304000_NS3MaxENSH_8EqualityElEE10hipError_tPvRmT2_T3_T4_T5_mT6_T7_P12ihipStream_tbENKUlT_T0_E_clISt17integral_constantIbLb1EES10_EEDaSV_SW_EUlSV_E_NS1_11comp_targetILNS1_3genE9ELNS1_11target_archE1100ELNS1_3gpuE3ELNS1_3repE0EEENS1_30default_config_static_selectorELNS0_4arch9wavefront6targetE0EEEvT1_.uses_flat_scratch, 0
	.set _ZN7rocprim17ROCPRIM_400000_NS6detail17trampoline_kernelINS0_14default_configENS1_27scan_by_key_config_selectorIllEEZZNS1_16scan_by_key_implILNS1_25lookback_scan_determinismE0ELb0ES3_N6thrust23THRUST_200600_302600_NS16reverse_iteratorIPKlEESD_NSA_IPlEElN6hipcub16HIPCUB_304000_NS3MaxENSH_8EqualityElEE10hipError_tPvRmT2_T3_T4_T5_mT6_T7_P12ihipStream_tbENKUlT_T0_E_clISt17integral_constantIbLb1EES10_EEDaSV_SW_EUlSV_E_NS1_11comp_targetILNS1_3genE9ELNS1_11target_archE1100ELNS1_3gpuE3ELNS1_3repE0EEENS1_30default_config_static_selectorELNS0_4arch9wavefront6targetE0EEEvT1_.has_dyn_sized_stack, 0
	.set _ZN7rocprim17ROCPRIM_400000_NS6detail17trampoline_kernelINS0_14default_configENS1_27scan_by_key_config_selectorIllEEZZNS1_16scan_by_key_implILNS1_25lookback_scan_determinismE0ELb0ES3_N6thrust23THRUST_200600_302600_NS16reverse_iteratorIPKlEESD_NSA_IPlEElN6hipcub16HIPCUB_304000_NS3MaxENSH_8EqualityElEE10hipError_tPvRmT2_T3_T4_T5_mT6_T7_P12ihipStream_tbENKUlT_T0_E_clISt17integral_constantIbLb1EES10_EEDaSV_SW_EUlSV_E_NS1_11comp_targetILNS1_3genE9ELNS1_11target_archE1100ELNS1_3gpuE3ELNS1_3repE0EEENS1_30default_config_static_selectorELNS0_4arch9wavefront6targetE0EEEvT1_.has_recursion, 0
	.set _ZN7rocprim17ROCPRIM_400000_NS6detail17trampoline_kernelINS0_14default_configENS1_27scan_by_key_config_selectorIllEEZZNS1_16scan_by_key_implILNS1_25lookback_scan_determinismE0ELb0ES3_N6thrust23THRUST_200600_302600_NS16reverse_iteratorIPKlEESD_NSA_IPlEElN6hipcub16HIPCUB_304000_NS3MaxENSH_8EqualityElEE10hipError_tPvRmT2_T3_T4_T5_mT6_T7_P12ihipStream_tbENKUlT_T0_E_clISt17integral_constantIbLb1EES10_EEDaSV_SW_EUlSV_E_NS1_11comp_targetILNS1_3genE9ELNS1_11target_archE1100ELNS1_3gpuE3ELNS1_3repE0EEENS1_30default_config_static_selectorELNS0_4arch9wavefront6targetE0EEEvT1_.has_indirect_call, 0
	.section	.AMDGPU.csdata,"",@progbits
; Kernel info:
; codeLenInByte = 0
; TotalNumSgprs: 0
; NumVgprs: 0
; ScratchSize: 0
; MemoryBound: 0
; FloatMode: 240
; IeeeMode: 1
; LDSByteSize: 0 bytes/workgroup (compile time only)
; SGPRBlocks: 0
; VGPRBlocks: 0
; NumSGPRsForWavesPerEU: 1
; NumVGPRsForWavesPerEU: 1
; Occupancy: 16
; WaveLimiterHint : 0
; COMPUTE_PGM_RSRC2:SCRATCH_EN: 0
; COMPUTE_PGM_RSRC2:USER_SGPR: 6
; COMPUTE_PGM_RSRC2:TRAP_HANDLER: 0
; COMPUTE_PGM_RSRC2:TGID_X_EN: 1
; COMPUTE_PGM_RSRC2:TGID_Y_EN: 0
; COMPUTE_PGM_RSRC2:TGID_Z_EN: 0
; COMPUTE_PGM_RSRC2:TIDIG_COMP_CNT: 0
	.section	.text._ZN7rocprim17ROCPRIM_400000_NS6detail17trampoline_kernelINS0_14default_configENS1_27scan_by_key_config_selectorIllEEZZNS1_16scan_by_key_implILNS1_25lookback_scan_determinismE0ELb0ES3_N6thrust23THRUST_200600_302600_NS16reverse_iteratorIPKlEESD_NSA_IPlEElN6hipcub16HIPCUB_304000_NS3MaxENSH_8EqualityElEE10hipError_tPvRmT2_T3_T4_T5_mT6_T7_P12ihipStream_tbENKUlT_T0_E_clISt17integral_constantIbLb1EES10_EEDaSV_SW_EUlSV_E_NS1_11comp_targetILNS1_3genE8ELNS1_11target_archE1030ELNS1_3gpuE2ELNS1_3repE0EEENS1_30default_config_static_selectorELNS0_4arch9wavefront6targetE0EEEvT1_,"axG",@progbits,_ZN7rocprim17ROCPRIM_400000_NS6detail17trampoline_kernelINS0_14default_configENS1_27scan_by_key_config_selectorIllEEZZNS1_16scan_by_key_implILNS1_25lookback_scan_determinismE0ELb0ES3_N6thrust23THRUST_200600_302600_NS16reverse_iteratorIPKlEESD_NSA_IPlEElN6hipcub16HIPCUB_304000_NS3MaxENSH_8EqualityElEE10hipError_tPvRmT2_T3_T4_T5_mT6_T7_P12ihipStream_tbENKUlT_T0_E_clISt17integral_constantIbLb1EES10_EEDaSV_SW_EUlSV_E_NS1_11comp_targetILNS1_3genE8ELNS1_11target_archE1030ELNS1_3gpuE2ELNS1_3repE0EEENS1_30default_config_static_selectorELNS0_4arch9wavefront6targetE0EEEvT1_,comdat
	.protected	_ZN7rocprim17ROCPRIM_400000_NS6detail17trampoline_kernelINS0_14default_configENS1_27scan_by_key_config_selectorIllEEZZNS1_16scan_by_key_implILNS1_25lookback_scan_determinismE0ELb0ES3_N6thrust23THRUST_200600_302600_NS16reverse_iteratorIPKlEESD_NSA_IPlEElN6hipcub16HIPCUB_304000_NS3MaxENSH_8EqualityElEE10hipError_tPvRmT2_T3_T4_T5_mT6_T7_P12ihipStream_tbENKUlT_T0_E_clISt17integral_constantIbLb1EES10_EEDaSV_SW_EUlSV_E_NS1_11comp_targetILNS1_3genE8ELNS1_11target_archE1030ELNS1_3gpuE2ELNS1_3repE0EEENS1_30default_config_static_selectorELNS0_4arch9wavefront6targetE0EEEvT1_ ; -- Begin function _ZN7rocprim17ROCPRIM_400000_NS6detail17trampoline_kernelINS0_14default_configENS1_27scan_by_key_config_selectorIllEEZZNS1_16scan_by_key_implILNS1_25lookback_scan_determinismE0ELb0ES3_N6thrust23THRUST_200600_302600_NS16reverse_iteratorIPKlEESD_NSA_IPlEElN6hipcub16HIPCUB_304000_NS3MaxENSH_8EqualityElEE10hipError_tPvRmT2_T3_T4_T5_mT6_T7_P12ihipStream_tbENKUlT_T0_E_clISt17integral_constantIbLb1EES10_EEDaSV_SW_EUlSV_E_NS1_11comp_targetILNS1_3genE8ELNS1_11target_archE1030ELNS1_3gpuE2ELNS1_3repE0EEENS1_30default_config_static_selectorELNS0_4arch9wavefront6targetE0EEEvT1_
	.globl	_ZN7rocprim17ROCPRIM_400000_NS6detail17trampoline_kernelINS0_14default_configENS1_27scan_by_key_config_selectorIllEEZZNS1_16scan_by_key_implILNS1_25lookback_scan_determinismE0ELb0ES3_N6thrust23THRUST_200600_302600_NS16reverse_iteratorIPKlEESD_NSA_IPlEElN6hipcub16HIPCUB_304000_NS3MaxENSH_8EqualityElEE10hipError_tPvRmT2_T3_T4_T5_mT6_T7_P12ihipStream_tbENKUlT_T0_E_clISt17integral_constantIbLb1EES10_EEDaSV_SW_EUlSV_E_NS1_11comp_targetILNS1_3genE8ELNS1_11target_archE1030ELNS1_3gpuE2ELNS1_3repE0EEENS1_30default_config_static_selectorELNS0_4arch9wavefront6targetE0EEEvT1_
	.p2align	8
	.type	_ZN7rocprim17ROCPRIM_400000_NS6detail17trampoline_kernelINS0_14default_configENS1_27scan_by_key_config_selectorIllEEZZNS1_16scan_by_key_implILNS1_25lookback_scan_determinismE0ELb0ES3_N6thrust23THRUST_200600_302600_NS16reverse_iteratorIPKlEESD_NSA_IPlEElN6hipcub16HIPCUB_304000_NS3MaxENSH_8EqualityElEE10hipError_tPvRmT2_T3_T4_T5_mT6_T7_P12ihipStream_tbENKUlT_T0_E_clISt17integral_constantIbLb1EES10_EEDaSV_SW_EUlSV_E_NS1_11comp_targetILNS1_3genE8ELNS1_11target_archE1030ELNS1_3gpuE2ELNS1_3repE0EEENS1_30default_config_static_selectorELNS0_4arch9wavefront6targetE0EEEvT1_,@function
_ZN7rocprim17ROCPRIM_400000_NS6detail17trampoline_kernelINS0_14default_configENS1_27scan_by_key_config_selectorIllEEZZNS1_16scan_by_key_implILNS1_25lookback_scan_determinismE0ELb0ES3_N6thrust23THRUST_200600_302600_NS16reverse_iteratorIPKlEESD_NSA_IPlEElN6hipcub16HIPCUB_304000_NS3MaxENSH_8EqualityElEE10hipError_tPvRmT2_T3_T4_T5_mT6_T7_P12ihipStream_tbENKUlT_T0_E_clISt17integral_constantIbLb1EES10_EEDaSV_SW_EUlSV_E_NS1_11comp_targetILNS1_3genE8ELNS1_11target_archE1030ELNS1_3gpuE2ELNS1_3repE0EEENS1_30default_config_static_selectorELNS0_4arch9wavefront6targetE0EEEvT1_: ; @_ZN7rocprim17ROCPRIM_400000_NS6detail17trampoline_kernelINS0_14default_configENS1_27scan_by_key_config_selectorIllEEZZNS1_16scan_by_key_implILNS1_25lookback_scan_determinismE0ELb0ES3_N6thrust23THRUST_200600_302600_NS16reverse_iteratorIPKlEESD_NSA_IPlEElN6hipcub16HIPCUB_304000_NS3MaxENSH_8EqualityElEE10hipError_tPvRmT2_T3_T4_T5_mT6_T7_P12ihipStream_tbENKUlT_T0_E_clISt17integral_constantIbLb1EES10_EEDaSV_SW_EUlSV_E_NS1_11comp_targetILNS1_3genE8ELNS1_11target_archE1030ELNS1_3gpuE2ELNS1_3repE0EEENS1_30default_config_static_selectorELNS0_4arch9wavefront6targetE0EEEvT1_
; %bb.0:
	s_endpgm
	.section	.rodata,"a",@progbits
	.p2align	6, 0x0
	.amdhsa_kernel _ZN7rocprim17ROCPRIM_400000_NS6detail17trampoline_kernelINS0_14default_configENS1_27scan_by_key_config_selectorIllEEZZNS1_16scan_by_key_implILNS1_25lookback_scan_determinismE0ELb0ES3_N6thrust23THRUST_200600_302600_NS16reverse_iteratorIPKlEESD_NSA_IPlEElN6hipcub16HIPCUB_304000_NS3MaxENSH_8EqualityElEE10hipError_tPvRmT2_T3_T4_T5_mT6_T7_P12ihipStream_tbENKUlT_T0_E_clISt17integral_constantIbLb1EES10_EEDaSV_SW_EUlSV_E_NS1_11comp_targetILNS1_3genE8ELNS1_11target_archE1030ELNS1_3gpuE2ELNS1_3repE0EEENS1_30default_config_static_selectorELNS0_4arch9wavefront6targetE0EEEvT1_
		.amdhsa_group_segment_fixed_size 0
		.amdhsa_private_segment_fixed_size 0
		.amdhsa_kernarg_size 136
		.amdhsa_user_sgpr_count 6
		.amdhsa_user_sgpr_private_segment_buffer 1
		.amdhsa_user_sgpr_dispatch_ptr 0
		.amdhsa_user_sgpr_queue_ptr 0
		.amdhsa_user_sgpr_kernarg_segment_ptr 1
		.amdhsa_user_sgpr_dispatch_id 0
		.amdhsa_user_sgpr_flat_scratch_init 0
		.amdhsa_user_sgpr_private_segment_size 0
		.amdhsa_wavefront_size32 1
		.amdhsa_uses_dynamic_stack 0
		.amdhsa_system_sgpr_private_segment_wavefront_offset 0
		.amdhsa_system_sgpr_workgroup_id_x 1
		.amdhsa_system_sgpr_workgroup_id_y 0
		.amdhsa_system_sgpr_workgroup_id_z 0
		.amdhsa_system_sgpr_workgroup_info 0
		.amdhsa_system_vgpr_workitem_id 0
		.amdhsa_next_free_vgpr 1
		.amdhsa_next_free_sgpr 1
		.amdhsa_reserve_vcc 0
		.amdhsa_reserve_flat_scratch 0
		.amdhsa_float_round_mode_32 0
		.amdhsa_float_round_mode_16_64 0
		.amdhsa_float_denorm_mode_32 3
		.amdhsa_float_denorm_mode_16_64 3
		.amdhsa_dx10_clamp 1
		.amdhsa_ieee_mode 1
		.amdhsa_fp16_overflow 0
		.amdhsa_workgroup_processor_mode 1
		.amdhsa_memory_ordered 1
		.amdhsa_forward_progress 1
		.amdhsa_shared_vgpr_count 0
		.amdhsa_exception_fp_ieee_invalid_op 0
		.amdhsa_exception_fp_denorm_src 0
		.amdhsa_exception_fp_ieee_div_zero 0
		.amdhsa_exception_fp_ieee_overflow 0
		.amdhsa_exception_fp_ieee_underflow 0
		.amdhsa_exception_fp_ieee_inexact 0
		.amdhsa_exception_int_div_zero 0
	.end_amdhsa_kernel
	.section	.text._ZN7rocprim17ROCPRIM_400000_NS6detail17trampoline_kernelINS0_14default_configENS1_27scan_by_key_config_selectorIllEEZZNS1_16scan_by_key_implILNS1_25lookback_scan_determinismE0ELb0ES3_N6thrust23THRUST_200600_302600_NS16reverse_iteratorIPKlEESD_NSA_IPlEElN6hipcub16HIPCUB_304000_NS3MaxENSH_8EqualityElEE10hipError_tPvRmT2_T3_T4_T5_mT6_T7_P12ihipStream_tbENKUlT_T0_E_clISt17integral_constantIbLb1EES10_EEDaSV_SW_EUlSV_E_NS1_11comp_targetILNS1_3genE8ELNS1_11target_archE1030ELNS1_3gpuE2ELNS1_3repE0EEENS1_30default_config_static_selectorELNS0_4arch9wavefront6targetE0EEEvT1_,"axG",@progbits,_ZN7rocprim17ROCPRIM_400000_NS6detail17trampoline_kernelINS0_14default_configENS1_27scan_by_key_config_selectorIllEEZZNS1_16scan_by_key_implILNS1_25lookback_scan_determinismE0ELb0ES3_N6thrust23THRUST_200600_302600_NS16reverse_iteratorIPKlEESD_NSA_IPlEElN6hipcub16HIPCUB_304000_NS3MaxENSH_8EqualityElEE10hipError_tPvRmT2_T3_T4_T5_mT6_T7_P12ihipStream_tbENKUlT_T0_E_clISt17integral_constantIbLb1EES10_EEDaSV_SW_EUlSV_E_NS1_11comp_targetILNS1_3genE8ELNS1_11target_archE1030ELNS1_3gpuE2ELNS1_3repE0EEENS1_30default_config_static_selectorELNS0_4arch9wavefront6targetE0EEEvT1_,comdat
.Lfunc_end155:
	.size	_ZN7rocprim17ROCPRIM_400000_NS6detail17trampoline_kernelINS0_14default_configENS1_27scan_by_key_config_selectorIllEEZZNS1_16scan_by_key_implILNS1_25lookback_scan_determinismE0ELb0ES3_N6thrust23THRUST_200600_302600_NS16reverse_iteratorIPKlEESD_NSA_IPlEElN6hipcub16HIPCUB_304000_NS3MaxENSH_8EqualityElEE10hipError_tPvRmT2_T3_T4_T5_mT6_T7_P12ihipStream_tbENKUlT_T0_E_clISt17integral_constantIbLb1EES10_EEDaSV_SW_EUlSV_E_NS1_11comp_targetILNS1_3genE8ELNS1_11target_archE1030ELNS1_3gpuE2ELNS1_3repE0EEENS1_30default_config_static_selectorELNS0_4arch9wavefront6targetE0EEEvT1_, .Lfunc_end155-_ZN7rocprim17ROCPRIM_400000_NS6detail17trampoline_kernelINS0_14default_configENS1_27scan_by_key_config_selectorIllEEZZNS1_16scan_by_key_implILNS1_25lookback_scan_determinismE0ELb0ES3_N6thrust23THRUST_200600_302600_NS16reverse_iteratorIPKlEESD_NSA_IPlEElN6hipcub16HIPCUB_304000_NS3MaxENSH_8EqualityElEE10hipError_tPvRmT2_T3_T4_T5_mT6_T7_P12ihipStream_tbENKUlT_T0_E_clISt17integral_constantIbLb1EES10_EEDaSV_SW_EUlSV_E_NS1_11comp_targetILNS1_3genE8ELNS1_11target_archE1030ELNS1_3gpuE2ELNS1_3repE0EEENS1_30default_config_static_selectorELNS0_4arch9wavefront6targetE0EEEvT1_
                                        ; -- End function
	.set _ZN7rocprim17ROCPRIM_400000_NS6detail17trampoline_kernelINS0_14default_configENS1_27scan_by_key_config_selectorIllEEZZNS1_16scan_by_key_implILNS1_25lookback_scan_determinismE0ELb0ES3_N6thrust23THRUST_200600_302600_NS16reverse_iteratorIPKlEESD_NSA_IPlEElN6hipcub16HIPCUB_304000_NS3MaxENSH_8EqualityElEE10hipError_tPvRmT2_T3_T4_T5_mT6_T7_P12ihipStream_tbENKUlT_T0_E_clISt17integral_constantIbLb1EES10_EEDaSV_SW_EUlSV_E_NS1_11comp_targetILNS1_3genE8ELNS1_11target_archE1030ELNS1_3gpuE2ELNS1_3repE0EEENS1_30default_config_static_selectorELNS0_4arch9wavefront6targetE0EEEvT1_.num_vgpr, 0
	.set _ZN7rocprim17ROCPRIM_400000_NS6detail17trampoline_kernelINS0_14default_configENS1_27scan_by_key_config_selectorIllEEZZNS1_16scan_by_key_implILNS1_25lookback_scan_determinismE0ELb0ES3_N6thrust23THRUST_200600_302600_NS16reverse_iteratorIPKlEESD_NSA_IPlEElN6hipcub16HIPCUB_304000_NS3MaxENSH_8EqualityElEE10hipError_tPvRmT2_T3_T4_T5_mT6_T7_P12ihipStream_tbENKUlT_T0_E_clISt17integral_constantIbLb1EES10_EEDaSV_SW_EUlSV_E_NS1_11comp_targetILNS1_3genE8ELNS1_11target_archE1030ELNS1_3gpuE2ELNS1_3repE0EEENS1_30default_config_static_selectorELNS0_4arch9wavefront6targetE0EEEvT1_.num_agpr, 0
	.set _ZN7rocprim17ROCPRIM_400000_NS6detail17trampoline_kernelINS0_14default_configENS1_27scan_by_key_config_selectorIllEEZZNS1_16scan_by_key_implILNS1_25lookback_scan_determinismE0ELb0ES3_N6thrust23THRUST_200600_302600_NS16reverse_iteratorIPKlEESD_NSA_IPlEElN6hipcub16HIPCUB_304000_NS3MaxENSH_8EqualityElEE10hipError_tPvRmT2_T3_T4_T5_mT6_T7_P12ihipStream_tbENKUlT_T0_E_clISt17integral_constantIbLb1EES10_EEDaSV_SW_EUlSV_E_NS1_11comp_targetILNS1_3genE8ELNS1_11target_archE1030ELNS1_3gpuE2ELNS1_3repE0EEENS1_30default_config_static_selectorELNS0_4arch9wavefront6targetE0EEEvT1_.numbered_sgpr, 0
	.set _ZN7rocprim17ROCPRIM_400000_NS6detail17trampoline_kernelINS0_14default_configENS1_27scan_by_key_config_selectorIllEEZZNS1_16scan_by_key_implILNS1_25lookback_scan_determinismE0ELb0ES3_N6thrust23THRUST_200600_302600_NS16reverse_iteratorIPKlEESD_NSA_IPlEElN6hipcub16HIPCUB_304000_NS3MaxENSH_8EqualityElEE10hipError_tPvRmT2_T3_T4_T5_mT6_T7_P12ihipStream_tbENKUlT_T0_E_clISt17integral_constantIbLb1EES10_EEDaSV_SW_EUlSV_E_NS1_11comp_targetILNS1_3genE8ELNS1_11target_archE1030ELNS1_3gpuE2ELNS1_3repE0EEENS1_30default_config_static_selectorELNS0_4arch9wavefront6targetE0EEEvT1_.num_named_barrier, 0
	.set _ZN7rocprim17ROCPRIM_400000_NS6detail17trampoline_kernelINS0_14default_configENS1_27scan_by_key_config_selectorIllEEZZNS1_16scan_by_key_implILNS1_25lookback_scan_determinismE0ELb0ES3_N6thrust23THRUST_200600_302600_NS16reverse_iteratorIPKlEESD_NSA_IPlEElN6hipcub16HIPCUB_304000_NS3MaxENSH_8EqualityElEE10hipError_tPvRmT2_T3_T4_T5_mT6_T7_P12ihipStream_tbENKUlT_T0_E_clISt17integral_constantIbLb1EES10_EEDaSV_SW_EUlSV_E_NS1_11comp_targetILNS1_3genE8ELNS1_11target_archE1030ELNS1_3gpuE2ELNS1_3repE0EEENS1_30default_config_static_selectorELNS0_4arch9wavefront6targetE0EEEvT1_.private_seg_size, 0
	.set _ZN7rocprim17ROCPRIM_400000_NS6detail17trampoline_kernelINS0_14default_configENS1_27scan_by_key_config_selectorIllEEZZNS1_16scan_by_key_implILNS1_25lookback_scan_determinismE0ELb0ES3_N6thrust23THRUST_200600_302600_NS16reverse_iteratorIPKlEESD_NSA_IPlEElN6hipcub16HIPCUB_304000_NS3MaxENSH_8EqualityElEE10hipError_tPvRmT2_T3_T4_T5_mT6_T7_P12ihipStream_tbENKUlT_T0_E_clISt17integral_constantIbLb1EES10_EEDaSV_SW_EUlSV_E_NS1_11comp_targetILNS1_3genE8ELNS1_11target_archE1030ELNS1_3gpuE2ELNS1_3repE0EEENS1_30default_config_static_selectorELNS0_4arch9wavefront6targetE0EEEvT1_.uses_vcc, 0
	.set _ZN7rocprim17ROCPRIM_400000_NS6detail17trampoline_kernelINS0_14default_configENS1_27scan_by_key_config_selectorIllEEZZNS1_16scan_by_key_implILNS1_25lookback_scan_determinismE0ELb0ES3_N6thrust23THRUST_200600_302600_NS16reverse_iteratorIPKlEESD_NSA_IPlEElN6hipcub16HIPCUB_304000_NS3MaxENSH_8EqualityElEE10hipError_tPvRmT2_T3_T4_T5_mT6_T7_P12ihipStream_tbENKUlT_T0_E_clISt17integral_constantIbLb1EES10_EEDaSV_SW_EUlSV_E_NS1_11comp_targetILNS1_3genE8ELNS1_11target_archE1030ELNS1_3gpuE2ELNS1_3repE0EEENS1_30default_config_static_selectorELNS0_4arch9wavefront6targetE0EEEvT1_.uses_flat_scratch, 0
	.set _ZN7rocprim17ROCPRIM_400000_NS6detail17trampoline_kernelINS0_14default_configENS1_27scan_by_key_config_selectorIllEEZZNS1_16scan_by_key_implILNS1_25lookback_scan_determinismE0ELb0ES3_N6thrust23THRUST_200600_302600_NS16reverse_iteratorIPKlEESD_NSA_IPlEElN6hipcub16HIPCUB_304000_NS3MaxENSH_8EqualityElEE10hipError_tPvRmT2_T3_T4_T5_mT6_T7_P12ihipStream_tbENKUlT_T0_E_clISt17integral_constantIbLb1EES10_EEDaSV_SW_EUlSV_E_NS1_11comp_targetILNS1_3genE8ELNS1_11target_archE1030ELNS1_3gpuE2ELNS1_3repE0EEENS1_30default_config_static_selectorELNS0_4arch9wavefront6targetE0EEEvT1_.has_dyn_sized_stack, 0
	.set _ZN7rocprim17ROCPRIM_400000_NS6detail17trampoline_kernelINS0_14default_configENS1_27scan_by_key_config_selectorIllEEZZNS1_16scan_by_key_implILNS1_25lookback_scan_determinismE0ELb0ES3_N6thrust23THRUST_200600_302600_NS16reverse_iteratorIPKlEESD_NSA_IPlEElN6hipcub16HIPCUB_304000_NS3MaxENSH_8EqualityElEE10hipError_tPvRmT2_T3_T4_T5_mT6_T7_P12ihipStream_tbENKUlT_T0_E_clISt17integral_constantIbLb1EES10_EEDaSV_SW_EUlSV_E_NS1_11comp_targetILNS1_3genE8ELNS1_11target_archE1030ELNS1_3gpuE2ELNS1_3repE0EEENS1_30default_config_static_selectorELNS0_4arch9wavefront6targetE0EEEvT1_.has_recursion, 0
	.set _ZN7rocprim17ROCPRIM_400000_NS6detail17trampoline_kernelINS0_14default_configENS1_27scan_by_key_config_selectorIllEEZZNS1_16scan_by_key_implILNS1_25lookback_scan_determinismE0ELb0ES3_N6thrust23THRUST_200600_302600_NS16reverse_iteratorIPKlEESD_NSA_IPlEElN6hipcub16HIPCUB_304000_NS3MaxENSH_8EqualityElEE10hipError_tPvRmT2_T3_T4_T5_mT6_T7_P12ihipStream_tbENKUlT_T0_E_clISt17integral_constantIbLb1EES10_EEDaSV_SW_EUlSV_E_NS1_11comp_targetILNS1_3genE8ELNS1_11target_archE1030ELNS1_3gpuE2ELNS1_3repE0EEENS1_30default_config_static_selectorELNS0_4arch9wavefront6targetE0EEEvT1_.has_indirect_call, 0
	.section	.AMDGPU.csdata,"",@progbits
; Kernel info:
; codeLenInByte = 4
; TotalNumSgprs: 0
; NumVgprs: 0
; ScratchSize: 0
; MemoryBound: 0
; FloatMode: 240
; IeeeMode: 1
; LDSByteSize: 0 bytes/workgroup (compile time only)
; SGPRBlocks: 0
; VGPRBlocks: 0
; NumSGPRsForWavesPerEU: 1
; NumVGPRsForWavesPerEU: 1
; Occupancy: 16
; WaveLimiterHint : 0
; COMPUTE_PGM_RSRC2:SCRATCH_EN: 0
; COMPUTE_PGM_RSRC2:USER_SGPR: 6
; COMPUTE_PGM_RSRC2:TRAP_HANDLER: 0
; COMPUTE_PGM_RSRC2:TGID_X_EN: 1
; COMPUTE_PGM_RSRC2:TGID_Y_EN: 0
; COMPUTE_PGM_RSRC2:TGID_Z_EN: 0
; COMPUTE_PGM_RSRC2:TIDIG_COMP_CNT: 0
	.section	.text._ZN7rocprim17ROCPRIM_400000_NS6detail30init_device_scan_by_key_kernelINS1_19lookback_scan_stateINS0_5tupleIJlbEEELb1ELb0EEEN6thrust23THRUST_200600_302600_NS16reverse_iteratorIPKlEEjNS1_16block_id_wrapperIjLb0EEEEEvT_jjPNSF_10value_typeET0_PNSt15iterator_traitsISI_E10value_typeEmT1_T2_,"axG",@progbits,_ZN7rocprim17ROCPRIM_400000_NS6detail30init_device_scan_by_key_kernelINS1_19lookback_scan_stateINS0_5tupleIJlbEEELb1ELb0EEEN6thrust23THRUST_200600_302600_NS16reverse_iteratorIPKlEEjNS1_16block_id_wrapperIjLb0EEEEEvT_jjPNSF_10value_typeET0_PNSt15iterator_traitsISI_E10value_typeEmT1_T2_,comdat
	.protected	_ZN7rocprim17ROCPRIM_400000_NS6detail30init_device_scan_by_key_kernelINS1_19lookback_scan_stateINS0_5tupleIJlbEEELb1ELb0EEEN6thrust23THRUST_200600_302600_NS16reverse_iteratorIPKlEEjNS1_16block_id_wrapperIjLb0EEEEEvT_jjPNSF_10value_typeET0_PNSt15iterator_traitsISI_E10value_typeEmT1_T2_ ; -- Begin function _ZN7rocprim17ROCPRIM_400000_NS6detail30init_device_scan_by_key_kernelINS1_19lookback_scan_stateINS0_5tupleIJlbEEELb1ELb0EEEN6thrust23THRUST_200600_302600_NS16reverse_iteratorIPKlEEjNS1_16block_id_wrapperIjLb0EEEEEvT_jjPNSF_10value_typeET0_PNSt15iterator_traitsISI_E10value_typeEmT1_T2_
	.globl	_ZN7rocprim17ROCPRIM_400000_NS6detail30init_device_scan_by_key_kernelINS1_19lookback_scan_stateINS0_5tupleIJlbEEELb1ELb0EEEN6thrust23THRUST_200600_302600_NS16reverse_iteratorIPKlEEjNS1_16block_id_wrapperIjLb0EEEEEvT_jjPNSF_10value_typeET0_PNSt15iterator_traitsISI_E10value_typeEmT1_T2_
	.p2align	8
	.type	_ZN7rocprim17ROCPRIM_400000_NS6detail30init_device_scan_by_key_kernelINS1_19lookback_scan_stateINS0_5tupleIJlbEEELb1ELb0EEEN6thrust23THRUST_200600_302600_NS16reverse_iteratorIPKlEEjNS1_16block_id_wrapperIjLb0EEEEEvT_jjPNSF_10value_typeET0_PNSt15iterator_traitsISI_E10value_typeEmT1_T2_,@function
_ZN7rocprim17ROCPRIM_400000_NS6detail30init_device_scan_by_key_kernelINS1_19lookback_scan_stateINS0_5tupleIJlbEEELb1ELb0EEEN6thrust23THRUST_200600_302600_NS16reverse_iteratorIPKlEEjNS1_16block_id_wrapperIjLb0EEEEEvT_jjPNSF_10value_typeET0_PNSt15iterator_traitsISI_E10value_typeEmT1_T2_: ; @_ZN7rocprim17ROCPRIM_400000_NS6detail30init_device_scan_by_key_kernelINS1_19lookback_scan_stateINS0_5tupleIJlbEEELb1ELb0EEEN6thrust23THRUST_200600_302600_NS16reverse_iteratorIPKlEEjNS1_16block_id_wrapperIjLb0EEEEEvT_jjPNSF_10value_typeET0_PNSt15iterator_traitsISI_E10value_typeEmT1_T2_
; %bb.0:
	s_clause 0x2
	s_load_dword s0, s[4:5], 0x54
	s_load_dwordx8 s[8:15], s[4:5], 0x10
	s_load_dword s18, s[4:5], 0x48
	s_waitcnt lgkmcnt(0)
	s_and_b32 s19, s0, 0xffff
	s_cmp_eq_u64 s[12:13], 0
	v_mad_u64_u32 v[0:1], null, s6, s19, v[0:1]
	s_cbranch_scc1 .LBB156_9
; %bb.1:
	s_cmp_lt_u32 s11, s10
	s_mov_b32 s7, 0
	s_cselect_b32 s0, s11, 0
	s_mov_b32 s20, exec_lo
	v_cmpx_eq_u32_e64 s0, v0
	s_cbranch_execz .LBB156_8
; %bb.2:
	s_add_i32 s6, s11, 32
	s_load_dwordx4 s[0:3], s[4:5], 0x0
	v_mov_b32_e32 v1, s6
	s_add_u32 s16, s8, s6
	s_addc_u32 s17, s9, 0
	global_load_ubyte v2, v1, s[8:9] glc dlc
	v_mov_b32_e32 v1, 0
	s_waitcnt vmcnt(0)
	v_cmp_ne_u32_sdwa s11, v2, v1 src0_sel:WORD_0 src1_sel:DWORD
	v_readfirstlane_b32 s21, v2
	s_and_b32 vcc_lo, exec_lo, s11
	s_cbranch_vccnz .LBB156_7
; %bb.3:
	s_mov_b32 s11, 1
.LBB156_4:                              ; =>This Loop Header: Depth=1
                                        ;     Child Loop BB156_5 Depth 2
	s_mov_b32 s21, s11
.LBB156_5:                              ;   Parent Loop BB156_4 Depth=1
                                        ; =>  This Inner Loop Header: Depth=2
	s_add_i32 s21, s21, -1
	s_sleep 1
	s_cmp_eq_u32 s21, 0
	s_cbranch_scc0 .LBB156_5
; %bb.6:                                ;   in Loop: Header=BB156_4 Depth=1
	global_load_ubyte v2, v1, s[16:17] glc dlc
	s_cmp_lt_u32 s11, 32
	s_cselect_b32 s21, -1, 0
	s_cmp_lg_u32 s21, 0
	s_addc_u32 s11, s11, 0
	s_waitcnt vmcnt(0)
	v_cmp_ne_u32_sdwa s22, v2, v1 src0_sel:WORD_0 src1_sel:DWORD
	v_readfirstlane_b32 s21, v2
	s_and_b32 vcc_lo, exec_lo, s22
	s_cbranch_vccz .LBB156_4
.LBB156_7:
	s_and_b32 s11, 0xffff, s21
	v_mov_b32_e32 v3, 0
	s_cmp_eq_u32 s11, 1
	s_waitcnt lgkmcnt(0)
	buffer_gl1_inv
	buffer_gl0_inv
	s_cselect_b32 s3, s1, s3
	s_cselect_b32 s2, s0, s2
	s_lshl_b64 s[0:1], s[6:7], 4
	s_add_u32 s0, s2, s0
	s_addc_u32 s1, s3, s1
	s_clause 0x1
	global_load_dwordx2 v[1:2], v3, s[0:1]
	global_load_ubyte v4, v3, s[0:1] offset:8
	s_waitcnt vmcnt(1)
	global_store_dwordx2 v3, v[1:2], s[12:13]
	s_waitcnt vmcnt(0)
	global_store_byte v3, v4, s[12:13] offset:8
.LBB156_8:
	s_or_b32 exec_lo, exec_lo, s20
.LBB156_9:
	s_mov_b32 s0, exec_lo
	v_cmpx_gt_u32_e64 s10, v0
	s_cbranch_execz .LBB156_11
; %bb.10:
	v_add_nc_u32_e32 v1, 32, v0
	v_mov_b32_e32 v2, 0
	global_store_byte v1, v2, s[8:9]
.LBB156_11:
	s_or_b32 exec_lo, exec_lo, s0
	v_mov_b32_e32 v1, 0
	s_mov_b32 s0, exec_lo
	v_cmpx_gt_u32_e32 32, v0
	s_cbranch_execz .LBB156_13
; %bb.12:
	v_add_co_u32 v2, s1, s8, v0
	v_add_co_ci_u32_e64 v3, null, s9, 0, s1
	v_mov_b32_e32 v4, 0xff
	global_store_byte v[2:3], v4, off
.LBB156_13:
	s_or_b32 exec_lo, exec_lo, s0
	s_load_dwordx2 s[2:3], s[4:5], 0x38
	s_mov_b32 s0, exec_lo
	s_waitcnt lgkmcnt(0)
	v_cmpx_gt_u64_e64 s[2:3], v[0:1]
	s_cbranch_execz .LBB156_16
; %bb.14:
	s_clause 0x1
	s_load_dword s8, s[4:5], 0x40
	s_load_dwordx2 s[6:7], s[4:5], 0x30
	s_mov_b32 s1, 0
	v_lshlrev_b64 v[4:5], 3, v[0:1]
	s_mul_i32 s4, s18, s19
	s_mov_b32 s5, s1
	s_waitcnt lgkmcnt(0)
	s_add_i32 s0, s8, -1
	s_mul_hi_u32 s9, s8, s4
	v_mad_u64_u32 v[2:3], null, s8, v0, s[0:1]
	s_mul_i32 s8, s8, s4
	s_lshl_b64 s[8:9], s[8:9], 3
	s_sub_u32 s8, 0, s8
	s_subb_u32 s9, 0, s9
	v_not_b32_e32 v3, v3
	v_not_b32_e32 v2, v2
	v_lshlrev_b64 v[2:3], 3, v[2:3]
	v_add_co_u32 v2, vcc_lo, s14, v2
	v_add_co_ci_u32_e64 v3, null, s15, v3, vcc_lo
	v_add_co_u32 v4, vcc_lo, s6, v4
	v_add_co_ci_u32_e64 v5, null, s7, v5, vcc_lo
	s_lshl_b64 s[6:7], s[4:5], 3
	.p2align	6
.LBB156_15:                             ; =>This Inner Loop Header: Depth=1
	global_load_dwordx2 v[6:7], v[2:3], off
	v_add_co_u32 v0, vcc_lo, v0, s4
	v_add_co_ci_u32_e64 v1, null, 0, v1, vcc_lo
	v_add_co_u32 v2, vcc_lo, v2, s8
	v_add_co_ci_u32_e64 v3, null, s9, v3, vcc_lo
	v_cmp_le_u64_e32 vcc_lo, s[2:3], v[0:1]
	s_or_b32 s1, vcc_lo, s1
	s_waitcnt vmcnt(0)
	global_store_dwordx2 v[4:5], v[6:7], off
	v_add_co_u32 v4, s0, v4, s6
	v_add_co_ci_u32_e64 v5, null, s7, v5, s0
	s_andn2_b32 exec_lo, exec_lo, s1
	s_cbranch_execnz .LBB156_15
.LBB156_16:
	s_endpgm
	.section	.rodata,"a",@progbits
	.p2align	6, 0x0
	.amdhsa_kernel _ZN7rocprim17ROCPRIM_400000_NS6detail30init_device_scan_by_key_kernelINS1_19lookback_scan_stateINS0_5tupleIJlbEEELb1ELb0EEEN6thrust23THRUST_200600_302600_NS16reverse_iteratorIPKlEEjNS1_16block_id_wrapperIjLb0EEEEEvT_jjPNSF_10value_typeET0_PNSt15iterator_traitsISI_E10value_typeEmT1_T2_
		.amdhsa_group_segment_fixed_size 0
		.amdhsa_private_segment_fixed_size 0
		.amdhsa_kernarg_size 328
		.amdhsa_user_sgpr_count 6
		.amdhsa_user_sgpr_private_segment_buffer 1
		.amdhsa_user_sgpr_dispatch_ptr 0
		.amdhsa_user_sgpr_queue_ptr 0
		.amdhsa_user_sgpr_kernarg_segment_ptr 1
		.amdhsa_user_sgpr_dispatch_id 0
		.amdhsa_user_sgpr_flat_scratch_init 0
		.amdhsa_user_sgpr_private_segment_size 0
		.amdhsa_wavefront_size32 1
		.amdhsa_uses_dynamic_stack 0
		.amdhsa_system_sgpr_private_segment_wavefront_offset 0
		.amdhsa_system_sgpr_workgroup_id_x 1
		.amdhsa_system_sgpr_workgroup_id_y 0
		.amdhsa_system_sgpr_workgroup_id_z 0
		.amdhsa_system_sgpr_workgroup_info 0
		.amdhsa_system_vgpr_workitem_id 0
		.amdhsa_next_free_vgpr 8
		.amdhsa_next_free_sgpr 23
		.amdhsa_reserve_vcc 1
		.amdhsa_reserve_flat_scratch 0
		.amdhsa_float_round_mode_32 0
		.amdhsa_float_round_mode_16_64 0
		.amdhsa_float_denorm_mode_32 3
		.amdhsa_float_denorm_mode_16_64 3
		.amdhsa_dx10_clamp 1
		.amdhsa_ieee_mode 1
		.amdhsa_fp16_overflow 0
		.amdhsa_workgroup_processor_mode 1
		.amdhsa_memory_ordered 1
		.amdhsa_forward_progress 1
		.amdhsa_shared_vgpr_count 0
		.amdhsa_exception_fp_ieee_invalid_op 0
		.amdhsa_exception_fp_denorm_src 0
		.amdhsa_exception_fp_ieee_div_zero 0
		.amdhsa_exception_fp_ieee_overflow 0
		.amdhsa_exception_fp_ieee_underflow 0
		.amdhsa_exception_fp_ieee_inexact 0
		.amdhsa_exception_int_div_zero 0
	.end_amdhsa_kernel
	.section	.text._ZN7rocprim17ROCPRIM_400000_NS6detail30init_device_scan_by_key_kernelINS1_19lookback_scan_stateINS0_5tupleIJlbEEELb1ELb0EEEN6thrust23THRUST_200600_302600_NS16reverse_iteratorIPKlEEjNS1_16block_id_wrapperIjLb0EEEEEvT_jjPNSF_10value_typeET0_PNSt15iterator_traitsISI_E10value_typeEmT1_T2_,"axG",@progbits,_ZN7rocprim17ROCPRIM_400000_NS6detail30init_device_scan_by_key_kernelINS1_19lookback_scan_stateINS0_5tupleIJlbEEELb1ELb0EEEN6thrust23THRUST_200600_302600_NS16reverse_iteratorIPKlEEjNS1_16block_id_wrapperIjLb0EEEEEvT_jjPNSF_10value_typeET0_PNSt15iterator_traitsISI_E10value_typeEmT1_T2_,comdat
.Lfunc_end156:
	.size	_ZN7rocprim17ROCPRIM_400000_NS6detail30init_device_scan_by_key_kernelINS1_19lookback_scan_stateINS0_5tupleIJlbEEELb1ELb0EEEN6thrust23THRUST_200600_302600_NS16reverse_iteratorIPKlEEjNS1_16block_id_wrapperIjLb0EEEEEvT_jjPNSF_10value_typeET0_PNSt15iterator_traitsISI_E10value_typeEmT1_T2_, .Lfunc_end156-_ZN7rocprim17ROCPRIM_400000_NS6detail30init_device_scan_by_key_kernelINS1_19lookback_scan_stateINS0_5tupleIJlbEEELb1ELb0EEEN6thrust23THRUST_200600_302600_NS16reverse_iteratorIPKlEEjNS1_16block_id_wrapperIjLb0EEEEEvT_jjPNSF_10value_typeET0_PNSt15iterator_traitsISI_E10value_typeEmT1_T2_
                                        ; -- End function
	.set _ZN7rocprim17ROCPRIM_400000_NS6detail30init_device_scan_by_key_kernelINS1_19lookback_scan_stateINS0_5tupleIJlbEEELb1ELb0EEEN6thrust23THRUST_200600_302600_NS16reverse_iteratorIPKlEEjNS1_16block_id_wrapperIjLb0EEEEEvT_jjPNSF_10value_typeET0_PNSt15iterator_traitsISI_E10value_typeEmT1_T2_.num_vgpr, 8
	.set _ZN7rocprim17ROCPRIM_400000_NS6detail30init_device_scan_by_key_kernelINS1_19lookback_scan_stateINS0_5tupleIJlbEEELb1ELb0EEEN6thrust23THRUST_200600_302600_NS16reverse_iteratorIPKlEEjNS1_16block_id_wrapperIjLb0EEEEEvT_jjPNSF_10value_typeET0_PNSt15iterator_traitsISI_E10value_typeEmT1_T2_.num_agpr, 0
	.set _ZN7rocprim17ROCPRIM_400000_NS6detail30init_device_scan_by_key_kernelINS1_19lookback_scan_stateINS0_5tupleIJlbEEELb1ELb0EEEN6thrust23THRUST_200600_302600_NS16reverse_iteratorIPKlEEjNS1_16block_id_wrapperIjLb0EEEEEvT_jjPNSF_10value_typeET0_PNSt15iterator_traitsISI_E10value_typeEmT1_T2_.numbered_sgpr, 23
	.set _ZN7rocprim17ROCPRIM_400000_NS6detail30init_device_scan_by_key_kernelINS1_19lookback_scan_stateINS0_5tupleIJlbEEELb1ELb0EEEN6thrust23THRUST_200600_302600_NS16reverse_iteratorIPKlEEjNS1_16block_id_wrapperIjLb0EEEEEvT_jjPNSF_10value_typeET0_PNSt15iterator_traitsISI_E10value_typeEmT1_T2_.num_named_barrier, 0
	.set _ZN7rocprim17ROCPRIM_400000_NS6detail30init_device_scan_by_key_kernelINS1_19lookback_scan_stateINS0_5tupleIJlbEEELb1ELb0EEEN6thrust23THRUST_200600_302600_NS16reverse_iteratorIPKlEEjNS1_16block_id_wrapperIjLb0EEEEEvT_jjPNSF_10value_typeET0_PNSt15iterator_traitsISI_E10value_typeEmT1_T2_.private_seg_size, 0
	.set _ZN7rocprim17ROCPRIM_400000_NS6detail30init_device_scan_by_key_kernelINS1_19lookback_scan_stateINS0_5tupleIJlbEEELb1ELb0EEEN6thrust23THRUST_200600_302600_NS16reverse_iteratorIPKlEEjNS1_16block_id_wrapperIjLb0EEEEEvT_jjPNSF_10value_typeET0_PNSt15iterator_traitsISI_E10value_typeEmT1_T2_.uses_vcc, 1
	.set _ZN7rocprim17ROCPRIM_400000_NS6detail30init_device_scan_by_key_kernelINS1_19lookback_scan_stateINS0_5tupleIJlbEEELb1ELb0EEEN6thrust23THRUST_200600_302600_NS16reverse_iteratorIPKlEEjNS1_16block_id_wrapperIjLb0EEEEEvT_jjPNSF_10value_typeET0_PNSt15iterator_traitsISI_E10value_typeEmT1_T2_.uses_flat_scratch, 0
	.set _ZN7rocprim17ROCPRIM_400000_NS6detail30init_device_scan_by_key_kernelINS1_19lookback_scan_stateINS0_5tupleIJlbEEELb1ELb0EEEN6thrust23THRUST_200600_302600_NS16reverse_iteratorIPKlEEjNS1_16block_id_wrapperIjLb0EEEEEvT_jjPNSF_10value_typeET0_PNSt15iterator_traitsISI_E10value_typeEmT1_T2_.has_dyn_sized_stack, 0
	.set _ZN7rocprim17ROCPRIM_400000_NS6detail30init_device_scan_by_key_kernelINS1_19lookback_scan_stateINS0_5tupleIJlbEEELb1ELb0EEEN6thrust23THRUST_200600_302600_NS16reverse_iteratorIPKlEEjNS1_16block_id_wrapperIjLb0EEEEEvT_jjPNSF_10value_typeET0_PNSt15iterator_traitsISI_E10value_typeEmT1_T2_.has_recursion, 0
	.set _ZN7rocprim17ROCPRIM_400000_NS6detail30init_device_scan_by_key_kernelINS1_19lookback_scan_stateINS0_5tupleIJlbEEELb1ELb0EEEN6thrust23THRUST_200600_302600_NS16reverse_iteratorIPKlEEjNS1_16block_id_wrapperIjLb0EEEEEvT_jjPNSF_10value_typeET0_PNSt15iterator_traitsISI_E10value_typeEmT1_T2_.has_indirect_call, 0
	.section	.AMDGPU.csdata,"",@progbits
; Kernel info:
; codeLenInByte = 664
; TotalNumSgprs: 25
; NumVgprs: 8
; ScratchSize: 0
; MemoryBound: 0
; FloatMode: 240
; IeeeMode: 1
; LDSByteSize: 0 bytes/workgroup (compile time only)
; SGPRBlocks: 0
; VGPRBlocks: 0
; NumSGPRsForWavesPerEU: 25
; NumVGPRsForWavesPerEU: 8
; Occupancy: 16
; WaveLimiterHint : 0
; COMPUTE_PGM_RSRC2:SCRATCH_EN: 0
; COMPUTE_PGM_RSRC2:USER_SGPR: 6
; COMPUTE_PGM_RSRC2:TRAP_HANDLER: 0
; COMPUTE_PGM_RSRC2:TGID_X_EN: 1
; COMPUTE_PGM_RSRC2:TGID_Y_EN: 0
; COMPUTE_PGM_RSRC2:TGID_Z_EN: 0
; COMPUTE_PGM_RSRC2:TIDIG_COMP_CNT: 0
	.section	.text._ZN7rocprim17ROCPRIM_400000_NS6detail17trampoline_kernelINS0_14default_configENS1_27scan_by_key_config_selectorIllEEZZNS1_16scan_by_key_implILNS1_25lookback_scan_determinismE0ELb0ES3_N6thrust23THRUST_200600_302600_NS16reverse_iteratorIPKlEESD_NSA_IPlEElN6hipcub16HIPCUB_304000_NS3MaxENSH_8EqualityElEE10hipError_tPvRmT2_T3_T4_T5_mT6_T7_P12ihipStream_tbENKUlT_T0_E_clISt17integral_constantIbLb1EESZ_IbLb0EEEEDaSV_SW_EUlSV_E_NS1_11comp_targetILNS1_3genE0ELNS1_11target_archE4294967295ELNS1_3gpuE0ELNS1_3repE0EEENS1_30default_config_static_selectorELNS0_4arch9wavefront6targetE0EEEvT1_,"axG",@progbits,_ZN7rocprim17ROCPRIM_400000_NS6detail17trampoline_kernelINS0_14default_configENS1_27scan_by_key_config_selectorIllEEZZNS1_16scan_by_key_implILNS1_25lookback_scan_determinismE0ELb0ES3_N6thrust23THRUST_200600_302600_NS16reverse_iteratorIPKlEESD_NSA_IPlEElN6hipcub16HIPCUB_304000_NS3MaxENSH_8EqualityElEE10hipError_tPvRmT2_T3_T4_T5_mT6_T7_P12ihipStream_tbENKUlT_T0_E_clISt17integral_constantIbLb1EESZ_IbLb0EEEEDaSV_SW_EUlSV_E_NS1_11comp_targetILNS1_3genE0ELNS1_11target_archE4294967295ELNS1_3gpuE0ELNS1_3repE0EEENS1_30default_config_static_selectorELNS0_4arch9wavefront6targetE0EEEvT1_,comdat
	.protected	_ZN7rocprim17ROCPRIM_400000_NS6detail17trampoline_kernelINS0_14default_configENS1_27scan_by_key_config_selectorIllEEZZNS1_16scan_by_key_implILNS1_25lookback_scan_determinismE0ELb0ES3_N6thrust23THRUST_200600_302600_NS16reverse_iteratorIPKlEESD_NSA_IPlEElN6hipcub16HIPCUB_304000_NS3MaxENSH_8EqualityElEE10hipError_tPvRmT2_T3_T4_T5_mT6_T7_P12ihipStream_tbENKUlT_T0_E_clISt17integral_constantIbLb1EESZ_IbLb0EEEEDaSV_SW_EUlSV_E_NS1_11comp_targetILNS1_3genE0ELNS1_11target_archE4294967295ELNS1_3gpuE0ELNS1_3repE0EEENS1_30default_config_static_selectorELNS0_4arch9wavefront6targetE0EEEvT1_ ; -- Begin function _ZN7rocprim17ROCPRIM_400000_NS6detail17trampoline_kernelINS0_14default_configENS1_27scan_by_key_config_selectorIllEEZZNS1_16scan_by_key_implILNS1_25lookback_scan_determinismE0ELb0ES3_N6thrust23THRUST_200600_302600_NS16reverse_iteratorIPKlEESD_NSA_IPlEElN6hipcub16HIPCUB_304000_NS3MaxENSH_8EqualityElEE10hipError_tPvRmT2_T3_T4_T5_mT6_T7_P12ihipStream_tbENKUlT_T0_E_clISt17integral_constantIbLb1EESZ_IbLb0EEEEDaSV_SW_EUlSV_E_NS1_11comp_targetILNS1_3genE0ELNS1_11target_archE4294967295ELNS1_3gpuE0ELNS1_3repE0EEENS1_30default_config_static_selectorELNS0_4arch9wavefront6targetE0EEEvT1_
	.globl	_ZN7rocprim17ROCPRIM_400000_NS6detail17trampoline_kernelINS0_14default_configENS1_27scan_by_key_config_selectorIllEEZZNS1_16scan_by_key_implILNS1_25lookback_scan_determinismE0ELb0ES3_N6thrust23THRUST_200600_302600_NS16reverse_iteratorIPKlEESD_NSA_IPlEElN6hipcub16HIPCUB_304000_NS3MaxENSH_8EqualityElEE10hipError_tPvRmT2_T3_T4_T5_mT6_T7_P12ihipStream_tbENKUlT_T0_E_clISt17integral_constantIbLb1EESZ_IbLb0EEEEDaSV_SW_EUlSV_E_NS1_11comp_targetILNS1_3genE0ELNS1_11target_archE4294967295ELNS1_3gpuE0ELNS1_3repE0EEENS1_30default_config_static_selectorELNS0_4arch9wavefront6targetE0EEEvT1_
	.p2align	8
	.type	_ZN7rocprim17ROCPRIM_400000_NS6detail17trampoline_kernelINS0_14default_configENS1_27scan_by_key_config_selectorIllEEZZNS1_16scan_by_key_implILNS1_25lookback_scan_determinismE0ELb0ES3_N6thrust23THRUST_200600_302600_NS16reverse_iteratorIPKlEESD_NSA_IPlEElN6hipcub16HIPCUB_304000_NS3MaxENSH_8EqualityElEE10hipError_tPvRmT2_T3_T4_T5_mT6_T7_P12ihipStream_tbENKUlT_T0_E_clISt17integral_constantIbLb1EESZ_IbLb0EEEEDaSV_SW_EUlSV_E_NS1_11comp_targetILNS1_3genE0ELNS1_11target_archE4294967295ELNS1_3gpuE0ELNS1_3repE0EEENS1_30default_config_static_selectorELNS0_4arch9wavefront6targetE0EEEvT1_,@function
_ZN7rocprim17ROCPRIM_400000_NS6detail17trampoline_kernelINS0_14default_configENS1_27scan_by_key_config_selectorIllEEZZNS1_16scan_by_key_implILNS1_25lookback_scan_determinismE0ELb0ES3_N6thrust23THRUST_200600_302600_NS16reverse_iteratorIPKlEESD_NSA_IPlEElN6hipcub16HIPCUB_304000_NS3MaxENSH_8EqualityElEE10hipError_tPvRmT2_T3_T4_T5_mT6_T7_P12ihipStream_tbENKUlT_T0_E_clISt17integral_constantIbLb1EESZ_IbLb0EEEEDaSV_SW_EUlSV_E_NS1_11comp_targetILNS1_3genE0ELNS1_11target_archE4294967295ELNS1_3gpuE0ELNS1_3repE0EEENS1_30default_config_static_selectorELNS0_4arch9wavefront6targetE0EEEvT1_: ; @_ZN7rocprim17ROCPRIM_400000_NS6detail17trampoline_kernelINS0_14default_configENS1_27scan_by_key_config_selectorIllEEZZNS1_16scan_by_key_implILNS1_25lookback_scan_determinismE0ELb0ES3_N6thrust23THRUST_200600_302600_NS16reverse_iteratorIPKlEESD_NSA_IPlEElN6hipcub16HIPCUB_304000_NS3MaxENSH_8EqualityElEE10hipError_tPvRmT2_T3_T4_T5_mT6_T7_P12ihipStream_tbENKUlT_T0_E_clISt17integral_constantIbLb1EESZ_IbLb0EEEEDaSV_SW_EUlSV_E_NS1_11comp_targetILNS1_3genE0ELNS1_11target_archE4294967295ELNS1_3gpuE0ELNS1_3repE0EEENS1_30default_config_static_selectorELNS0_4arch9wavefront6targetE0EEEvT1_
; %bb.0:
	.section	.rodata,"a",@progbits
	.p2align	6, 0x0
	.amdhsa_kernel _ZN7rocprim17ROCPRIM_400000_NS6detail17trampoline_kernelINS0_14default_configENS1_27scan_by_key_config_selectorIllEEZZNS1_16scan_by_key_implILNS1_25lookback_scan_determinismE0ELb0ES3_N6thrust23THRUST_200600_302600_NS16reverse_iteratorIPKlEESD_NSA_IPlEElN6hipcub16HIPCUB_304000_NS3MaxENSH_8EqualityElEE10hipError_tPvRmT2_T3_T4_T5_mT6_T7_P12ihipStream_tbENKUlT_T0_E_clISt17integral_constantIbLb1EESZ_IbLb0EEEEDaSV_SW_EUlSV_E_NS1_11comp_targetILNS1_3genE0ELNS1_11target_archE4294967295ELNS1_3gpuE0ELNS1_3repE0EEENS1_30default_config_static_selectorELNS0_4arch9wavefront6targetE0EEEvT1_
		.amdhsa_group_segment_fixed_size 0
		.amdhsa_private_segment_fixed_size 0
		.amdhsa_kernarg_size 136
		.amdhsa_user_sgpr_count 6
		.amdhsa_user_sgpr_private_segment_buffer 1
		.amdhsa_user_sgpr_dispatch_ptr 0
		.amdhsa_user_sgpr_queue_ptr 0
		.amdhsa_user_sgpr_kernarg_segment_ptr 1
		.amdhsa_user_sgpr_dispatch_id 0
		.amdhsa_user_sgpr_flat_scratch_init 0
		.amdhsa_user_sgpr_private_segment_size 0
		.amdhsa_wavefront_size32 1
		.amdhsa_uses_dynamic_stack 0
		.amdhsa_system_sgpr_private_segment_wavefront_offset 0
		.amdhsa_system_sgpr_workgroup_id_x 1
		.amdhsa_system_sgpr_workgroup_id_y 0
		.amdhsa_system_sgpr_workgroup_id_z 0
		.amdhsa_system_sgpr_workgroup_info 0
		.amdhsa_system_vgpr_workitem_id 0
		.amdhsa_next_free_vgpr 1
		.amdhsa_next_free_sgpr 1
		.amdhsa_reserve_vcc 0
		.amdhsa_reserve_flat_scratch 0
		.amdhsa_float_round_mode_32 0
		.amdhsa_float_round_mode_16_64 0
		.amdhsa_float_denorm_mode_32 3
		.amdhsa_float_denorm_mode_16_64 3
		.amdhsa_dx10_clamp 1
		.amdhsa_ieee_mode 1
		.amdhsa_fp16_overflow 0
		.amdhsa_workgroup_processor_mode 1
		.amdhsa_memory_ordered 1
		.amdhsa_forward_progress 1
		.amdhsa_shared_vgpr_count 0
		.amdhsa_exception_fp_ieee_invalid_op 0
		.amdhsa_exception_fp_denorm_src 0
		.amdhsa_exception_fp_ieee_div_zero 0
		.amdhsa_exception_fp_ieee_overflow 0
		.amdhsa_exception_fp_ieee_underflow 0
		.amdhsa_exception_fp_ieee_inexact 0
		.amdhsa_exception_int_div_zero 0
	.end_amdhsa_kernel
	.section	.text._ZN7rocprim17ROCPRIM_400000_NS6detail17trampoline_kernelINS0_14default_configENS1_27scan_by_key_config_selectorIllEEZZNS1_16scan_by_key_implILNS1_25lookback_scan_determinismE0ELb0ES3_N6thrust23THRUST_200600_302600_NS16reverse_iteratorIPKlEESD_NSA_IPlEElN6hipcub16HIPCUB_304000_NS3MaxENSH_8EqualityElEE10hipError_tPvRmT2_T3_T4_T5_mT6_T7_P12ihipStream_tbENKUlT_T0_E_clISt17integral_constantIbLb1EESZ_IbLb0EEEEDaSV_SW_EUlSV_E_NS1_11comp_targetILNS1_3genE0ELNS1_11target_archE4294967295ELNS1_3gpuE0ELNS1_3repE0EEENS1_30default_config_static_selectorELNS0_4arch9wavefront6targetE0EEEvT1_,"axG",@progbits,_ZN7rocprim17ROCPRIM_400000_NS6detail17trampoline_kernelINS0_14default_configENS1_27scan_by_key_config_selectorIllEEZZNS1_16scan_by_key_implILNS1_25lookback_scan_determinismE0ELb0ES3_N6thrust23THRUST_200600_302600_NS16reverse_iteratorIPKlEESD_NSA_IPlEElN6hipcub16HIPCUB_304000_NS3MaxENSH_8EqualityElEE10hipError_tPvRmT2_T3_T4_T5_mT6_T7_P12ihipStream_tbENKUlT_T0_E_clISt17integral_constantIbLb1EESZ_IbLb0EEEEDaSV_SW_EUlSV_E_NS1_11comp_targetILNS1_3genE0ELNS1_11target_archE4294967295ELNS1_3gpuE0ELNS1_3repE0EEENS1_30default_config_static_selectorELNS0_4arch9wavefront6targetE0EEEvT1_,comdat
.Lfunc_end157:
	.size	_ZN7rocprim17ROCPRIM_400000_NS6detail17trampoline_kernelINS0_14default_configENS1_27scan_by_key_config_selectorIllEEZZNS1_16scan_by_key_implILNS1_25lookback_scan_determinismE0ELb0ES3_N6thrust23THRUST_200600_302600_NS16reverse_iteratorIPKlEESD_NSA_IPlEElN6hipcub16HIPCUB_304000_NS3MaxENSH_8EqualityElEE10hipError_tPvRmT2_T3_T4_T5_mT6_T7_P12ihipStream_tbENKUlT_T0_E_clISt17integral_constantIbLb1EESZ_IbLb0EEEEDaSV_SW_EUlSV_E_NS1_11comp_targetILNS1_3genE0ELNS1_11target_archE4294967295ELNS1_3gpuE0ELNS1_3repE0EEENS1_30default_config_static_selectorELNS0_4arch9wavefront6targetE0EEEvT1_, .Lfunc_end157-_ZN7rocprim17ROCPRIM_400000_NS6detail17trampoline_kernelINS0_14default_configENS1_27scan_by_key_config_selectorIllEEZZNS1_16scan_by_key_implILNS1_25lookback_scan_determinismE0ELb0ES3_N6thrust23THRUST_200600_302600_NS16reverse_iteratorIPKlEESD_NSA_IPlEElN6hipcub16HIPCUB_304000_NS3MaxENSH_8EqualityElEE10hipError_tPvRmT2_T3_T4_T5_mT6_T7_P12ihipStream_tbENKUlT_T0_E_clISt17integral_constantIbLb1EESZ_IbLb0EEEEDaSV_SW_EUlSV_E_NS1_11comp_targetILNS1_3genE0ELNS1_11target_archE4294967295ELNS1_3gpuE0ELNS1_3repE0EEENS1_30default_config_static_selectorELNS0_4arch9wavefront6targetE0EEEvT1_
                                        ; -- End function
	.set _ZN7rocprim17ROCPRIM_400000_NS6detail17trampoline_kernelINS0_14default_configENS1_27scan_by_key_config_selectorIllEEZZNS1_16scan_by_key_implILNS1_25lookback_scan_determinismE0ELb0ES3_N6thrust23THRUST_200600_302600_NS16reverse_iteratorIPKlEESD_NSA_IPlEElN6hipcub16HIPCUB_304000_NS3MaxENSH_8EqualityElEE10hipError_tPvRmT2_T3_T4_T5_mT6_T7_P12ihipStream_tbENKUlT_T0_E_clISt17integral_constantIbLb1EESZ_IbLb0EEEEDaSV_SW_EUlSV_E_NS1_11comp_targetILNS1_3genE0ELNS1_11target_archE4294967295ELNS1_3gpuE0ELNS1_3repE0EEENS1_30default_config_static_selectorELNS0_4arch9wavefront6targetE0EEEvT1_.num_vgpr, 0
	.set _ZN7rocprim17ROCPRIM_400000_NS6detail17trampoline_kernelINS0_14default_configENS1_27scan_by_key_config_selectorIllEEZZNS1_16scan_by_key_implILNS1_25lookback_scan_determinismE0ELb0ES3_N6thrust23THRUST_200600_302600_NS16reverse_iteratorIPKlEESD_NSA_IPlEElN6hipcub16HIPCUB_304000_NS3MaxENSH_8EqualityElEE10hipError_tPvRmT2_T3_T4_T5_mT6_T7_P12ihipStream_tbENKUlT_T0_E_clISt17integral_constantIbLb1EESZ_IbLb0EEEEDaSV_SW_EUlSV_E_NS1_11comp_targetILNS1_3genE0ELNS1_11target_archE4294967295ELNS1_3gpuE0ELNS1_3repE0EEENS1_30default_config_static_selectorELNS0_4arch9wavefront6targetE0EEEvT1_.num_agpr, 0
	.set _ZN7rocprim17ROCPRIM_400000_NS6detail17trampoline_kernelINS0_14default_configENS1_27scan_by_key_config_selectorIllEEZZNS1_16scan_by_key_implILNS1_25lookback_scan_determinismE0ELb0ES3_N6thrust23THRUST_200600_302600_NS16reverse_iteratorIPKlEESD_NSA_IPlEElN6hipcub16HIPCUB_304000_NS3MaxENSH_8EqualityElEE10hipError_tPvRmT2_T3_T4_T5_mT6_T7_P12ihipStream_tbENKUlT_T0_E_clISt17integral_constantIbLb1EESZ_IbLb0EEEEDaSV_SW_EUlSV_E_NS1_11comp_targetILNS1_3genE0ELNS1_11target_archE4294967295ELNS1_3gpuE0ELNS1_3repE0EEENS1_30default_config_static_selectorELNS0_4arch9wavefront6targetE0EEEvT1_.numbered_sgpr, 0
	.set _ZN7rocprim17ROCPRIM_400000_NS6detail17trampoline_kernelINS0_14default_configENS1_27scan_by_key_config_selectorIllEEZZNS1_16scan_by_key_implILNS1_25lookback_scan_determinismE0ELb0ES3_N6thrust23THRUST_200600_302600_NS16reverse_iteratorIPKlEESD_NSA_IPlEElN6hipcub16HIPCUB_304000_NS3MaxENSH_8EqualityElEE10hipError_tPvRmT2_T3_T4_T5_mT6_T7_P12ihipStream_tbENKUlT_T0_E_clISt17integral_constantIbLb1EESZ_IbLb0EEEEDaSV_SW_EUlSV_E_NS1_11comp_targetILNS1_3genE0ELNS1_11target_archE4294967295ELNS1_3gpuE0ELNS1_3repE0EEENS1_30default_config_static_selectorELNS0_4arch9wavefront6targetE0EEEvT1_.num_named_barrier, 0
	.set _ZN7rocprim17ROCPRIM_400000_NS6detail17trampoline_kernelINS0_14default_configENS1_27scan_by_key_config_selectorIllEEZZNS1_16scan_by_key_implILNS1_25lookback_scan_determinismE0ELb0ES3_N6thrust23THRUST_200600_302600_NS16reverse_iteratorIPKlEESD_NSA_IPlEElN6hipcub16HIPCUB_304000_NS3MaxENSH_8EqualityElEE10hipError_tPvRmT2_T3_T4_T5_mT6_T7_P12ihipStream_tbENKUlT_T0_E_clISt17integral_constantIbLb1EESZ_IbLb0EEEEDaSV_SW_EUlSV_E_NS1_11comp_targetILNS1_3genE0ELNS1_11target_archE4294967295ELNS1_3gpuE0ELNS1_3repE0EEENS1_30default_config_static_selectorELNS0_4arch9wavefront6targetE0EEEvT1_.private_seg_size, 0
	.set _ZN7rocprim17ROCPRIM_400000_NS6detail17trampoline_kernelINS0_14default_configENS1_27scan_by_key_config_selectorIllEEZZNS1_16scan_by_key_implILNS1_25lookback_scan_determinismE0ELb0ES3_N6thrust23THRUST_200600_302600_NS16reverse_iteratorIPKlEESD_NSA_IPlEElN6hipcub16HIPCUB_304000_NS3MaxENSH_8EqualityElEE10hipError_tPvRmT2_T3_T4_T5_mT6_T7_P12ihipStream_tbENKUlT_T0_E_clISt17integral_constantIbLb1EESZ_IbLb0EEEEDaSV_SW_EUlSV_E_NS1_11comp_targetILNS1_3genE0ELNS1_11target_archE4294967295ELNS1_3gpuE0ELNS1_3repE0EEENS1_30default_config_static_selectorELNS0_4arch9wavefront6targetE0EEEvT1_.uses_vcc, 0
	.set _ZN7rocprim17ROCPRIM_400000_NS6detail17trampoline_kernelINS0_14default_configENS1_27scan_by_key_config_selectorIllEEZZNS1_16scan_by_key_implILNS1_25lookback_scan_determinismE0ELb0ES3_N6thrust23THRUST_200600_302600_NS16reverse_iteratorIPKlEESD_NSA_IPlEElN6hipcub16HIPCUB_304000_NS3MaxENSH_8EqualityElEE10hipError_tPvRmT2_T3_T4_T5_mT6_T7_P12ihipStream_tbENKUlT_T0_E_clISt17integral_constantIbLb1EESZ_IbLb0EEEEDaSV_SW_EUlSV_E_NS1_11comp_targetILNS1_3genE0ELNS1_11target_archE4294967295ELNS1_3gpuE0ELNS1_3repE0EEENS1_30default_config_static_selectorELNS0_4arch9wavefront6targetE0EEEvT1_.uses_flat_scratch, 0
	.set _ZN7rocprim17ROCPRIM_400000_NS6detail17trampoline_kernelINS0_14default_configENS1_27scan_by_key_config_selectorIllEEZZNS1_16scan_by_key_implILNS1_25lookback_scan_determinismE0ELb0ES3_N6thrust23THRUST_200600_302600_NS16reverse_iteratorIPKlEESD_NSA_IPlEElN6hipcub16HIPCUB_304000_NS3MaxENSH_8EqualityElEE10hipError_tPvRmT2_T3_T4_T5_mT6_T7_P12ihipStream_tbENKUlT_T0_E_clISt17integral_constantIbLb1EESZ_IbLb0EEEEDaSV_SW_EUlSV_E_NS1_11comp_targetILNS1_3genE0ELNS1_11target_archE4294967295ELNS1_3gpuE0ELNS1_3repE0EEENS1_30default_config_static_selectorELNS0_4arch9wavefront6targetE0EEEvT1_.has_dyn_sized_stack, 0
	.set _ZN7rocprim17ROCPRIM_400000_NS6detail17trampoline_kernelINS0_14default_configENS1_27scan_by_key_config_selectorIllEEZZNS1_16scan_by_key_implILNS1_25lookback_scan_determinismE0ELb0ES3_N6thrust23THRUST_200600_302600_NS16reverse_iteratorIPKlEESD_NSA_IPlEElN6hipcub16HIPCUB_304000_NS3MaxENSH_8EqualityElEE10hipError_tPvRmT2_T3_T4_T5_mT6_T7_P12ihipStream_tbENKUlT_T0_E_clISt17integral_constantIbLb1EESZ_IbLb0EEEEDaSV_SW_EUlSV_E_NS1_11comp_targetILNS1_3genE0ELNS1_11target_archE4294967295ELNS1_3gpuE0ELNS1_3repE0EEENS1_30default_config_static_selectorELNS0_4arch9wavefront6targetE0EEEvT1_.has_recursion, 0
	.set _ZN7rocprim17ROCPRIM_400000_NS6detail17trampoline_kernelINS0_14default_configENS1_27scan_by_key_config_selectorIllEEZZNS1_16scan_by_key_implILNS1_25lookback_scan_determinismE0ELb0ES3_N6thrust23THRUST_200600_302600_NS16reverse_iteratorIPKlEESD_NSA_IPlEElN6hipcub16HIPCUB_304000_NS3MaxENSH_8EqualityElEE10hipError_tPvRmT2_T3_T4_T5_mT6_T7_P12ihipStream_tbENKUlT_T0_E_clISt17integral_constantIbLb1EESZ_IbLb0EEEEDaSV_SW_EUlSV_E_NS1_11comp_targetILNS1_3genE0ELNS1_11target_archE4294967295ELNS1_3gpuE0ELNS1_3repE0EEENS1_30default_config_static_selectorELNS0_4arch9wavefront6targetE0EEEvT1_.has_indirect_call, 0
	.section	.AMDGPU.csdata,"",@progbits
; Kernel info:
; codeLenInByte = 0
; TotalNumSgprs: 0
; NumVgprs: 0
; ScratchSize: 0
; MemoryBound: 0
; FloatMode: 240
; IeeeMode: 1
; LDSByteSize: 0 bytes/workgroup (compile time only)
; SGPRBlocks: 0
; VGPRBlocks: 0
; NumSGPRsForWavesPerEU: 1
; NumVGPRsForWavesPerEU: 1
; Occupancy: 16
; WaveLimiterHint : 0
; COMPUTE_PGM_RSRC2:SCRATCH_EN: 0
; COMPUTE_PGM_RSRC2:USER_SGPR: 6
; COMPUTE_PGM_RSRC2:TRAP_HANDLER: 0
; COMPUTE_PGM_RSRC2:TGID_X_EN: 1
; COMPUTE_PGM_RSRC2:TGID_Y_EN: 0
; COMPUTE_PGM_RSRC2:TGID_Z_EN: 0
; COMPUTE_PGM_RSRC2:TIDIG_COMP_CNT: 0
	.section	.text._ZN7rocprim17ROCPRIM_400000_NS6detail17trampoline_kernelINS0_14default_configENS1_27scan_by_key_config_selectorIllEEZZNS1_16scan_by_key_implILNS1_25lookback_scan_determinismE0ELb0ES3_N6thrust23THRUST_200600_302600_NS16reverse_iteratorIPKlEESD_NSA_IPlEElN6hipcub16HIPCUB_304000_NS3MaxENSH_8EqualityElEE10hipError_tPvRmT2_T3_T4_T5_mT6_T7_P12ihipStream_tbENKUlT_T0_E_clISt17integral_constantIbLb1EESZ_IbLb0EEEEDaSV_SW_EUlSV_E_NS1_11comp_targetILNS1_3genE10ELNS1_11target_archE1201ELNS1_3gpuE5ELNS1_3repE0EEENS1_30default_config_static_selectorELNS0_4arch9wavefront6targetE0EEEvT1_,"axG",@progbits,_ZN7rocprim17ROCPRIM_400000_NS6detail17trampoline_kernelINS0_14default_configENS1_27scan_by_key_config_selectorIllEEZZNS1_16scan_by_key_implILNS1_25lookback_scan_determinismE0ELb0ES3_N6thrust23THRUST_200600_302600_NS16reverse_iteratorIPKlEESD_NSA_IPlEElN6hipcub16HIPCUB_304000_NS3MaxENSH_8EqualityElEE10hipError_tPvRmT2_T3_T4_T5_mT6_T7_P12ihipStream_tbENKUlT_T0_E_clISt17integral_constantIbLb1EESZ_IbLb0EEEEDaSV_SW_EUlSV_E_NS1_11comp_targetILNS1_3genE10ELNS1_11target_archE1201ELNS1_3gpuE5ELNS1_3repE0EEENS1_30default_config_static_selectorELNS0_4arch9wavefront6targetE0EEEvT1_,comdat
	.protected	_ZN7rocprim17ROCPRIM_400000_NS6detail17trampoline_kernelINS0_14default_configENS1_27scan_by_key_config_selectorIllEEZZNS1_16scan_by_key_implILNS1_25lookback_scan_determinismE0ELb0ES3_N6thrust23THRUST_200600_302600_NS16reverse_iteratorIPKlEESD_NSA_IPlEElN6hipcub16HIPCUB_304000_NS3MaxENSH_8EqualityElEE10hipError_tPvRmT2_T3_T4_T5_mT6_T7_P12ihipStream_tbENKUlT_T0_E_clISt17integral_constantIbLb1EESZ_IbLb0EEEEDaSV_SW_EUlSV_E_NS1_11comp_targetILNS1_3genE10ELNS1_11target_archE1201ELNS1_3gpuE5ELNS1_3repE0EEENS1_30default_config_static_selectorELNS0_4arch9wavefront6targetE0EEEvT1_ ; -- Begin function _ZN7rocprim17ROCPRIM_400000_NS6detail17trampoline_kernelINS0_14default_configENS1_27scan_by_key_config_selectorIllEEZZNS1_16scan_by_key_implILNS1_25lookback_scan_determinismE0ELb0ES3_N6thrust23THRUST_200600_302600_NS16reverse_iteratorIPKlEESD_NSA_IPlEElN6hipcub16HIPCUB_304000_NS3MaxENSH_8EqualityElEE10hipError_tPvRmT2_T3_T4_T5_mT6_T7_P12ihipStream_tbENKUlT_T0_E_clISt17integral_constantIbLb1EESZ_IbLb0EEEEDaSV_SW_EUlSV_E_NS1_11comp_targetILNS1_3genE10ELNS1_11target_archE1201ELNS1_3gpuE5ELNS1_3repE0EEENS1_30default_config_static_selectorELNS0_4arch9wavefront6targetE0EEEvT1_
	.globl	_ZN7rocprim17ROCPRIM_400000_NS6detail17trampoline_kernelINS0_14default_configENS1_27scan_by_key_config_selectorIllEEZZNS1_16scan_by_key_implILNS1_25lookback_scan_determinismE0ELb0ES3_N6thrust23THRUST_200600_302600_NS16reverse_iteratorIPKlEESD_NSA_IPlEElN6hipcub16HIPCUB_304000_NS3MaxENSH_8EqualityElEE10hipError_tPvRmT2_T3_T4_T5_mT6_T7_P12ihipStream_tbENKUlT_T0_E_clISt17integral_constantIbLb1EESZ_IbLb0EEEEDaSV_SW_EUlSV_E_NS1_11comp_targetILNS1_3genE10ELNS1_11target_archE1201ELNS1_3gpuE5ELNS1_3repE0EEENS1_30default_config_static_selectorELNS0_4arch9wavefront6targetE0EEEvT1_
	.p2align	8
	.type	_ZN7rocprim17ROCPRIM_400000_NS6detail17trampoline_kernelINS0_14default_configENS1_27scan_by_key_config_selectorIllEEZZNS1_16scan_by_key_implILNS1_25lookback_scan_determinismE0ELb0ES3_N6thrust23THRUST_200600_302600_NS16reverse_iteratorIPKlEESD_NSA_IPlEElN6hipcub16HIPCUB_304000_NS3MaxENSH_8EqualityElEE10hipError_tPvRmT2_T3_T4_T5_mT6_T7_P12ihipStream_tbENKUlT_T0_E_clISt17integral_constantIbLb1EESZ_IbLb0EEEEDaSV_SW_EUlSV_E_NS1_11comp_targetILNS1_3genE10ELNS1_11target_archE1201ELNS1_3gpuE5ELNS1_3repE0EEENS1_30default_config_static_selectorELNS0_4arch9wavefront6targetE0EEEvT1_,@function
_ZN7rocprim17ROCPRIM_400000_NS6detail17trampoline_kernelINS0_14default_configENS1_27scan_by_key_config_selectorIllEEZZNS1_16scan_by_key_implILNS1_25lookback_scan_determinismE0ELb0ES3_N6thrust23THRUST_200600_302600_NS16reverse_iteratorIPKlEESD_NSA_IPlEElN6hipcub16HIPCUB_304000_NS3MaxENSH_8EqualityElEE10hipError_tPvRmT2_T3_T4_T5_mT6_T7_P12ihipStream_tbENKUlT_T0_E_clISt17integral_constantIbLb1EESZ_IbLb0EEEEDaSV_SW_EUlSV_E_NS1_11comp_targetILNS1_3genE10ELNS1_11target_archE1201ELNS1_3gpuE5ELNS1_3repE0EEENS1_30default_config_static_selectorELNS0_4arch9wavefront6targetE0EEEvT1_: ; @_ZN7rocprim17ROCPRIM_400000_NS6detail17trampoline_kernelINS0_14default_configENS1_27scan_by_key_config_selectorIllEEZZNS1_16scan_by_key_implILNS1_25lookback_scan_determinismE0ELb0ES3_N6thrust23THRUST_200600_302600_NS16reverse_iteratorIPKlEESD_NSA_IPlEElN6hipcub16HIPCUB_304000_NS3MaxENSH_8EqualityElEE10hipError_tPvRmT2_T3_T4_T5_mT6_T7_P12ihipStream_tbENKUlT_T0_E_clISt17integral_constantIbLb1EESZ_IbLb0EEEEDaSV_SW_EUlSV_E_NS1_11comp_targetILNS1_3genE10ELNS1_11target_archE1201ELNS1_3gpuE5ELNS1_3repE0EEENS1_30default_config_static_selectorELNS0_4arch9wavefront6targetE0EEEvT1_
; %bb.0:
	.section	.rodata,"a",@progbits
	.p2align	6, 0x0
	.amdhsa_kernel _ZN7rocprim17ROCPRIM_400000_NS6detail17trampoline_kernelINS0_14default_configENS1_27scan_by_key_config_selectorIllEEZZNS1_16scan_by_key_implILNS1_25lookback_scan_determinismE0ELb0ES3_N6thrust23THRUST_200600_302600_NS16reverse_iteratorIPKlEESD_NSA_IPlEElN6hipcub16HIPCUB_304000_NS3MaxENSH_8EqualityElEE10hipError_tPvRmT2_T3_T4_T5_mT6_T7_P12ihipStream_tbENKUlT_T0_E_clISt17integral_constantIbLb1EESZ_IbLb0EEEEDaSV_SW_EUlSV_E_NS1_11comp_targetILNS1_3genE10ELNS1_11target_archE1201ELNS1_3gpuE5ELNS1_3repE0EEENS1_30default_config_static_selectorELNS0_4arch9wavefront6targetE0EEEvT1_
		.amdhsa_group_segment_fixed_size 0
		.amdhsa_private_segment_fixed_size 0
		.amdhsa_kernarg_size 136
		.amdhsa_user_sgpr_count 6
		.amdhsa_user_sgpr_private_segment_buffer 1
		.amdhsa_user_sgpr_dispatch_ptr 0
		.amdhsa_user_sgpr_queue_ptr 0
		.amdhsa_user_sgpr_kernarg_segment_ptr 1
		.amdhsa_user_sgpr_dispatch_id 0
		.amdhsa_user_sgpr_flat_scratch_init 0
		.amdhsa_user_sgpr_private_segment_size 0
		.amdhsa_wavefront_size32 1
		.amdhsa_uses_dynamic_stack 0
		.amdhsa_system_sgpr_private_segment_wavefront_offset 0
		.amdhsa_system_sgpr_workgroup_id_x 1
		.amdhsa_system_sgpr_workgroup_id_y 0
		.amdhsa_system_sgpr_workgroup_id_z 0
		.amdhsa_system_sgpr_workgroup_info 0
		.amdhsa_system_vgpr_workitem_id 0
		.amdhsa_next_free_vgpr 1
		.amdhsa_next_free_sgpr 1
		.amdhsa_reserve_vcc 0
		.amdhsa_reserve_flat_scratch 0
		.amdhsa_float_round_mode_32 0
		.amdhsa_float_round_mode_16_64 0
		.amdhsa_float_denorm_mode_32 3
		.amdhsa_float_denorm_mode_16_64 3
		.amdhsa_dx10_clamp 1
		.amdhsa_ieee_mode 1
		.amdhsa_fp16_overflow 0
		.amdhsa_workgroup_processor_mode 1
		.amdhsa_memory_ordered 1
		.amdhsa_forward_progress 1
		.amdhsa_shared_vgpr_count 0
		.amdhsa_exception_fp_ieee_invalid_op 0
		.amdhsa_exception_fp_denorm_src 0
		.amdhsa_exception_fp_ieee_div_zero 0
		.amdhsa_exception_fp_ieee_overflow 0
		.amdhsa_exception_fp_ieee_underflow 0
		.amdhsa_exception_fp_ieee_inexact 0
		.amdhsa_exception_int_div_zero 0
	.end_amdhsa_kernel
	.section	.text._ZN7rocprim17ROCPRIM_400000_NS6detail17trampoline_kernelINS0_14default_configENS1_27scan_by_key_config_selectorIllEEZZNS1_16scan_by_key_implILNS1_25lookback_scan_determinismE0ELb0ES3_N6thrust23THRUST_200600_302600_NS16reverse_iteratorIPKlEESD_NSA_IPlEElN6hipcub16HIPCUB_304000_NS3MaxENSH_8EqualityElEE10hipError_tPvRmT2_T3_T4_T5_mT6_T7_P12ihipStream_tbENKUlT_T0_E_clISt17integral_constantIbLb1EESZ_IbLb0EEEEDaSV_SW_EUlSV_E_NS1_11comp_targetILNS1_3genE10ELNS1_11target_archE1201ELNS1_3gpuE5ELNS1_3repE0EEENS1_30default_config_static_selectorELNS0_4arch9wavefront6targetE0EEEvT1_,"axG",@progbits,_ZN7rocprim17ROCPRIM_400000_NS6detail17trampoline_kernelINS0_14default_configENS1_27scan_by_key_config_selectorIllEEZZNS1_16scan_by_key_implILNS1_25lookback_scan_determinismE0ELb0ES3_N6thrust23THRUST_200600_302600_NS16reverse_iteratorIPKlEESD_NSA_IPlEElN6hipcub16HIPCUB_304000_NS3MaxENSH_8EqualityElEE10hipError_tPvRmT2_T3_T4_T5_mT6_T7_P12ihipStream_tbENKUlT_T0_E_clISt17integral_constantIbLb1EESZ_IbLb0EEEEDaSV_SW_EUlSV_E_NS1_11comp_targetILNS1_3genE10ELNS1_11target_archE1201ELNS1_3gpuE5ELNS1_3repE0EEENS1_30default_config_static_selectorELNS0_4arch9wavefront6targetE0EEEvT1_,comdat
.Lfunc_end158:
	.size	_ZN7rocprim17ROCPRIM_400000_NS6detail17trampoline_kernelINS0_14default_configENS1_27scan_by_key_config_selectorIllEEZZNS1_16scan_by_key_implILNS1_25lookback_scan_determinismE0ELb0ES3_N6thrust23THRUST_200600_302600_NS16reverse_iteratorIPKlEESD_NSA_IPlEElN6hipcub16HIPCUB_304000_NS3MaxENSH_8EqualityElEE10hipError_tPvRmT2_T3_T4_T5_mT6_T7_P12ihipStream_tbENKUlT_T0_E_clISt17integral_constantIbLb1EESZ_IbLb0EEEEDaSV_SW_EUlSV_E_NS1_11comp_targetILNS1_3genE10ELNS1_11target_archE1201ELNS1_3gpuE5ELNS1_3repE0EEENS1_30default_config_static_selectorELNS0_4arch9wavefront6targetE0EEEvT1_, .Lfunc_end158-_ZN7rocprim17ROCPRIM_400000_NS6detail17trampoline_kernelINS0_14default_configENS1_27scan_by_key_config_selectorIllEEZZNS1_16scan_by_key_implILNS1_25lookback_scan_determinismE0ELb0ES3_N6thrust23THRUST_200600_302600_NS16reverse_iteratorIPKlEESD_NSA_IPlEElN6hipcub16HIPCUB_304000_NS3MaxENSH_8EqualityElEE10hipError_tPvRmT2_T3_T4_T5_mT6_T7_P12ihipStream_tbENKUlT_T0_E_clISt17integral_constantIbLb1EESZ_IbLb0EEEEDaSV_SW_EUlSV_E_NS1_11comp_targetILNS1_3genE10ELNS1_11target_archE1201ELNS1_3gpuE5ELNS1_3repE0EEENS1_30default_config_static_selectorELNS0_4arch9wavefront6targetE0EEEvT1_
                                        ; -- End function
	.set _ZN7rocprim17ROCPRIM_400000_NS6detail17trampoline_kernelINS0_14default_configENS1_27scan_by_key_config_selectorIllEEZZNS1_16scan_by_key_implILNS1_25lookback_scan_determinismE0ELb0ES3_N6thrust23THRUST_200600_302600_NS16reverse_iteratorIPKlEESD_NSA_IPlEElN6hipcub16HIPCUB_304000_NS3MaxENSH_8EqualityElEE10hipError_tPvRmT2_T3_T4_T5_mT6_T7_P12ihipStream_tbENKUlT_T0_E_clISt17integral_constantIbLb1EESZ_IbLb0EEEEDaSV_SW_EUlSV_E_NS1_11comp_targetILNS1_3genE10ELNS1_11target_archE1201ELNS1_3gpuE5ELNS1_3repE0EEENS1_30default_config_static_selectorELNS0_4arch9wavefront6targetE0EEEvT1_.num_vgpr, 0
	.set _ZN7rocprim17ROCPRIM_400000_NS6detail17trampoline_kernelINS0_14default_configENS1_27scan_by_key_config_selectorIllEEZZNS1_16scan_by_key_implILNS1_25lookback_scan_determinismE0ELb0ES3_N6thrust23THRUST_200600_302600_NS16reverse_iteratorIPKlEESD_NSA_IPlEElN6hipcub16HIPCUB_304000_NS3MaxENSH_8EqualityElEE10hipError_tPvRmT2_T3_T4_T5_mT6_T7_P12ihipStream_tbENKUlT_T0_E_clISt17integral_constantIbLb1EESZ_IbLb0EEEEDaSV_SW_EUlSV_E_NS1_11comp_targetILNS1_3genE10ELNS1_11target_archE1201ELNS1_3gpuE5ELNS1_3repE0EEENS1_30default_config_static_selectorELNS0_4arch9wavefront6targetE0EEEvT1_.num_agpr, 0
	.set _ZN7rocprim17ROCPRIM_400000_NS6detail17trampoline_kernelINS0_14default_configENS1_27scan_by_key_config_selectorIllEEZZNS1_16scan_by_key_implILNS1_25lookback_scan_determinismE0ELb0ES3_N6thrust23THRUST_200600_302600_NS16reverse_iteratorIPKlEESD_NSA_IPlEElN6hipcub16HIPCUB_304000_NS3MaxENSH_8EqualityElEE10hipError_tPvRmT2_T3_T4_T5_mT6_T7_P12ihipStream_tbENKUlT_T0_E_clISt17integral_constantIbLb1EESZ_IbLb0EEEEDaSV_SW_EUlSV_E_NS1_11comp_targetILNS1_3genE10ELNS1_11target_archE1201ELNS1_3gpuE5ELNS1_3repE0EEENS1_30default_config_static_selectorELNS0_4arch9wavefront6targetE0EEEvT1_.numbered_sgpr, 0
	.set _ZN7rocprim17ROCPRIM_400000_NS6detail17trampoline_kernelINS0_14default_configENS1_27scan_by_key_config_selectorIllEEZZNS1_16scan_by_key_implILNS1_25lookback_scan_determinismE0ELb0ES3_N6thrust23THRUST_200600_302600_NS16reverse_iteratorIPKlEESD_NSA_IPlEElN6hipcub16HIPCUB_304000_NS3MaxENSH_8EqualityElEE10hipError_tPvRmT2_T3_T4_T5_mT6_T7_P12ihipStream_tbENKUlT_T0_E_clISt17integral_constantIbLb1EESZ_IbLb0EEEEDaSV_SW_EUlSV_E_NS1_11comp_targetILNS1_3genE10ELNS1_11target_archE1201ELNS1_3gpuE5ELNS1_3repE0EEENS1_30default_config_static_selectorELNS0_4arch9wavefront6targetE0EEEvT1_.num_named_barrier, 0
	.set _ZN7rocprim17ROCPRIM_400000_NS6detail17trampoline_kernelINS0_14default_configENS1_27scan_by_key_config_selectorIllEEZZNS1_16scan_by_key_implILNS1_25lookback_scan_determinismE0ELb0ES3_N6thrust23THRUST_200600_302600_NS16reverse_iteratorIPKlEESD_NSA_IPlEElN6hipcub16HIPCUB_304000_NS3MaxENSH_8EqualityElEE10hipError_tPvRmT2_T3_T4_T5_mT6_T7_P12ihipStream_tbENKUlT_T0_E_clISt17integral_constantIbLb1EESZ_IbLb0EEEEDaSV_SW_EUlSV_E_NS1_11comp_targetILNS1_3genE10ELNS1_11target_archE1201ELNS1_3gpuE5ELNS1_3repE0EEENS1_30default_config_static_selectorELNS0_4arch9wavefront6targetE0EEEvT1_.private_seg_size, 0
	.set _ZN7rocprim17ROCPRIM_400000_NS6detail17trampoline_kernelINS0_14default_configENS1_27scan_by_key_config_selectorIllEEZZNS1_16scan_by_key_implILNS1_25lookback_scan_determinismE0ELb0ES3_N6thrust23THRUST_200600_302600_NS16reverse_iteratorIPKlEESD_NSA_IPlEElN6hipcub16HIPCUB_304000_NS3MaxENSH_8EqualityElEE10hipError_tPvRmT2_T3_T4_T5_mT6_T7_P12ihipStream_tbENKUlT_T0_E_clISt17integral_constantIbLb1EESZ_IbLb0EEEEDaSV_SW_EUlSV_E_NS1_11comp_targetILNS1_3genE10ELNS1_11target_archE1201ELNS1_3gpuE5ELNS1_3repE0EEENS1_30default_config_static_selectorELNS0_4arch9wavefront6targetE0EEEvT1_.uses_vcc, 0
	.set _ZN7rocprim17ROCPRIM_400000_NS6detail17trampoline_kernelINS0_14default_configENS1_27scan_by_key_config_selectorIllEEZZNS1_16scan_by_key_implILNS1_25lookback_scan_determinismE0ELb0ES3_N6thrust23THRUST_200600_302600_NS16reverse_iteratorIPKlEESD_NSA_IPlEElN6hipcub16HIPCUB_304000_NS3MaxENSH_8EqualityElEE10hipError_tPvRmT2_T3_T4_T5_mT6_T7_P12ihipStream_tbENKUlT_T0_E_clISt17integral_constantIbLb1EESZ_IbLb0EEEEDaSV_SW_EUlSV_E_NS1_11comp_targetILNS1_3genE10ELNS1_11target_archE1201ELNS1_3gpuE5ELNS1_3repE0EEENS1_30default_config_static_selectorELNS0_4arch9wavefront6targetE0EEEvT1_.uses_flat_scratch, 0
	.set _ZN7rocprim17ROCPRIM_400000_NS6detail17trampoline_kernelINS0_14default_configENS1_27scan_by_key_config_selectorIllEEZZNS1_16scan_by_key_implILNS1_25lookback_scan_determinismE0ELb0ES3_N6thrust23THRUST_200600_302600_NS16reverse_iteratorIPKlEESD_NSA_IPlEElN6hipcub16HIPCUB_304000_NS3MaxENSH_8EqualityElEE10hipError_tPvRmT2_T3_T4_T5_mT6_T7_P12ihipStream_tbENKUlT_T0_E_clISt17integral_constantIbLb1EESZ_IbLb0EEEEDaSV_SW_EUlSV_E_NS1_11comp_targetILNS1_3genE10ELNS1_11target_archE1201ELNS1_3gpuE5ELNS1_3repE0EEENS1_30default_config_static_selectorELNS0_4arch9wavefront6targetE0EEEvT1_.has_dyn_sized_stack, 0
	.set _ZN7rocprim17ROCPRIM_400000_NS6detail17trampoline_kernelINS0_14default_configENS1_27scan_by_key_config_selectorIllEEZZNS1_16scan_by_key_implILNS1_25lookback_scan_determinismE0ELb0ES3_N6thrust23THRUST_200600_302600_NS16reverse_iteratorIPKlEESD_NSA_IPlEElN6hipcub16HIPCUB_304000_NS3MaxENSH_8EqualityElEE10hipError_tPvRmT2_T3_T4_T5_mT6_T7_P12ihipStream_tbENKUlT_T0_E_clISt17integral_constantIbLb1EESZ_IbLb0EEEEDaSV_SW_EUlSV_E_NS1_11comp_targetILNS1_3genE10ELNS1_11target_archE1201ELNS1_3gpuE5ELNS1_3repE0EEENS1_30default_config_static_selectorELNS0_4arch9wavefront6targetE0EEEvT1_.has_recursion, 0
	.set _ZN7rocprim17ROCPRIM_400000_NS6detail17trampoline_kernelINS0_14default_configENS1_27scan_by_key_config_selectorIllEEZZNS1_16scan_by_key_implILNS1_25lookback_scan_determinismE0ELb0ES3_N6thrust23THRUST_200600_302600_NS16reverse_iteratorIPKlEESD_NSA_IPlEElN6hipcub16HIPCUB_304000_NS3MaxENSH_8EqualityElEE10hipError_tPvRmT2_T3_T4_T5_mT6_T7_P12ihipStream_tbENKUlT_T0_E_clISt17integral_constantIbLb1EESZ_IbLb0EEEEDaSV_SW_EUlSV_E_NS1_11comp_targetILNS1_3genE10ELNS1_11target_archE1201ELNS1_3gpuE5ELNS1_3repE0EEENS1_30default_config_static_selectorELNS0_4arch9wavefront6targetE0EEEvT1_.has_indirect_call, 0
	.section	.AMDGPU.csdata,"",@progbits
; Kernel info:
; codeLenInByte = 0
; TotalNumSgprs: 0
; NumVgprs: 0
; ScratchSize: 0
; MemoryBound: 0
; FloatMode: 240
; IeeeMode: 1
; LDSByteSize: 0 bytes/workgroup (compile time only)
; SGPRBlocks: 0
; VGPRBlocks: 0
; NumSGPRsForWavesPerEU: 1
; NumVGPRsForWavesPerEU: 1
; Occupancy: 16
; WaveLimiterHint : 0
; COMPUTE_PGM_RSRC2:SCRATCH_EN: 0
; COMPUTE_PGM_RSRC2:USER_SGPR: 6
; COMPUTE_PGM_RSRC2:TRAP_HANDLER: 0
; COMPUTE_PGM_RSRC2:TGID_X_EN: 1
; COMPUTE_PGM_RSRC2:TGID_Y_EN: 0
; COMPUTE_PGM_RSRC2:TGID_Z_EN: 0
; COMPUTE_PGM_RSRC2:TIDIG_COMP_CNT: 0
	.section	.text._ZN7rocprim17ROCPRIM_400000_NS6detail17trampoline_kernelINS0_14default_configENS1_27scan_by_key_config_selectorIllEEZZNS1_16scan_by_key_implILNS1_25lookback_scan_determinismE0ELb0ES3_N6thrust23THRUST_200600_302600_NS16reverse_iteratorIPKlEESD_NSA_IPlEElN6hipcub16HIPCUB_304000_NS3MaxENSH_8EqualityElEE10hipError_tPvRmT2_T3_T4_T5_mT6_T7_P12ihipStream_tbENKUlT_T0_E_clISt17integral_constantIbLb1EESZ_IbLb0EEEEDaSV_SW_EUlSV_E_NS1_11comp_targetILNS1_3genE5ELNS1_11target_archE942ELNS1_3gpuE9ELNS1_3repE0EEENS1_30default_config_static_selectorELNS0_4arch9wavefront6targetE0EEEvT1_,"axG",@progbits,_ZN7rocprim17ROCPRIM_400000_NS6detail17trampoline_kernelINS0_14default_configENS1_27scan_by_key_config_selectorIllEEZZNS1_16scan_by_key_implILNS1_25lookback_scan_determinismE0ELb0ES3_N6thrust23THRUST_200600_302600_NS16reverse_iteratorIPKlEESD_NSA_IPlEElN6hipcub16HIPCUB_304000_NS3MaxENSH_8EqualityElEE10hipError_tPvRmT2_T3_T4_T5_mT6_T7_P12ihipStream_tbENKUlT_T0_E_clISt17integral_constantIbLb1EESZ_IbLb0EEEEDaSV_SW_EUlSV_E_NS1_11comp_targetILNS1_3genE5ELNS1_11target_archE942ELNS1_3gpuE9ELNS1_3repE0EEENS1_30default_config_static_selectorELNS0_4arch9wavefront6targetE0EEEvT1_,comdat
	.protected	_ZN7rocprim17ROCPRIM_400000_NS6detail17trampoline_kernelINS0_14default_configENS1_27scan_by_key_config_selectorIllEEZZNS1_16scan_by_key_implILNS1_25lookback_scan_determinismE0ELb0ES3_N6thrust23THRUST_200600_302600_NS16reverse_iteratorIPKlEESD_NSA_IPlEElN6hipcub16HIPCUB_304000_NS3MaxENSH_8EqualityElEE10hipError_tPvRmT2_T3_T4_T5_mT6_T7_P12ihipStream_tbENKUlT_T0_E_clISt17integral_constantIbLb1EESZ_IbLb0EEEEDaSV_SW_EUlSV_E_NS1_11comp_targetILNS1_3genE5ELNS1_11target_archE942ELNS1_3gpuE9ELNS1_3repE0EEENS1_30default_config_static_selectorELNS0_4arch9wavefront6targetE0EEEvT1_ ; -- Begin function _ZN7rocprim17ROCPRIM_400000_NS6detail17trampoline_kernelINS0_14default_configENS1_27scan_by_key_config_selectorIllEEZZNS1_16scan_by_key_implILNS1_25lookback_scan_determinismE0ELb0ES3_N6thrust23THRUST_200600_302600_NS16reverse_iteratorIPKlEESD_NSA_IPlEElN6hipcub16HIPCUB_304000_NS3MaxENSH_8EqualityElEE10hipError_tPvRmT2_T3_T4_T5_mT6_T7_P12ihipStream_tbENKUlT_T0_E_clISt17integral_constantIbLb1EESZ_IbLb0EEEEDaSV_SW_EUlSV_E_NS1_11comp_targetILNS1_3genE5ELNS1_11target_archE942ELNS1_3gpuE9ELNS1_3repE0EEENS1_30default_config_static_selectorELNS0_4arch9wavefront6targetE0EEEvT1_
	.globl	_ZN7rocprim17ROCPRIM_400000_NS6detail17trampoline_kernelINS0_14default_configENS1_27scan_by_key_config_selectorIllEEZZNS1_16scan_by_key_implILNS1_25lookback_scan_determinismE0ELb0ES3_N6thrust23THRUST_200600_302600_NS16reverse_iteratorIPKlEESD_NSA_IPlEElN6hipcub16HIPCUB_304000_NS3MaxENSH_8EqualityElEE10hipError_tPvRmT2_T3_T4_T5_mT6_T7_P12ihipStream_tbENKUlT_T0_E_clISt17integral_constantIbLb1EESZ_IbLb0EEEEDaSV_SW_EUlSV_E_NS1_11comp_targetILNS1_3genE5ELNS1_11target_archE942ELNS1_3gpuE9ELNS1_3repE0EEENS1_30default_config_static_selectorELNS0_4arch9wavefront6targetE0EEEvT1_
	.p2align	8
	.type	_ZN7rocprim17ROCPRIM_400000_NS6detail17trampoline_kernelINS0_14default_configENS1_27scan_by_key_config_selectorIllEEZZNS1_16scan_by_key_implILNS1_25lookback_scan_determinismE0ELb0ES3_N6thrust23THRUST_200600_302600_NS16reverse_iteratorIPKlEESD_NSA_IPlEElN6hipcub16HIPCUB_304000_NS3MaxENSH_8EqualityElEE10hipError_tPvRmT2_T3_T4_T5_mT6_T7_P12ihipStream_tbENKUlT_T0_E_clISt17integral_constantIbLb1EESZ_IbLb0EEEEDaSV_SW_EUlSV_E_NS1_11comp_targetILNS1_3genE5ELNS1_11target_archE942ELNS1_3gpuE9ELNS1_3repE0EEENS1_30default_config_static_selectorELNS0_4arch9wavefront6targetE0EEEvT1_,@function
_ZN7rocprim17ROCPRIM_400000_NS6detail17trampoline_kernelINS0_14default_configENS1_27scan_by_key_config_selectorIllEEZZNS1_16scan_by_key_implILNS1_25lookback_scan_determinismE0ELb0ES3_N6thrust23THRUST_200600_302600_NS16reverse_iteratorIPKlEESD_NSA_IPlEElN6hipcub16HIPCUB_304000_NS3MaxENSH_8EqualityElEE10hipError_tPvRmT2_T3_T4_T5_mT6_T7_P12ihipStream_tbENKUlT_T0_E_clISt17integral_constantIbLb1EESZ_IbLb0EEEEDaSV_SW_EUlSV_E_NS1_11comp_targetILNS1_3genE5ELNS1_11target_archE942ELNS1_3gpuE9ELNS1_3repE0EEENS1_30default_config_static_selectorELNS0_4arch9wavefront6targetE0EEEvT1_: ; @_ZN7rocprim17ROCPRIM_400000_NS6detail17trampoline_kernelINS0_14default_configENS1_27scan_by_key_config_selectorIllEEZZNS1_16scan_by_key_implILNS1_25lookback_scan_determinismE0ELb0ES3_N6thrust23THRUST_200600_302600_NS16reverse_iteratorIPKlEESD_NSA_IPlEElN6hipcub16HIPCUB_304000_NS3MaxENSH_8EqualityElEE10hipError_tPvRmT2_T3_T4_T5_mT6_T7_P12ihipStream_tbENKUlT_T0_E_clISt17integral_constantIbLb1EESZ_IbLb0EEEEDaSV_SW_EUlSV_E_NS1_11comp_targetILNS1_3genE5ELNS1_11target_archE942ELNS1_3gpuE9ELNS1_3repE0EEENS1_30default_config_static_selectorELNS0_4arch9wavefront6targetE0EEEvT1_
; %bb.0:
	.section	.rodata,"a",@progbits
	.p2align	6, 0x0
	.amdhsa_kernel _ZN7rocprim17ROCPRIM_400000_NS6detail17trampoline_kernelINS0_14default_configENS1_27scan_by_key_config_selectorIllEEZZNS1_16scan_by_key_implILNS1_25lookback_scan_determinismE0ELb0ES3_N6thrust23THRUST_200600_302600_NS16reverse_iteratorIPKlEESD_NSA_IPlEElN6hipcub16HIPCUB_304000_NS3MaxENSH_8EqualityElEE10hipError_tPvRmT2_T3_T4_T5_mT6_T7_P12ihipStream_tbENKUlT_T0_E_clISt17integral_constantIbLb1EESZ_IbLb0EEEEDaSV_SW_EUlSV_E_NS1_11comp_targetILNS1_3genE5ELNS1_11target_archE942ELNS1_3gpuE9ELNS1_3repE0EEENS1_30default_config_static_selectorELNS0_4arch9wavefront6targetE0EEEvT1_
		.amdhsa_group_segment_fixed_size 0
		.amdhsa_private_segment_fixed_size 0
		.amdhsa_kernarg_size 136
		.amdhsa_user_sgpr_count 6
		.amdhsa_user_sgpr_private_segment_buffer 1
		.amdhsa_user_sgpr_dispatch_ptr 0
		.amdhsa_user_sgpr_queue_ptr 0
		.amdhsa_user_sgpr_kernarg_segment_ptr 1
		.amdhsa_user_sgpr_dispatch_id 0
		.amdhsa_user_sgpr_flat_scratch_init 0
		.amdhsa_user_sgpr_private_segment_size 0
		.amdhsa_wavefront_size32 1
		.amdhsa_uses_dynamic_stack 0
		.amdhsa_system_sgpr_private_segment_wavefront_offset 0
		.amdhsa_system_sgpr_workgroup_id_x 1
		.amdhsa_system_sgpr_workgroup_id_y 0
		.amdhsa_system_sgpr_workgroup_id_z 0
		.amdhsa_system_sgpr_workgroup_info 0
		.amdhsa_system_vgpr_workitem_id 0
		.amdhsa_next_free_vgpr 1
		.amdhsa_next_free_sgpr 1
		.amdhsa_reserve_vcc 0
		.amdhsa_reserve_flat_scratch 0
		.amdhsa_float_round_mode_32 0
		.amdhsa_float_round_mode_16_64 0
		.amdhsa_float_denorm_mode_32 3
		.amdhsa_float_denorm_mode_16_64 3
		.amdhsa_dx10_clamp 1
		.amdhsa_ieee_mode 1
		.amdhsa_fp16_overflow 0
		.amdhsa_workgroup_processor_mode 1
		.amdhsa_memory_ordered 1
		.amdhsa_forward_progress 1
		.amdhsa_shared_vgpr_count 0
		.amdhsa_exception_fp_ieee_invalid_op 0
		.amdhsa_exception_fp_denorm_src 0
		.amdhsa_exception_fp_ieee_div_zero 0
		.amdhsa_exception_fp_ieee_overflow 0
		.amdhsa_exception_fp_ieee_underflow 0
		.amdhsa_exception_fp_ieee_inexact 0
		.amdhsa_exception_int_div_zero 0
	.end_amdhsa_kernel
	.section	.text._ZN7rocprim17ROCPRIM_400000_NS6detail17trampoline_kernelINS0_14default_configENS1_27scan_by_key_config_selectorIllEEZZNS1_16scan_by_key_implILNS1_25lookback_scan_determinismE0ELb0ES3_N6thrust23THRUST_200600_302600_NS16reverse_iteratorIPKlEESD_NSA_IPlEElN6hipcub16HIPCUB_304000_NS3MaxENSH_8EqualityElEE10hipError_tPvRmT2_T3_T4_T5_mT6_T7_P12ihipStream_tbENKUlT_T0_E_clISt17integral_constantIbLb1EESZ_IbLb0EEEEDaSV_SW_EUlSV_E_NS1_11comp_targetILNS1_3genE5ELNS1_11target_archE942ELNS1_3gpuE9ELNS1_3repE0EEENS1_30default_config_static_selectorELNS0_4arch9wavefront6targetE0EEEvT1_,"axG",@progbits,_ZN7rocprim17ROCPRIM_400000_NS6detail17trampoline_kernelINS0_14default_configENS1_27scan_by_key_config_selectorIllEEZZNS1_16scan_by_key_implILNS1_25lookback_scan_determinismE0ELb0ES3_N6thrust23THRUST_200600_302600_NS16reverse_iteratorIPKlEESD_NSA_IPlEElN6hipcub16HIPCUB_304000_NS3MaxENSH_8EqualityElEE10hipError_tPvRmT2_T3_T4_T5_mT6_T7_P12ihipStream_tbENKUlT_T0_E_clISt17integral_constantIbLb1EESZ_IbLb0EEEEDaSV_SW_EUlSV_E_NS1_11comp_targetILNS1_3genE5ELNS1_11target_archE942ELNS1_3gpuE9ELNS1_3repE0EEENS1_30default_config_static_selectorELNS0_4arch9wavefront6targetE0EEEvT1_,comdat
.Lfunc_end159:
	.size	_ZN7rocprim17ROCPRIM_400000_NS6detail17trampoline_kernelINS0_14default_configENS1_27scan_by_key_config_selectorIllEEZZNS1_16scan_by_key_implILNS1_25lookback_scan_determinismE0ELb0ES3_N6thrust23THRUST_200600_302600_NS16reverse_iteratorIPKlEESD_NSA_IPlEElN6hipcub16HIPCUB_304000_NS3MaxENSH_8EqualityElEE10hipError_tPvRmT2_T3_T4_T5_mT6_T7_P12ihipStream_tbENKUlT_T0_E_clISt17integral_constantIbLb1EESZ_IbLb0EEEEDaSV_SW_EUlSV_E_NS1_11comp_targetILNS1_3genE5ELNS1_11target_archE942ELNS1_3gpuE9ELNS1_3repE0EEENS1_30default_config_static_selectorELNS0_4arch9wavefront6targetE0EEEvT1_, .Lfunc_end159-_ZN7rocprim17ROCPRIM_400000_NS6detail17trampoline_kernelINS0_14default_configENS1_27scan_by_key_config_selectorIllEEZZNS1_16scan_by_key_implILNS1_25lookback_scan_determinismE0ELb0ES3_N6thrust23THRUST_200600_302600_NS16reverse_iteratorIPKlEESD_NSA_IPlEElN6hipcub16HIPCUB_304000_NS3MaxENSH_8EqualityElEE10hipError_tPvRmT2_T3_T4_T5_mT6_T7_P12ihipStream_tbENKUlT_T0_E_clISt17integral_constantIbLb1EESZ_IbLb0EEEEDaSV_SW_EUlSV_E_NS1_11comp_targetILNS1_3genE5ELNS1_11target_archE942ELNS1_3gpuE9ELNS1_3repE0EEENS1_30default_config_static_selectorELNS0_4arch9wavefront6targetE0EEEvT1_
                                        ; -- End function
	.set _ZN7rocprim17ROCPRIM_400000_NS6detail17trampoline_kernelINS0_14default_configENS1_27scan_by_key_config_selectorIllEEZZNS1_16scan_by_key_implILNS1_25lookback_scan_determinismE0ELb0ES3_N6thrust23THRUST_200600_302600_NS16reverse_iteratorIPKlEESD_NSA_IPlEElN6hipcub16HIPCUB_304000_NS3MaxENSH_8EqualityElEE10hipError_tPvRmT2_T3_T4_T5_mT6_T7_P12ihipStream_tbENKUlT_T0_E_clISt17integral_constantIbLb1EESZ_IbLb0EEEEDaSV_SW_EUlSV_E_NS1_11comp_targetILNS1_3genE5ELNS1_11target_archE942ELNS1_3gpuE9ELNS1_3repE0EEENS1_30default_config_static_selectorELNS0_4arch9wavefront6targetE0EEEvT1_.num_vgpr, 0
	.set _ZN7rocprim17ROCPRIM_400000_NS6detail17trampoline_kernelINS0_14default_configENS1_27scan_by_key_config_selectorIllEEZZNS1_16scan_by_key_implILNS1_25lookback_scan_determinismE0ELb0ES3_N6thrust23THRUST_200600_302600_NS16reverse_iteratorIPKlEESD_NSA_IPlEElN6hipcub16HIPCUB_304000_NS3MaxENSH_8EqualityElEE10hipError_tPvRmT2_T3_T4_T5_mT6_T7_P12ihipStream_tbENKUlT_T0_E_clISt17integral_constantIbLb1EESZ_IbLb0EEEEDaSV_SW_EUlSV_E_NS1_11comp_targetILNS1_3genE5ELNS1_11target_archE942ELNS1_3gpuE9ELNS1_3repE0EEENS1_30default_config_static_selectorELNS0_4arch9wavefront6targetE0EEEvT1_.num_agpr, 0
	.set _ZN7rocprim17ROCPRIM_400000_NS6detail17trampoline_kernelINS0_14default_configENS1_27scan_by_key_config_selectorIllEEZZNS1_16scan_by_key_implILNS1_25lookback_scan_determinismE0ELb0ES3_N6thrust23THRUST_200600_302600_NS16reverse_iteratorIPKlEESD_NSA_IPlEElN6hipcub16HIPCUB_304000_NS3MaxENSH_8EqualityElEE10hipError_tPvRmT2_T3_T4_T5_mT6_T7_P12ihipStream_tbENKUlT_T0_E_clISt17integral_constantIbLb1EESZ_IbLb0EEEEDaSV_SW_EUlSV_E_NS1_11comp_targetILNS1_3genE5ELNS1_11target_archE942ELNS1_3gpuE9ELNS1_3repE0EEENS1_30default_config_static_selectorELNS0_4arch9wavefront6targetE0EEEvT1_.numbered_sgpr, 0
	.set _ZN7rocprim17ROCPRIM_400000_NS6detail17trampoline_kernelINS0_14default_configENS1_27scan_by_key_config_selectorIllEEZZNS1_16scan_by_key_implILNS1_25lookback_scan_determinismE0ELb0ES3_N6thrust23THRUST_200600_302600_NS16reverse_iteratorIPKlEESD_NSA_IPlEElN6hipcub16HIPCUB_304000_NS3MaxENSH_8EqualityElEE10hipError_tPvRmT2_T3_T4_T5_mT6_T7_P12ihipStream_tbENKUlT_T0_E_clISt17integral_constantIbLb1EESZ_IbLb0EEEEDaSV_SW_EUlSV_E_NS1_11comp_targetILNS1_3genE5ELNS1_11target_archE942ELNS1_3gpuE9ELNS1_3repE0EEENS1_30default_config_static_selectorELNS0_4arch9wavefront6targetE0EEEvT1_.num_named_barrier, 0
	.set _ZN7rocprim17ROCPRIM_400000_NS6detail17trampoline_kernelINS0_14default_configENS1_27scan_by_key_config_selectorIllEEZZNS1_16scan_by_key_implILNS1_25lookback_scan_determinismE0ELb0ES3_N6thrust23THRUST_200600_302600_NS16reverse_iteratorIPKlEESD_NSA_IPlEElN6hipcub16HIPCUB_304000_NS3MaxENSH_8EqualityElEE10hipError_tPvRmT2_T3_T4_T5_mT6_T7_P12ihipStream_tbENKUlT_T0_E_clISt17integral_constantIbLb1EESZ_IbLb0EEEEDaSV_SW_EUlSV_E_NS1_11comp_targetILNS1_3genE5ELNS1_11target_archE942ELNS1_3gpuE9ELNS1_3repE0EEENS1_30default_config_static_selectorELNS0_4arch9wavefront6targetE0EEEvT1_.private_seg_size, 0
	.set _ZN7rocprim17ROCPRIM_400000_NS6detail17trampoline_kernelINS0_14default_configENS1_27scan_by_key_config_selectorIllEEZZNS1_16scan_by_key_implILNS1_25lookback_scan_determinismE0ELb0ES3_N6thrust23THRUST_200600_302600_NS16reverse_iteratorIPKlEESD_NSA_IPlEElN6hipcub16HIPCUB_304000_NS3MaxENSH_8EqualityElEE10hipError_tPvRmT2_T3_T4_T5_mT6_T7_P12ihipStream_tbENKUlT_T0_E_clISt17integral_constantIbLb1EESZ_IbLb0EEEEDaSV_SW_EUlSV_E_NS1_11comp_targetILNS1_3genE5ELNS1_11target_archE942ELNS1_3gpuE9ELNS1_3repE0EEENS1_30default_config_static_selectorELNS0_4arch9wavefront6targetE0EEEvT1_.uses_vcc, 0
	.set _ZN7rocprim17ROCPRIM_400000_NS6detail17trampoline_kernelINS0_14default_configENS1_27scan_by_key_config_selectorIllEEZZNS1_16scan_by_key_implILNS1_25lookback_scan_determinismE0ELb0ES3_N6thrust23THRUST_200600_302600_NS16reverse_iteratorIPKlEESD_NSA_IPlEElN6hipcub16HIPCUB_304000_NS3MaxENSH_8EqualityElEE10hipError_tPvRmT2_T3_T4_T5_mT6_T7_P12ihipStream_tbENKUlT_T0_E_clISt17integral_constantIbLb1EESZ_IbLb0EEEEDaSV_SW_EUlSV_E_NS1_11comp_targetILNS1_3genE5ELNS1_11target_archE942ELNS1_3gpuE9ELNS1_3repE0EEENS1_30default_config_static_selectorELNS0_4arch9wavefront6targetE0EEEvT1_.uses_flat_scratch, 0
	.set _ZN7rocprim17ROCPRIM_400000_NS6detail17trampoline_kernelINS0_14default_configENS1_27scan_by_key_config_selectorIllEEZZNS1_16scan_by_key_implILNS1_25lookback_scan_determinismE0ELb0ES3_N6thrust23THRUST_200600_302600_NS16reverse_iteratorIPKlEESD_NSA_IPlEElN6hipcub16HIPCUB_304000_NS3MaxENSH_8EqualityElEE10hipError_tPvRmT2_T3_T4_T5_mT6_T7_P12ihipStream_tbENKUlT_T0_E_clISt17integral_constantIbLb1EESZ_IbLb0EEEEDaSV_SW_EUlSV_E_NS1_11comp_targetILNS1_3genE5ELNS1_11target_archE942ELNS1_3gpuE9ELNS1_3repE0EEENS1_30default_config_static_selectorELNS0_4arch9wavefront6targetE0EEEvT1_.has_dyn_sized_stack, 0
	.set _ZN7rocprim17ROCPRIM_400000_NS6detail17trampoline_kernelINS0_14default_configENS1_27scan_by_key_config_selectorIllEEZZNS1_16scan_by_key_implILNS1_25lookback_scan_determinismE0ELb0ES3_N6thrust23THRUST_200600_302600_NS16reverse_iteratorIPKlEESD_NSA_IPlEElN6hipcub16HIPCUB_304000_NS3MaxENSH_8EqualityElEE10hipError_tPvRmT2_T3_T4_T5_mT6_T7_P12ihipStream_tbENKUlT_T0_E_clISt17integral_constantIbLb1EESZ_IbLb0EEEEDaSV_SW_EUlSV_E_NS1_11comp_targetILNS1_3genE5ELNS1_11target_archE942ELNS1_3gpuE9ELNS1_3repE0EEENS1_30default_config_static_selectorELNS0_4arch9wavefront6targetE0EEEvT1_.has_recursion, 0
	.set _ZN7rocprim17ROCPRIM_400000_NS6detail17trampoline_kernelINS0_14default_configENS1_27scan_by_key_config_selectorIllEEZZNS1_16scan_by_key_implILNS1_25lookback_scan_determinismE0ELb0ES3_N6thrust23THRUST_200600_302600_NS16reverse_iteratorIPKlEESD_NSA_IPlEElN6hipcub16HIPCUB_304000_NS3MaxENSH_8EqualityElEE10hipError_tPvRmT2_T3_T4_T5_mT6_T7_P12ihipStream_tbENKUlT_T0_E_clISt17integral_constantIbLb1EESZ_IbLb0EEEEDaSV_SW_EUlSV_E_NS1_11comp_targetILNS1_3genE5ELNS1_11target_archE942ELNS1_3gpuE9ELNS1_3repE0EEENS1_30default_config_static_selectorELNS0_4arch9wavefront6targetE0EEEvT1_.has_indirect_call, 0
	.section	.AMDGPU.csdata,"",@progbits
; Kernel info:
; codeLenInByte = 0
; TotalNumSgprs: 0
; NumVgprs: 0
; ScratchSize: 0
; MemoryBound: 0
; FloatMode: 240
; IeeeMode: 1
; LDSByteSize: 0 bytes/workgroup (compile time only)
; SGPRBlocks: 0
; VGPRBlocks: 0
; NumSGPRsForWavesPerEU: 1
; NumVGPRsForWavesPerEU: 1
; Occupancy: 16
; WaveLimiterHint : 0
; COMPUTE_PGM_RSRC2:SCRATCH_EN: 0
; COMPUTE_PGM_RSRC2:USER_SGPR: 6
; COMPUTE_PGM_RSRC2:TRAP_HANDLER: 0
; COMPUTE_PGM_RSRC2:TGID_X_EN: 1
; COMPUTE_PGM_RSRC2:TGID_Y_EN: 0
; COMPUTE_PGM_RSRC2:TGID_Z_EN: 0
; COMPUTE_PGM_RSRC2:TIDIG_COMP_CNT: 0
	.section	.text._ZN7rocprim17ROCPRIM_400000_NS6detail17trampoline_kernelINS0_14default_configENS1_27scan_by_key_config_selectorIllEEZZNS1_16scan_by_key_implILNS1_25lookback_scan_determinismE0ELb0ES3_N6thrust23THRUST_200600_302600_NS16reverse_iteratorIPKlEESD_NSA_IPlEElN6hipcub16HIPCUB_304000_NS3MaxENSH_8EqualityElEE10hipError_tPvRmT2_T3_T4_T5_mT6_T7_P12ihipStream_tbENKUlT_T0_E_clISt17integral_constantIbLb1EESZ_IbLb0EEEEDaSV_SW_EUlSV_E_NS1_11comp_targetILNS1_3genE4ELNS1_11target_archE910ELNS1_3gpuE8ELNS1_3repE0EEENS1_30default_config_static_selectorELNS0_4arch9wavefront6targetE0EEEvT1_,"axG",@progbits,_ZN7rocprim17ROCPRIM_400000_NS6detail17trampoline_kernelINS0_14default_configENS1_27scan_by_key_config_selectorIllEEZZNS1_16scan_by_key_implILNS1_25lookback_scan_determinismE0ELb0ES3_N6thrust23THRUST_200600_302600_NS16reverse_iteratorIPKlEESD_NSA_IPlEElN6hipcub16HIPCUB_304000_NS3MaxENSH_8EqualityElEE10hipError_tPvRmT2_T3_T4_T5_mT6_T7_P12ihipStream_tbENKUlT_T0_E_clISt17integral_constantIbLb1EESZ_IbLb0EEEEDaSV_SW_EUlSV_E_NS1_11comp_targetILNS1_3genE4ELNS1_11target_archE910ELNS1_3gpuE8ELNS1_3repE0EEENS1_30default_config_static_selectorELNS0_4arch9wavefront6targetE0EEEvT1_,comdat
	.protected	_ZN7rocprim17ROCPRIM_400000_NS6detail17trampoline_kernelINS0_14default_configENS1_27scan_by_key_config_selectorIllEEZZNS1_16scan_by_key_implILNS1_25lookback_scan_determinismE0ELb0ES3_N6thrust23THRUST_200600_302600_NS16reverse_iteratorIPKlEESD_NSA_IPlEElN6hipcub16HIPCUB_304000_NS3MaxENSH_8EqualityElEE10hipError_tPvRmT2_T3_T4_T5_mT6_T7_P12ihipStream_tbENKUlT_T0_E_clISt17integral_constantIbLb1EESZ_IbLb0EEEEDaSV_SW_EUlSV_E_NS1_11comp_targetILNS1_3genE4ELNS1_11target_archE910ELNS1_3gpuE8ELNS1_3repE0EEENS1_30default_config_static_selectorELNS0_4arch9wavefront6targetE0EEEvT1_ ; -- Begin function _ZN7rocprim17ROCPRIM_400000_NS6detail17trampoline_kernelINS0_14default_configENS1_27scan_by_key_config_selectorIllEEZZNS1_16scan_by_key_implILNS1_25lookback_scan_determinismE0ELb0ES3_N6thrust23THRUST_200600_302600_NS16reverse_iteratorIPKlEESD_NSA_IPlEElN6hipcub16HIPCUB_304000_NS3MaxENSH_8EqualityElEE10hipError_tPvRmT2_T3_T4_T5_mT6_T7_P12ihipStream_tbENKUlT_T0_E_clISt17integral_constantIbLb1EESZ_IbLb0EEEEDaSV_SW_EUlSV_E_NS1_11comp_targetILNS1_3genE4ELNS1_11target_archE910ELNS1_3gpuE8ELNS1_3repE0EEENS1_30default_config_static_selectorELNS0_4arch9wavefront6targetE0EEEvT1_
	.globl	_ZN7rocprim17ROCPRIM_400000_NS6detail17trampoline_kernelINS0_14default_configENS1_27scan_by_key_config_selectorIllEEZZNS1_16scan_by_key_implILNS1_25lookback_scan_determinismE0ELb0ES3_N6thrust23THRUST_200600_302600_NS16reverse_iteratorIPKlEESD_NSA_IPlEElN6hipcub16HIPCUB_304000_NS3MaxENSH_8EqualityElEE10hipError_tPvRmT2_T3_T4_T5_mT6_T7_P12ihipStream_tbENKUlT_T0_E_clISt17integral_constantIbLb1EESZ_IbLb0EEEEDaSV_SW_EUlSV_E_NS1_11comp_targetILNS1_3genE4ELNS1_11target_archE910ELNS1_3gpuE8ELNS1_3repE0EEENS1_30default_config_static_selectorELNS0_4arch9wavefront6targetE0EEEvT1_
	.p2align	8
	.type	_ZN7rocprim17ROCPRIM_400000_NS6detail17trampoline_kernelINS0_14default_configENS1_27scan_by_key_config_selectorIllEEZZNS1_16scan_by_key_implILNS1_25lookback_scan_determinismE0ELb0ES3_N6thrust23THRUST_200600_302600_NS16reverse_iteratorIPKlEESD_NSA_IPlEElN6hipcub16HIPCUB_304000_NS3MaxENSH_8EqualityElEE10hipError_tPvRmT2_T3_T4_T5_mT6_T7_P12ihipStream_tbENKUlT_T0_E_clISt17integral_constantIbLb1EESZ_IbLb0EEEEDaSV_SW_EUlSV_E_NS1_11comp_targetILNS1_3genE4ELNS1_11target_archE910ELNS1_3gpuE8ELNS1_3repE0EEENS1_30default_config_static_selectorELNS0_4arch9wavefront6targetE0EEEvT1_,@function
_ZN7rocprim17ROCPRIM_400000_NS6detail17trampoline_kernelINS0_14default_configENS1_27scan_by_key_config_selectorIllEEZZNS1_16scan_by_key_implILNS1_25lookback_scan_determinismE0ELb0ES3_N6thrust23THRUST_200600_302600_NS16reverse_iteratorIPKlEESD_NSA_IPlEElN6hipcub16HIPCUB_304000_NS3MaxENSH_8EqualityElEE10hipError_tPvRmT2_T3_T4_T5_mT6_T7_P12ihipStream_tbENKUlT_T0_E_clISt17integral_constantIbLb1EESZ_IbLb0EEEEDaSV_SW_EUlSV_E_NS1_11comp_targetILNS1_3genE4ELNS1_11target_archE910ELNS1_3gpuE8ELNS1_3repE0EEENS1_30default_config_static_selectorELNS0_4arch9wavefront6targetE0EEEvT1_: ; @_ZN7rocprim17ROCPRIM_400000_NS6detail17trampoline_kernelINS0_14default_configENS1_27scan_by_key_config_selectorIllEEZZNS1_16scan_by_key_implILNS1_25lookback_scan_determinismE0ELb0ES3_N6thrust23THRUST_200600_302600_NS16reverse_iteratorIPKlEESD_NSA_IPlEElN6hipcub16HIPCUB_304000_NS3MaxENSH_8EqualityElEE10hipError_tPvRmT2_T3_T4_T5_mT6_T7_P12ihipStream_tbENKUlT_T0_E_clISt17integral_constantIbLb1EESZ_IbLb0EEEEDaSV_SW_EUlSV_E_NS1_11comp_targetILNS1_3genE4ELNS1_11target_archE910ELNS1_3gpuE8ELNS1_3repE0EEENS1_30default_config_static_selectorELNS0_4arch9wavefront6targetE0EEEvT1_
; %bb.0:
	.section	.rodata,"a",@progbits
	.p2align	6, 0x0
	.amdhsa_kernel _ZN7rocprim17ROCPRIM_400000_NS6detail17trampoline_kernelINS0_14default_configENS1_27scan_by_key_config_selectorIllEEZZNS1_16scan_by_key_implILNS1_25lookback_scan_determinismE0ELb0ES3_N6thrust23THRUST_200600_302600_NS16reverse_iteratorIPKlEESD_NSA_IPlEElN6hipcub16HIPCUB_304000_NS3MaxENSH_8EqualityElEE10hipError_tPvRmT2_T3_T4_T5_mT6_T7_P12ihipStream_tbENKUlT_T0_E_clISt17integral_constantIbLb1EESZ_IbLb0EEEEDaSV_SW_EUlSV_E_NS1_11comp_targetILNS1_3genE4ELNS1_11target_archE910ELNS1_3gpuE8ELNS1_3repE0EEENS1_30default_config_static_selectorELNS0_4arch9wavefront6targetE0EEEvT1_
		.amdhsa_group_segment_fixed_size 0
		.amdhsa_private_segment_fixed_size 0
		.amdhsa_kernarg_size 136
		.amdhsa_user_sgpr_count 6
		.amdhsa_user_sgpr_private_segment_buffer 1
		.amdhsa_user_sgpr_dispatch_ptr 0
		.amdhsa_user_sgpr_queue_ptr 0
		.amdhsa_user_sgpr_kernarg_segment_ptr 1
		.amdhsa_user_sgpr_dispatch_id 0
		.amdhsa_user_sgpr_flat_scratch_init 0
		.amdhsa_user_sgpr_private_segment_size 0
		.amdhsa_wavefront_size32 1
		.amdhsa_uses_dynamic_stack 0
		.amdhsa_system_sgpr_private_segment_wavefront_offset 0
		.amdhsa_system_sgpr_workgroup_id_x 1
		.amdhsa_system_sgpr_workgroup_id_y 0
		.amdhsa_system_sgpr_workgroup_id_z 0
		.amdhsa_system_sgpr_workgroup_info 0
		.amdhsa_system_vgpr_workitem_id 0
		.amdhsa_next_free_vgpr 1
		.amdhsa_next_free_sgpr 1
		.amdhsa_reserve_vcc 0
		.amdhsa_reserve_flat_scratch 0
		.amdhsa_float_round_mode_32 0
		.amdhsa_float_round_mode_16_64 0
		.amdhsa_float_denorm_mode_32 3
		.amdhsa_float_denorm_mode_16_64 3
		.amdhsa_dx10_clamp 1
		.amdhsa_ieee_mode 1
		.amdhsa_fp16_overflow 0
		.amdhsa_workgroup_processor_mode 1
		.amdhsa_memory_ordered 1
		.amdhsa_forward_progress 1
		.amdhsa_shared_vgpr_count 0
		.amdhsa_exception_fp_ieee_invalid_op 0
		.amdhsa_exception_fp_denorm_src 0
		.amdhsa_exception_fp_ieee_div_zero 0
		.amdhsa_exception_fp_ieee_overflow 0
		.amdhsa_exception_fp_ieee_underflow 0
		.amdhsa_exception_fp_ieee_inexact 0
		.amdhsa_exception_int_div_zero 0
	.end_amdhsa_kernel
	.section	.text._ZN7rocprim17ROCPRIM_400000_NS6detail17trampoline_kernelINS0_14default_configENS1_27scan_by_key_config_selectorIllEEZZNS1_16scan_by_key_implILNS1_25lookback_scan_determinismE0ELb0ES3_N6thrust23THRUST_200600_302600_NS16reverse_iteratorIPKlEESD_NSA_IPlEElN6hipcub16HIPCUB_304000_NS3MaxENSH_8EqualityElEE10hipError_tPvRmT2_T3_T4_T5_mT6_T7_P12ihipStream_tbENKUlT_T0_E_clISt17integral_constantIbLb1EESZ_IbLb0EEEEDaSV_SW_EUlSV_E_NS1_11comp_targetILNS1_3genE4ELNS1_11target_archE910ELNS1_3gpuE8ELNS1_3repE0EEENS1_30default_config_static_selectorELNS0_4arch9wavefront6targetE0EEEvT1_,"axG",@progbits,_ZN7rocprim17ROCPRIM_400000_NS6detail17trampoline_kernelINS0_14default_configENS1_27scan_by_key_config_selectorIllEEZZNS1_16scan_by_key_implILNS1_25lookback_scan_determinismE0ELb0ES3_N6thrust23THRUST_200600_302600_NS16reverse_iteratorIPKlEESD_NSA_IPlEElN6hipcub16HIPCUB_304000_NS3MaxENSH_8EqualityElEE10hipError_tPvRmT2_T3_T4_T5_mT6_T7_P12ihipStream_tbENKUlT_T0_E_clISt17integral_constantIbLb1EESZ_IbLb0EEEEDaSV_SW_EUlSV_E_NS1_11comp_targetILNS1_3genE4ELNS1_11target_archE910ELNS1_3gpuE8ELNS1_3repE0EEENS1_30default_config_static_selectorELNS0_4arch9wavefront6targetE0EEEvT1_,comdat
.Lfunc_end160:
	.size	_ZN7rocprim17ROCPRIM_400000_NS6detail17trampoline_kernelINS0_14default_configENS1_27scan_by_key_config_selectorIllEEZZNS1_16scan_by_key_implILNS1_25lookback_scan_determinismE0ELb0ES3_N6thrust23THRUST_200600_302600_NS16reverse_iteratorIPKlEESD_NSA_IPlEElN6hipcub16HIPCUB_304000_NS3MaxENSH_8EqualityElEE10hipError_tPvRmT2_T3_T4_T5_mT6_T7_P12ihipStream_tbENKUlT_T0_E_clISt17integral_constantIbLb1EESZ_IbLb0EEEEDaSV_SW_EUlSV_E_NS1_11comp_targetILNS1_3genE4ELNS1_11target_archE910ELNS1_3gpuE8ELNS1_3repE0EEENS1_30default_config_static_selectorELNS0_4arch9wavefront6targetE0EEEvT1_, .Lfunc_end160-_ZN7rocprim17ROCPRIM_400000_NS6detail17trampoline_kernelINS0_14default_configENS1_27scan_by_key_config_selectorIllEEZZNS1_16scan_by_key_implILNS1_25lookback_scan_determinismE0ELb0ES3_N6thrust23THRUST_200600_302600_NS16reverse_iteratorIPKlEESD_NSA_IPlEElN6hipcub16HIPCUB_304000_NS3MaxENSH_8EqualityElEE10hipError_tPvRmT2_T3_T4_T5_mT6_T7_P12ihipStream_tbENKUlT_T0_E_clISt17integral_constantIbLb1EESZ_IbLb0EEEEDaSV_SW_EUlSV_E_NS1_11comp_targetILNS1_3genE4ELNS1_11target_archE910ELNS1_3gpuE8ELNS1_3repE0EEENS1_30default_config_static_selectorELNS0_4arch9wavefront6targetE0EEEvT1_
                                        ; -- End function
	.set _ZN7rocprim17ROCPRIM_400000_NS6detail17trampoline_kernelINS0_14default_configENS1_27scan_by_key_config_selectorIllEEZZNS1_16scan_by_key_implILNS1_25lookback_scan_determinismE0ELb0ES3_N6thrust23THRUST_200600_302600_NS16reverse_iteratorIPKlEESD_NSA_IPlEElN6hipcub16HIPCUB_304000_NS3MaxENSH_8EqualityElEE10hipError_tPvRmT2_T3_T4_T5_mT6_T7_P12ihipStream_tbENKUlT_T0_E_clISt17integral_constantIbLb1EESZ_IbLb0EEEEDaSV_SW_EUlSV_E_NS1_11comp_targetILNS1_3genE4ELNS1_11target_archE910ELNS1_3gpuE8ELNS1_3repE0EEENS1_30default_config_static_selectorELNS0_4arch9wavefront6targetE0EEEvT1_.num_vgpr, 0
	.set _ZN7rocprim17ROCPRIM_400000_NS6detail17trampoline_kernelINS0_14default_configENS1_27scan_by_key_config_selectorIllEEZZNS1_16scan_by_key_implILNS1_25lookback_scan_determinismE0ELb0ES3_N6thrust23THRUST_200600_302600_NS16reverse_iteratorIPKlEESD_NSA_IPlEElN6hipcub16HIPCUB_304000_NS3MaxENSH_8EqualityElEE10hipError_tPvRmT2_T3_T4_T5_mT6_T7_P12ihipStream_tbENKUlT_T0_E_clISt17integral_constantIbLb1EESZ_IbLb0EEEEDaSV_SW_EUlSV_E_NS1_11comp_targetILNS1_3genE4ELNS1_11target_archE910ELNS1_3gpuE8ELNS1_3repE0EEENS1_30default_config_static_selectorELNS0_4arch9wavefront6targetE0EEEvT1_.num_agpr, 0
	.set _ZN7rocprim17ROCPRIM_400000_NS6detail17trampoline_kernelINS0_14default_configENS1_27scan_by_key_config_selectorIllEEZZNS1_16scan_by_key_implILNS1_25lookback_scan_determinismE0ELb0ES3_N6thrust23THRUST_200600_302600_NS16reverse_iteratorIPKlEESD_NSA_IPlEElN6hipcub16HIPCUB_304000_NS3MaxENSH_8EqualityElEE10hipError_tPvRmT2_T3_T4_T5_mT6_T7_P12ihipStream_tbENKUlT_T0_E_clISt17integral_constantIbLb1EESZ_IbLb0EEEEDaSV_SW_EUlSV_E_NS1_11comp_targetILNS1_3genE4ELNS1_11target_archE910ELNS1_3gpuE8ELNS1_3repE0EEENS1_30default_config_static_selectorELNS0_4arch9wavefront6targetE0EEEvT1_.numbered_sgpr, 0
	.set _ZN7rocprim17ROCPRIM_400000_NS6detail17trampoline_kernelINS0_14default_configENS1_27scan_by_key_config_selectorIllEEZZNS1_16scan_by_key_implILNS1_25lookback_scan_determinismE0ELb0ES3_N6thrust23THRUST_200600_302600_NS16reverse_iteratorIPKlEESD_NSA_IPlEElN6hipcub16HIPCUB_304000_NS3MaxENSH_8EqualityElEE10hipError_tPvRmT2_T3_T4_T5_mT6_T7_P12ihipStream_tbENKUlT_T0_E_clISt17integral_constantIbLb1EESZ_IbLb0EEEEDaSV_SW_EUlSV_E_NS1_11comp_targetILNS1_3genE4ELNS1_11target_archE910ELNS1_3gpuE8ELNS1_3repE0EEENS1_30default_config_static_selectorELNS0_4arch9wavefront6targetE0EEEvT1_.num_named_barrier, 0
	.set _ZN7rocprim17ROCPRIM_400000_NS6detail17trampoline_kernelINS0_14default_configENS1_27scan_by_key_config_selectorIllEEZZNS1_16scan_by_key_implILNS1_25lookback_scan_determinismE0ELb0ES3_N6thrust23THRUST_200600_302600_NS16reverse_iteratorIPKlEESD_NSA_IPlEElN6hipcub16HIPCUB_304000_NS3MaxENSH_8EqualityElEE10hipError_tPvRmT2_T3_T4_T5_mT6_T7_P12ihipStream_tbENKUlT_T0_E_clISt17integral_constantIbLb1EESZ_IbLb0EEEEDaSV_SW_EUlSV_E_NS1_11comp_targetILNS1_3genE4ELNS1_11target_archE910ELNS1_3gpuE8ELNS1_3repE0EEENS1_30default_config_static_selectorELNS0_4arch9wavefront6targetE0EEEvT1_.private_seg_size, 0
	.set _ZN7rocprim17ROCPRIM_400000_NS6detail17trampoline_kernelINS0_14default_configENS1_27scan_by_key_config_selectorIllEEZZNS1_16scan_by_key_implILNS1_25lookback_scan_determinismE0ELb0ES3_N6thrust23THRUST_200600_302600_NS16reverse_iteratorIPKlEESD_NSA_IPlEElN6hipcub16HIPCUB_304000_NS3MaxENSH_8EqualityElEE10hipError_tPvRmT2_T3_T4_T5_mT6_T7_P12ihipStream_tbENKUlT_T0_E_clISt17integral_constantIbLb1EESZ_IbLb0EEEEDaSV_SW_EUlSV_E_NS1_11comp_targetILNS1_3genE4ELNS1_11target_archE910ELNS1_3gpuE8ELNS1_3repE0EEENS1_30default_config_static_selectorELNS0_4arch9wavefront6targetE0EEEvT1_.uses_vcc, 0
	.set _ZN7rocprim17ROCPRIM_400000_NS6detail17trampoline_kernelINS0_14default_configENS1_27scan_by_key_config_selectorIllEEZZNS1_16scan_by_key_implILNS1_25lookback_scan_determinismE0ELb0ES3_N6thrust23THRUST_200600_302600_NS16reverse_iteratorIPKlEESD_NSA_IPlEElN6hipcub16HIPCUB_304000_NS3MaxENSH_8EqualityElEE10hipError_tPvRmT2_T3_T4_T5_mT6_T7_P12ihipStream_tbENKUlT_T0_E_clISt17integral_constantIbLb1EESZ_IbLb0EEEEDaSV_SW_EUlSV_E_NS1_11comp_targetILNS1_3genE4ELNS1_11target_archE910ELNS1_3gpuE8ELNS1_3repE0EEENS1_30default_config_static_selectorELNS0_4arch9wavefront6targetE0EEEvT1_.uses_flat_scratch, 0
	.set _ZN7rocprim17ROCPRIM_400000_NS6detail17trampoline_kernelINS0_14default_configENS1_27scan_by_key_config_selectorIllEEZZNS1_16scan_by_key_implILNS1_25lookback_scan_determinismE0ELb0ES3_N6thrust23THRUST_200600_302600_NS16reverse_iteratorIPKlEESD_NSA_IPlEElN6hipcub16HIPCUB_304000_NS3MaxENSH_8EqualityElEE10hipError_tPvRmT2_T3_T4_T5_mT6_T7_P12ihipStream_tbENKUlT_T0_E_clISt17integral_constantIbLb1EESZ_IbLb0EEEEDaSV_SW_EUlSV_E_NS1_11comp_targetILNS1_3genE4ELNS1_11target_archE910ELNS1_3gpuE8ELNS1_3repE0EEENS1_30default_config_static_selectorELNS0_4arch9wavefront6targetE0EEEvT1_.has_dyn_sized_stack, 0
	.set _ZN7rocprim17ROCPRIM_400000_NS6detail17trampoline_kernelINS0_14default_configENS1_27scan_by_key_config_selectorIllEEZZNS1_16scan_by_key_implILNS1_25lookback_scan_determinismE0ELb0ES3_N6thrust23THRUST_200600_302600_NS16reverse_iteratorIPKlEESD_NSA_IPlEElN6hipcub16HIPCUB_304000_NS3MaxENSH_8EqualityElEE10hipError_tPvRmT2_T3_T4_T5_mT6_T7_P12ihipStream_tbENKUlT_T0_E_clISt17integral_constantIbLb1EESZ_IbLb0EEEEDaSV_SW_EUlSV_E_NS1_11comp_targetILNS1_3genE4ELNS1_11target_archE910ELNS1_3gpuE8ELNS1_3repE0EEENS1_30default_config_static_selectorELNS0_4arch9wavefront6targetE0EEEvT1_.has_recursion, 0
	.set _ZN7rocprim17ROCPRIM_400000_NS6detail17trampoline_kernelINS0_14default_configENS1_27scan_by_key_config_selectorIllEEZZNS1_16scan_by_key_implILNS1_25lookback_scan_determinismE0ELb0ES3_N6thrust23THRUST_200600_302600_NS16reverse_iteratorIPKlEESD_NSA_IPlEElN6hipcub16HIPCUB_304000_NS3MaxENSH_8EqualityElEE10hipError_tPvRmT2_T3_T4_T5_mT6_T7_P12ihipStream_tbENKUlT_T0_E_clISt17integral_constantIbLb1EESZ_IbLb0EEEEDaSV_SW_EUlSV_E_NS1_11comp_targetILNS1_3genE4ELNS1_11target_archE910ELNS1_3gpuE8ELNS1_3repE0EEENS1_30default_config_static_selectorELNS0_4arch9wavefront6targetE0EEEvT1_.has_indirect_call, 0
	.section	.AMDGPU.csdata,"",@progbits
; Kernel info:
; codeLenInByte = 0
; TotalNumSgprs: 0
; NumVgprs: 0
; ScratchSize: 0
; MemoryBound: 0
; FloatMode: 240
; IeeeMode: 1
; LDSByteSize: 0 bytes/workgroup (compile time only)
; SGPRBlocks: 0
; VGPRBlocks: 0
; NumSGPRsForWavesPerEU: 1
; NumVGPRsForWavesPerEU: 1
; Occupancy: 16
; WaveLimiterHint : 0
; COMPUTE_PGM_RSRC2:SCRATCH_EN: 0
; COMPUTE_PGM_RSRC2:USER_SGPR: 6
; COMPUTE_PGM_RSRC2:TRAP_HANDLER: 0
; COMPUTE_PGM_RSRC2:TGID_X_EN: 1
; COMPUTE_PGM_RSRC2:TGID_Y_EN: 0
; COMPUTE_PGM_RSRC2:TGID_Z_EN: 0
; COMPUTE_PGM_RSRC2:TIDIG_COMP_CNT: 0
	.section	.text._ZN7rocprim17ROCPRIM_400000_NS6detail17trampoline_kernelINS0_14default_configENS1_27scan_by_key_config_selectorIllEEZZNS1_16scan_by_key_implILNS1_25lookback_scan_determinismE0ELb0ES3_N6thrust23THRUST_200600_302600_NS16reverse_iteratorIPKlEESD_NSA_IPlEElN6hipcub16HIPCUB_304000_NS3MaxENSH_8EqualityElEE10hipError_tPvRmT2_T3_T4_T5_mT6_T7_P12ihipStream_tbENKUlT_T0_E_clISt17integral_constantIbLb1EESZ_IbLb0EEEEDaSV_SW_EUlSV_E_NS1_11comp_targetILNS1_3genE3ELNS1_11target_archE908ELNS1_3gpuE7ELNS1_3repE0EEENS1_30default_config_static_selectorELNS0_4arch9wavefront6targetE0EEEvT1_,"axG",@progbits,_ZN7rocprim17ROCPRIM_400000_NS6detail17trampoline_kernelINS0_14default_configENS1_27scan_by_key_config_selectorIllEEZZNS1_16scan_by_key_implILNS1_25lookback_scan_determinismE0ELb0ES3_N6thrust23THRUST_200600_302600_NS16reverse_iteratorIPKlEESD_NSA_IPlEElN6hipcub16HIPCUB_304000_NS3MaxENSH_8EqualityElEE10hipError_tPvRmT2_T3_T4_T5_mT6_T7_P12ihipStream_tbENKUlT_T0_E_clISt17integral_constantIbLb1EESZ_IbLb0EEEEDaSV_SW_EUlSV_E_NS1_11comp_targetILNS1_3genE3ELNS1_11target_archE908ELNS1_3gpuE7ELNS1_3repE0EEENS1_30default_config_static_selectorELNS0_4arch9wavefront6targetE0EEEvT1_,comdat
	.protected	_ZN7rocprim17ROCPRIM_400000_NS6detail17trampoline_kernelINS0_14default_configENS1_27scan_by_key_config_selectorIllEEZZNS1_16scan_by_key_implILNS1_25lookback_scan_determinismE0ELb0ES3_N6thrust23THRUST_200600_302600_NS16reverse_iteratorIPKlEESD_NSA_IPlEElN6hipcub16HIPCUB_304000_NS3MaxENSH_8EqualityElEE10hipError_tPvRmT2_T3_T4_T5_mT6_T7_P12ihipStream_tbENKUlT_T0_E_clISt17integral_constantIbLb1EESZ_IbLb0EEEEDaSV_SW_EUlSV_E_NS1_11comp_targetILNS1_3genE3ELNS1_11target_archE908ELNS1_3gpuE7ELNS1_3repE0EEENS1_30default_config_static_selectorELNS0_4arch9wavefront6targetE0EEEvT1_ ; -- Begin function _ZN7rocprim17ROCPRIM_400000_NS6detail17trampoline_kernelINS0_14default_configENS1_27scan_by_key_config_selectorIllEEZZNS1_16scan_by_key_implILNS1_25lookback_scan_determinismE0ELb0ES3_N6thrust23THRUST_200600_302600_NS16reverse_iteratorIPKlEESD_NSA_IPlEElN6hipcub16HIPCUB_304000_NS3MaxENSH_8EqualityElEE10hipError_tPvRmT2_T3_T4_T5_mT6_T7_P12ihipStream_tbENKUlT_T0_E_clISt17integral_constantIbLb1EESZ_IbLb0EEEEDaSV_SW_EUlSV_E_NS1_11comp_targetILNS1_3genE3ELNS1_11target_archE908ELNS1_3gpuE7ELNS1_3repE0EEENS1_30default_config_static_selectorELNS0_4arch9wavefront6targetE0EEEvT1_
	.globl	_ZN7rocprim17ROCPRIM_400000_NS6detail17trampoline_kernelINS0_14default_configENS1_27scan_by_key_config_selectorIllEEZZNS1_16scan_by_key_implILNS1_25lookback_scan_determinismE0ELb0ES3_N6thrust23THRUST_200600_302600_NS16reverse_iteratorIPKlEESD_NSA_IPlEElN6hipcub16HIPCUB_304000_NS3MaxENSH_8EqualityElEE10hipError_tPvRmT2_T3_T4_T5_mT6_T7_P12ihipStream_tbENKUlT_T0_E_clISt17integral_constantIbLb1EESZ_IbLb0EEEEDaSV_SW_EUlSV_E_NS1_11comp_targetILNS1_3genE3ELNS1_11target_archE908ELNS1_3gpuE7ELNS1_3repE0EEENS1_30default_config_static_selectorELNS0_4arch9wavefront6targetE0EEEvT1_
	.p2align	8
	.type	_ZN7rocprim17ROCPRIM_400000_NS6detail17trampoline_kernelINS0_14default_configENS1_27scan_by_key_config_selectorIllEEZZNS1_16scan_by_key_implILNS1_25lookback_scan_determinismE0ELb0ES3_N6thrust23THRUST_200600_302600_NS16reverse_iteratorIPKlEESD_NSA_IPlEElN6hipcub16HIPCUB_304000_NS3MaxENSH_8EqualityElEE10hipError_tPvRmT2_T3_T4_T5_mT6_T7_P12ihipStream_tbENKUlT_T0_E_clISt17integral_constantIbLb1EESZ_IbLb0EEEEDaSV_SW_EUlSV_E_NS1_11comp_targetILNS1_3genE3ELNS1_11target_archE908ELNS1_3gpuE7ELNS1_3repE0EEENS1_30default_config_static_selectorELNS0_4arch9wavefront6targetE0EEEvT1_,@function
_ZN7rocprim17ROCPRIM_400000_NS6detail17trampoline_kernelINS0_14default_configENS1_27scan_by_key_config_selectorIllEEZZNS1_16scan_by_key_implILNS1_25lookback_scan_determinismE0ELb0ES3_N6thrust23THRUST_200600_302600_NS16reverse_iteratorIPKlEESD_NSA_IPlEElN6hipcub16HIPCUB_304000_NS3MaxENSH_8EqualityElEE10hipError_tPvRmT2_T3_T4_T5_mT6_T7_P12ihipStream_tbENKUlT_T0_E_clISt17integral_constantIbLb1EESZ_IbLb0EEEEDaSV_SW_EUlSV_E_NS1_11comp_targetILNS1_3genE3ELNS1_11target_archE908ELNS1_3gpuE7ELNS1_3repE0EEENS1_30default_config_static_selectorELNS0_4arch9wavefront6targetE0EEEvT1_: ; @_ZN7rocprim17ROCPRIM_400000_NS6detail17trampoline_kernelINS0_14default_configENS1_27scan_by_key_config_selectorIllEEZZNS1_16scan_by_key_implILNS1_25lookback_scan_determinismE0ELb0ES3_N6thrust23THRUST_200600_302600_NS16reverse_iteratorIPKlEESD_NSA_IPlEElN6hipcub16HIPCUB_304000_NS3MaxENSH_8EqualityElEE10hipError_tPvRmT2_T3_T4_T5_mT6_T7_P12ihipStream_tbENKUlT_T0_E_clISt17integral_constantIbLb1EESZ_IbLb0EEEEDaSV_SW_EUlSV_E_NS1_11comp_targetILNS1_3genE3ELNS1_11target_archE908ELNS1_3gpuE7ELNS1_3repE0EEENS1_30default_config_static_selectorELNS0_4arch9wavefront6targetE0EEEvT1_
; %bb.0:
	.section	.rodata,"a",@progbits
	.p2align	6, 0x0
	.amdhsa_kernel _ZN7rocprim17ROCPRIM_400000_NS6detail17trampoline_kernelINS0_14default_configENS1_27scan_by_key_config_selectorIllEEZZNS1_16scan_by_key_implILNS1_25lookback_scan_determinismE0ELb0ES3_N6thrust23THRUST_200600_302600_NS16reverse_iteratorIPKlEESD_NSA_IPlEElN6hipcub16HIPCUB_304000_NS3MaxENSH_8EqualityElEE10hipError_tPvRmT2_T3_T4_T5_mT6_T7_P12ihipStream_tbENKUlT_T0_E_clISt17integral_constantIbLb1EESZ_IbLb0EEEEDaSV_SW_EUlSV_E_NS1_11comp_targetILNS1_3genE3ELNS1_11target_archE908ELNS1_3gpuE7ELNS1_3repE0EEENS1_30default_config_static_selectorELNS0_4arch9wavefront6targetE0EEEvT1_
		.amdhsa_group_segment_fixed_size 0
		.amdhsa_private_segment_fixed_size 0
		.amdhsa_kernarg_size 136
		.amdhsa_user_sgpr_count 6
		.amdhsa_user_sgpr_private_segment_buffer 1
		.amdhsa_user_sgpr_dispatch_ptr 0
		.amdhsa_user_sgpr_queue_ptr 0
		.amdhsa_user_sgpr_kernarg_segment_ptr 1
		.amdhsa_user_sgpr_dispatch_id 0
		.amdhsa_user_sgpr_flat_scratch_init 0
		.amdhsa_user_sgpr_private_segment_size 0
		.amdhsa_wavefront_size32 1
		.amdhsa_uses_dynamic_stack 0
		.amdhsa_system_sgpr_private_segment_wavefront_offset 0
		.amdhsa_system_sgpr_workgroup_id_x 1
		.amdhsa_system_sgpr_workgroup_id_y 0
		.amdhsa_system_sgpr_workgroup_id_z 0
		.amdhsa_system_sgpr_workgroup_info 0
		.amdhsa_system_vgpr_workitem_id 0
		.amdhsa_next_free_vgpr 1
		.amdhsa_next_free_sgpr 1
		.amdhsa_reserve_vcc 0
		.amdhsa_reserve_flat_scratch 0
		.amdhsa_float_round_mode_32 0
		.amdhsa_float_round_mode_16_64 0
		.amdhsa_float_denorm_mode_32 3
		.amdhsa_float_denorm_mode_16_64 3
		.amdhsa_dx10_clamp 1
		.amdhsa_ieee_mode 1
		.amdhsa_fp16_overflow 0
		.amdhsa_workgroup_processor_mode 1
		.amdhsa_memory_ordered 1
		.amdhsa_forward_progress 1
		.amdhsa_shared_vgpr_count 0
		.amdhsa_exception_fp_ieee_invalid_op 0
		.amdhsa_exception_fp_denorm_src 0
		.amdhsa_exception_fp_ieee_div_zero 0
		.amdhsa_exception_fp_ieee_overflow 0
		.amdhsa_exception_fp_ieee_underflow 0
		.amdhsa_exception_fp_ieee_inexact 0
		.amdhsa_exception_int_div_zero 0
	.end_amdhsa_kernel
	.section	.text._ZN7rocprim17ROCPRIM_400000_NS6detail17trampoline_kernelINS0_14default_configENS1_27scan_by_key_config_selectorIllEEZZNS1_16scan_by_key_implILNS1_25lookback_scan_determinismE0ELb0ES3_N6thrust23THRUST_200600_302600_NS16reverse_iteratorIPKlEESD_NSA_IPlEElN6hipcub16HIPCUB_304000_NS3MaxENSH_8EqualityElEE10hipError_tPvRmT2_T3_T4_T5_mT6_T7_P12ihipStream_tbENKUlT_T0_E_clISt17integral_constantIbLb1EESZ_IbLb0EEEEDaSV_SW_EUlSV_E_NS1_11comp_targetILNS1_3genE3ELNS1_11target_archE908ELNS1_3gpuE7ELNS1_3repE0EEENS1_30default_config_static_selectorELNS0_4arch9wavefront6targetE0EEEvT1_,"axG",@progbits,_ZN7rocprim17ROCPRIM_400000_NS6detail17trampoline_kernelINS0_14default_configENS1_27scan_by_key_config_selectorIllEEZZNS1_16scan_by_key_implILNS1_25lookback_scan_determinismE0ELb0ES3_N6thrust23THRUST_200600_302600_NS16reverse_iteratorIPKlEESD_NSA_IPlEElN6hipcub16HIPCUB_304000_NS3MaxENSH_8EqualityElEE10hipError_tPvRmT2_T3_T4_T5_mT6_T7_P12ihipStream_tbENKUlT_T0_E_clISt17integral_constantIbLb1EESZ_IbLb0EEEEDaSV_SW_EUlSV_E_NS1_11comp_targetILNS1_3genE3ELNS1_11target_archE908ELNS1_3gpuE7ELNS1_3repE0EEENS1_30default_config_static_selectorELNS0_4arch9wavefront6targetE0EEEvT1_,comdat
.Lfunc_end161:
	.size	_ZN7rocprim17ROCPRIM_400000_NS6detail17trampoline_kernelINS0_14default_configENS1_27scan_by_key_config_selectorIllEEZZNS1_16scan_by_key_implILNS1_25lookback_scan_determinismE0ELb0ES3_N6thrust23THRUST_200600_302600_NS16reverse_iteratorIPKlEESD_NSA_IPlEElN6hipcub16HIPCUB_304000_NS3MaxENSH_8EqualityElEE10hipError_tPvRmT2_T3_T4_T5_mT6_T7_P12ihipStream_tbENKUlT_T0_E_clISt17integral_constantIbLb1EESZ_IbLb0EEEEDaSV_SW_EUlSV_E_NS1_11comp_targetILNS1_3genE3ELNS1_11target_archE908ELNS1_3gpuE7ELNS1_3repE0EEENS1_30default_config_static_selectorELNS0_4arch9wavefront6targetE0EEEvT1_, .Lfunc_end161-_ZN7rocprim17ROCPRIM_400000_NS6detail17trampoline_kernelINS0_14default_configENS1_27scan_by_key_config_selectorIllEEZZNS1_16scan_by_key_implILNS1_25lookback_scan_determinismE0ELb0ES3_N6thrust23THRUST_200600_302600_NS16reverse_iteratorIPKlEESD_NSA_IPlEElN6hipcub16HIPCUB_304000_NS3MaxENSH_8EqualityElEE10hipError_tPvRmT2_T3_T4_T5_mT6_T7_P12ihipStream_tbENKUlT_T0_E_clISt17integral_constantIbLb1EESZ_IbLb0EEEEDaSV_SW_EUlSV_E_NS1_11comp_targetILNS1_3genE3ELNS1_11target_archE908ELNS1_3gpuE7ELNS1_3repE0EEENS1_30default_config_static_selectorELNS0_4arch9wavefront6targetE0EEEvT1_
                                        ; -- End function
	.set _ZN7rocprim17ROCPRIM_400000_NS6detail17trampoline_kernelINS0_14default_configENS1_27scan_by_key_config_selectorIllEEZZNS1_16scan_by_key_implILNS1_25lookback_scan_determinismE0ELb0ES3_N6thrust23THRUST_200600_302600_NS16reverse_iteratorIPKlEESD_NSA_IPlEElN6hipcub16HIPCUB_304000_NS3MaxENSH_8EqualityElEE10hipError_tPvRmT2_T3_T4_T5_mT6_T7_P12ihipStream_tbENKUlT_T0_E_clISt17integral_constantIbLb1EESZ_IbLb0EEEEDaSV_SW_EUlSV_E_NS1_11comp_targetILNS1_3genE3ELNS1_11target_archE908ELNS1_3gpuE7ELNS1_3repE0EEENS1_30default_config_static_selectorELNS0_4arch9wavefront6targetE0EEEvT1_.num_vgpr, 0
	.set _ZN7rocprim17ROCPRIM_400000_NS6detail17trampoline_kernelINS0_14default_configENS1_27scan_by_key_config_selectorIllEEZZNS1_16scan_by_key_implILNS1_25lookback_scan_determinismE0ELb0ES3_N6thrust23THRUST_200600_302600_NS16reverse_iteratorIPKlEESD_NSA_IPlEElN6hipcub16HIPCUB_304000_NS3MaxENSH_8EqualityElEE10hipError_tPvRmT2_T3_T4_T5_mT6_T7_P12ihipStream_tbENKUlT_T0_E_clISt17integral_constantIbLb1EESZ_IbLb0EEEEDaSV_SW_EUlSV_E_NS1_11comp_targetILNS1_3genE3ELNS1_11target_archE908ELNS1_3gpuE7ELNS1_3repE0EEENS1_30default_config_static_selectorELNS0_4arch9wavefront6targetE0EEEvT1_.num_agpr, 0
	.set _ZN7rocprim17ROCPRIM_400000_NS6detail17trampoline_kernelINS0_14default_configENS1_27scan_by_key_config_selectorIllEEZZNS1_16scan_by_key_implILNS1_25lookback_scan_determinismE0ELb0ES3_N6thrust23THRUST_200600_302600_NS16reverse_iteratorIPKlEESD_NSA_IPlEElN6hipcub16HIPCUB_304000_NS3MaxENSH_8EqualityElEE10hipError_tPvRmT2_T3_T4_T5_mT6_T7_P12ihipStream_tbENKUlT_T0_E_clISt17integral_constantIbLb1EESZ_IbLb0EEEEDaSV_SW_EUlSV_E_NS1_11comp_targetILNS1_3genE3ELNS1_11target_archE908ELNS1_3gpuE7ELNS1_3repE0EEENS1_30default_config_static_selectorELNS0_4arch9wavefront6targetE0EEEvT1_.numbered_sgpr, 0
	.set _ZN7rocprim17ROCPRIM_400000_NS6detail17trampoline_kernelINS0_14default_configENS1_27scan_by_key_config_selectorIllEEZZNS1_16scan_by_key_implILNS1_25lookback_scan_determinismE0ELb0ES3_N6thrust23THRUST_200600_302600_NS16reverse_iteratorIPKlEESD_NSA_IPlEElN6hipcub16HIPCUB_304000_NS3MaxENSH_8EqualityElEE10hipError_tPvRmT2_T3_T4_T5_mT6_T7_P12ihipStream_tbENKUlT_T0_E_clISt17integral_constantIbLb1EESZ_IbLb0EEEEDaSV_SW_EUlSV_E_NS1_11comp_targetILNS1_3genE3ELNS1_11target_archE908ELNS1_3gpuE7ELNS1_3repE0EEENS1_30default_config_static_selectorELNS0_4arch9wavefront6targetE0EEEvT1_.num_named_barrier, 0
	.set _ZN7rocprim17ROCPRIM_400000_NS6detail17trampoline_kernelINS0_14default_configENS1_27scan_by_key_config_selectorIllEEZZNS1_16scan_by_key_implILNS1_25lookback_scan_determinismE0ELb0ES3_N6thrust23THRUST_200600_302600_NS16reverse_iteratorIPKlEESD_NSA_IPlEElN6hipcub16HIPCUB_304000_NS3MaxENSH_8EqualityElEE10hipError_tPvRmT2_T3_T4_T5_mT6_T7_P12ihipStream_tbENKUlT_T0_E_clISt17integral_constantIbLb1EESZ_IbLb0EEEEDaSV_SW_EUlSV_E_NS1_11comp_targetILNS1_3genE3ELNS1_11target_archE908ELNS1_3gpuE7ELNS1_3repE0EEENS1_30default_config_static_selectorELNS0_4arch9wavefront6targetE0EEEvT1_.private_seg_size, 0
	.set _ZN7rocprim17ROCPRIM_400000_NS6detail17trampoline_kernelINS0_14default_configENS1_27scan_by_key_config_selectorIllEEZZNS1_16scan_by_key_implILNS1_25lookback_scan_determinismE0ELb0ES3_N6thrust23THRUST_200600_302600_NS16reverse_iteratorIPKlEESD_NSA_IPlEElN6hipcub16HIPCUB_304000_NS3MaxENSH_8EqualityElEE10hipError_tPvRmT2_T3_T4_T5_mT6_T7_P12ihipStream_tbENKUlT_T0_E_clISt17integral_constantIbLb1EESZ_IbLb0EEEEDaSV_SW_EUlSV_E_NS1_11comp_targetILNS1_3genE3ELNS1_11target_archE908ELNS1_3gpuE7ELNS1_3repE0EEENS1_30default_config_static_selectorELNS0_4arch9wavefront6targetE0EEEvT1_.uses_vcc, 0
	.set _ZN7rocprim17ROCPRIM_400000_NS6detail17trampoline_kernelINS0_14default_configENS1_27scan_by_key_config_selectorIllEEZZNS1_16scan_by_key_implILNS1_25lookback_scan_determinismE0ELb0ES3_N6thrust23THRUST_200600_302600_NS16reverse_iteratorIPKlEESD_NSA_IPlEElN6hipcub16HIPCUB_304000_NS3MaxENSH_8EqualityElEE10hipError_tPvRmT2_T3_T4_T5_mT6_T7_P12ihipStream_tbENKUlT_T0_E_clISt17integral_constantIbLb1EESZ_IbLb0EEEEDaSV_SW_EUlSV_E_NS1_11comp_targetILNS1_3genE3ELNS1_11target_archE908ELNS1_3gpuE7ELNS1_3repE0EEENS1_30default_config_static_selectorELNS0_4arch9wavefront6targetE0EEEvT1_.uses_flat_scratch, 0
	.set _ZN7rocprim17ROCPRIM_400000_NS6detail17trampoline_kernelINS0_14default_configENS1_27scan_by_key_config_selectorIllEEZZNS1_16scan_by_key_implILNS1_25lookback_scan_determinismE0ELb0ES3_N6thrust23THRUST_200600_302600_NS16reverse_iteratorIPKlEESD_NSA_IPlEElN6hipcub16HIPCUB_304000_NS3MaxENSH_8EqualityElEE10hipError_tPvRmT2_T3_T4_T5_mT6_T7_P12ihipStream_tbENKUlT_T0_E_clISt17integral_constantIbLb1EESZ_IbLb0EEEEDaSV_SW_EUlSV_E_NS1_11comp_targetILNS1_3genE3ELNS1_11target_archE908ELNS1_3gpuE7ELNS1_3repE0EEENS1_30default_config_static_selectorELNS0_4arch9wavefront6targetE0EEEvT1_.has_dyn_sized_stack, 0
	.set _ZN7rocprim17ROCPRIM_400000_NS6detail17trampoline_kernelINS0_14default_configENS1_27scan_by_key_config_selectorIllEEZZNS1_16scan_by_key_implILNS1_25lookback_scan_determinismE0ELb0ES3_N6thrust23THRUST_200600_302600_NS16reverse_iteratorIPKlEESD_NSA_IPlEElN6hipcub16HIPCUB_304000_NS3MaxENSH_8EqualityElEE10hipError_tPvRmT2_T3_T4_T5_mT6_T7_P12ihipStream_tbENKUlT_T0_E_clISt17integral_constantIbLb1EESZ_IbLb0EEEEDaSV_SW_EUlSV_E_NS1_11comp_targetILNS1_3genE3ELNS1_11target_archE908ELNS1_3gpuE7ELNS1_3repE0EEENS1_30default_config_static_selectorELNS0_4arch9wavefront6targetE0EEEvT1_.has_recursion, 0
	.set _ZN7rocprim17ROCPRIM_400000_NS6detail17trampoline_kernelINS0_14default_configENS1_27scan_by_key_config_selectorIllEEZZNS1_16scan_by_key_implILNS1_25lookback_scan_determinismE0ELb0ES3_N6thrust23THRUST_200600_302600_NS16reverse_iteratorIPKlEESD_NSA_IPlEElN6hipcub16HIPCUB_304000_NS3MaxENSH_8EqualityElEE10hipError_tPvRmT2_T3_T4_T5_mT6_T7_P12ihipStream_tbENKUlT_T0_E_clISt17integral_constantIbLb1EESZ_IbLb0EEEEDaSV_SW_EUlSV_E_NS1_11comp_targetILNS1_3genE3ELNS1_11target_archE908ELNS1_3gpuE7ELNS1_3repE0EEENS1_30default_config_static_selectorELNS0_4arch9wavefront6targetE0EEEvT1_.has_indirect_call, 0
	.section	.AMDGPU.csdata,"",@progbits
; Kernel info:
; codeLenInByte = 0
; TotalNumSgprs: 0
; NumVgprs: 0
; ScratchSize: 0
; MemoryBound: 0
; FloatMode: 240
; IeeeMode: 1
; LDSByteSize: 0 bytes/workgroup (compile time only)
; SGPRBlocks: 0
; VGPRBlocks: 0
; NumSGPRsForWavesPerEU: 1
; NumVGPRsForWavesPerEU: 1
; Occupancy: 16
; WaveLimiterHint : 0
; COMPUTE_PGM_RSRC2:SCRATCH_EN: 0
; COMPUTE_PGM_RSRC2:USER_SGPR: 6
; COMPUTE_PGM_RSRC2:TRAP_HANDLER: 0
; COMPUTE_PGM_RSRC2:TGID_X_EN: 1
; COMPUTE_PGM_RSRC2:TGID_Y_EN: 0
; COMPUTE_PGM_RSRC2:TGID_Z_EN: 0
; COMPUTE_PGM_RSRC2:TIDIG_COMP_CNT: 0
	.section	.text._ZN7rocprim17ROCPRIM_400000_NS6detail17trampoline_kernelINS0_14default_configENS1_27scan_by_key_config_selectorIllEEZZNS1_16scan_by_key_implILNS1_25lookback_scan_determinismE0ELb0ES3_N6thrust23THRUST_200600_302600_NS16reverse_iteratorIPKlEESD_NSA_IPlEElN6hipcub16HIPCUB_304000_NS3MaxENSH_8EqualityElEE10hipError_tPvRmT2_T3_T4_T5_mT6_T7_P12ihipStream_tbENKUlT_T0_E_clISt17integral_constantIbLb1EESZ_IbLb0EEEEDaSV_SW_EUlSV_E_NS1_11comp_targetILNS1_3genE2ELNS1_11target_archE906ELNS1_3gpuE6ELNS1_3repE0EEENS1_30default_config_static_selectorELNS0_4arch9wavefront6targetE0EEEvT1_,"axG",@progbits,_ZN7rocprim17ROCPRIM_400000_NS6detail17trampoline_kernelINS0_14default_configENS1_27scan_by_key_config_selectorIllEEZZNS1_16scan_by_key_implILNS1_25lookback_scan_determinismE0ELb0ES3_N6thrust23THRUST_200600_302600_NS16reverse_iteratorIPKlEESD_NSA_IPlEElN6hipcub16HIPCUB_304000_NS3MaxENSH_8EqualityElEE10hipError_tPvRmT2_T3_T4_T5_mT6_T7_P12ihipStream_tbENKUlT_T0_E_clISt17integral_constantIbLb1EESZ_IbLb0EEEEDaSV_SW_EUlSV_E_NS1_11comp_targetILNS1_3genE2ELNS1_11target_archE906ELNS1_3gpuE6ELNS1_3repE0EEENS1_30default_config_static_selectorELNS0_4arch9wavefront6targetE0EEEvT1_,comdat
	.protected	_ZN7rocprim17ROCPRIM_400000_NS6detail17trampoline_kernelINS0_14default_configENS1_27scan_by_key_config_selectorIllEEZZNS1_16scan_by_key_implILNS1_25lookback_scan_determinismE0ELb0ES3_N6thrust23THRUST_200600_302600_NS16reverse_iteratorIPKlEESD_NSA_IPlEElN6hipcub16HIPCUB_304000_NS3MaxENSH_8EqualityElEE10hipError_tPvRmT2_T3_T4_T5_mT6_T7_P12ihipStream_tbENKUlT_T0_E_clISt17integral_constantIbLb1EESZ_IbLb0EEEEDaSV_SW_EUlSV_E_NS1_11comp_targetILNS1_3genE2ELNS1_11target_archE906ELNS1_3gpuE6ELNS1_3repE0EEENS1_30default_config_static_selectorELNS0_4arch9wavefront6targetE0EEEvT1_ ; -- Begin function _ZN7rocprim17ROCPRIM_400000_NS6detail17trampoline_kernelINS0_14default_configENS1_27scan_by_key_config_selectorIllEEZZNS1_16scan_by_key_implILNS1_25lookback_scan_determinismE0ELb0ES3_N6thrust23THRUST_200600_302600_NS16reverse_iteratorIPKlEESD_NSA_IPlEElN6hipcub16HIPCUB_304000_NS3MaxENSH_8EqualityElEE10hipError_tPvRmT2_T3_T4_T5_mT6_T7_P12ihipStream_tbENKUlT_T0_E_clISt17integral_constantIbLb1EESZ_IbLb0EEEEDaSV_SW_EUlSV_E_NS1_11comp_targetILNS1_3genE2ELNS1_11target_archE906ELNS1_3gpuE6ELNS1_3repE0EEENS1_30default_config_static_selectorELNS0_4arch9wavefront6targetE0EEEvT1_
	.globl	_ZN7rocprim17ROCPRIM_400000_NS6detail17trampoline_kernelINS0_14default_configENS1_27scan_by_key_config_selectorIllEEZZNS1_16scan_by_key_implILNS1_25lookback_scan_determinismE0ELb0ES3_N6thrust23THRUST_200600_302600_NS16reverse_iteratorIPKlEESD_NSA_IPlEElN6hipcub16HIPCUB_304000_NS3MaxENSH_8EqualityElEE10hipError_tPvRmT2_T3_T4_T5_mT6_T7_P12ihipStream_tbENKUlT_T0_E_clISt17integral_constantIbLb1EESZ_IbLb0EEEEDaSV_SW_EUlSV_E_NS1_11comp_targetILNS1_3genE2ELNS1_11target_archE906ELNS1_3gpuE6ELNS1_3repE0EEENS1_30default_config_static_selectorELNS0_4arch9wavefront6targetE0EEEvT1_
	.p2align	8
	.type	_ZN7rocprim17ROCPRIM_400000_NS6detail17trampoline_kernelINS0_14default_configENS1_27scan_by_key_config_selectorIllEEZZNS1_16scan_by_key_implILNS1_25lookback_scan_determinismE0ELb0ES3_N6thrust23THRUST_200600_302600_NS16reverse_iteratorIPKlEESD_NSA_IPlEElN6hipcub16HIPCUB_304000_NS3MaxENSH_8EqualityElEE10hipError_tPvRmT2_T3_T4_T5_mT6_T7_P12ihipStream_tbENKUlT_T0_E_clISt17integral_constantIbLb1EESZ_IbLb0EEEEDaSV_SW_EUlSV_E_NS1_11comp_targetILNS1_3genE2ELNS1_11target_archE906ELNS1_3gpuE6ELNS1_3repE0EEENS1_30default_config_static_selectorELNS0_4arch9wavefront6targetE0EEEvT1_,@function
_ZN7rocprim17ROCPRIM_400000_NS6detail17trampoline_kernelINS0_14default_configENS1_27scan_by_key_config_selectorIllEEZZNS1_16scan_by_key_implILNS1_25lookback_scan_determinismE0ELb0ES3_N6thrust23THRUST_200600_302600_NS16reverse_iteratorIPKlEESD_NSA_IPlEElN6hipcub16HIPCUB_304000_NS3MaxENSH_8EqualityElEE10hipError_tPvRmT2_T3_T4_T5_mT6_T7_P12ihipStream_tbENKUlT_T0_E_clISt17integral_constantIbLb1EESZ_IbLb0EEEEDaSV_SW_EUlSV_E_NS1_11comp_targetILNS1_3genE2ELNS1_11target_archE906ELNS1_3gpuE6ELNS1_3repE0EEENS1_30default_config_static_selectorELNS0_4arch9wavefront6targetE0EEEvT1_: ; @_ZN7rocprim17ROCPRIM_400000_NS6detail17trampoline_kernelINS0_14default_configENS1_27scan_by_key_config_selectorIllEEZZNS1_16scan_by_key_implILNS1_25lookback_scan_determinismE0ELb0ES3_N6thrust23THRUST_200600_302600_NS16reverse_iteratorIPKlEESD_NSA_IPlEElN6hipcub16HIPCUB_304000_NS3MaxENSH_8EqualityElEE10hipError_tPvRmT2_T3_T4_T5_mT6_T7_P12ihipStream_tbENKUlT_T0_E_clISt17integral_constantIbLb1EESZ_IbLb0EEEEDaSV_SW_EUlSV_E_NS1_11comp_targetILNS1_3genE2ELNS1_11target_archE906ELNS1_3gpuE6ELNS1_3repE0EEENS1_30default_config_static_selectorELNS0_4arch9wavefront6targetE0EEEvT1_
; %bb.0:
	.section	.rodata,"a",@progbits
	.p2align	6, 0x0
	.amdhsa_kernel _ZN7rocprim17ROCPRIM_400000_NS6detail17trampoline_kernelINS0_14default_configENS1_27scan_by_key_config_selectorIllEEZZNS1_16scan_by_key_implILNS1_25lookback_scan_determinismE0ELb0ES3_N6thrust23THRUST_200600_302600_NS16reverse_iteratorIPKlEESD_NSA_IPlEElN6hipcub16HIPCUB_304000_NS3MaxENSH_8EqualityElEE10hipError_tPvRmT2_T3_T4_T5_mT6_T7_P12ihipStream_tbENKUlT_T0_E_clISt17integral_constantIbLb1EESZ_IbLb0EEEEDaSV_SW_EUlSV_E_NS1_11comp_targetILNS1_3genE2ELNS1_11target_archE906ELNS1_3gpuE6ELNS1_3repE0EEENS1_30default_config_static_selectorELNS0_4arch9wavefront6targetE0EEEvT1_
		.amdhsa_group_segment_fixed_size 0
		.amdhsa_private_segment_fixed_size 0
		.amdhsa_kernarg_size 136
		.amdhsa_user_sgpr_count 6
		.amdhsa_user_sgpr_private_segment_buffer 1
		.amdhsa_user_sgpr_dispatch_ptr 0
		.amdhsa_user_sgpr_queue_ptr 0
		.amdhsa_user_sgpr_kernarg_segment_ptr 1
		.amdhsa_user_sgpr_dispatch_id 0
		.amdhsa_user_sgpr_flat_scratch_init 0
		.amdhsa_user_sgpr_private_segment_size 0
		.amdhsa_wavefront_size32 1
		.amdhsa_uses_dynamic_stack 0
		.amdhsa_system_sgpr_private_segment_wavefront_offset 0
		.amdhsa_system_sgpr_workgroup_id_x 1
		.amdhsa_system_sgpr_workgroup_id_y 0
		.amdhsa_system_sgpr_workgroup_id_z 0
		.amdhsa_system_sgpr_workgroup_info 0
		.amdhsa_system_vgpr_workitem_id 0
		.amdhsa_next_free_vgpr 1
		.amdhsa_next_free_sgpr 1
		.amdhsa_reserve_vcc 0
		.amdhsa_reserve_flat_scratch 0
		.amdhsa_float_round_mode_32 0
		.amdhsa_float_round_mode_16_64 0
		.amdhsa_float_denorm_mode_32 3
		.amdhsa_float_denorm_mode_16_64 3
		.amdhsa_dx10_clamp 1
		.amdhsa_ieee_mode 1
		.amdhsa_fp16_overflow 0
		.amdhsa_workgroup_processor_mode 1
		.amdhsa_memory_ordered 1
		.amdhsa_forward_progress 1
		.amdhsa_shared_vgpr_count 0
		.amdhsa_exception_fp_ieee_invalid_op 0
		.amdhsa_exception_fp_denorm_src 0
		.amdhsa_exception_fp_ieee_div_zero 0
		.amdhsa_exception_fp_ieee_overflow 0
		.amdhsa_exception_fp_ieee_underflow 0
		.amdhsa_exception_fp_ieee_inexact 0
		.amdhsa_exception_int_div_zero 0
	.end_amdhsa_kernel
	.section	.text._ZN7rocprim17ROCPRIM_400000_NS6detail17trampoline_kernelINS0_14default_configENS1_27scan_by_key_config_selectorIllEEZZNS1_16scan_by_key_implILNS1_25lookback_scan_determinismE0ELb0ES3_N6thrust23THRUST_200600_302600_NS16reverse_iteratorIPKlEESD_NSA_IPlEElN6hipcub16HIPCUB_304000_NS3MaxENSH_8EqualityElEE10hipError_tPvRmT2_T3_T4_T5_mT6_T7_P12ihipStream_tbENKUlT_T0_E_clISt17integral_constantIbLb1EESZ_IbLb0EEEEDaSV_SW_EUlSV_E_NS1_11comp_targetILNS1_3genE2ELNS1_11target_archE906ELNS1_3gpuE6ELNS1_3repE0EEENS1_30default_config_static_selectorELNS0_4arch9wavefront6targetE0EEEvT1_,"axG",@progbits,_ZN7rocprim17ROCPRIM_400000_NS6detail17trampoline_kernelINS0_14default_configENS1_27scan_by_key_config_selectorIllEEZZNS1_16scan_by_key_implILNS1_25lookback_scan_determinismE0ELb0ES3_N6thrust23THRUST_200600_302600_NS16reverse_iteratorIPKlEESD_NSA_IPlEElN6hipcub16HIPCUB_304000_NS3MaxENSH_8EqualityElEE10hipError_tPvRmT2_T3_T4_T5_mT6_T7_P12ihipStream_tbENKUlT_T0_E_clISt17integral_constantIbLb1EESZ_IbLb0EEEEDaSV_SW_EUlSV_E_NS1_11comp_targetILNS1_3genE2ELNS1_11target_archE906ELNS1_3gpuE6ELNS1_3repE0EEENS1_30default_config_static_selectorELNS0_4arch9wavefront6targetE0EEEvT1_,comdat
.Lfunc_end162:
	.size	_ZN7rocprim17ROCPRIM_400000_NS6detail17trampoline_kernelINS0_14default_configENS1_27scan_by_key_config_selectorIllEEZZNS1_16scan_by_key_implILNS1_25lookback_scan_determinismE0ELb0ES3_N6thrust23THRUST_200600_302600_NS16reverse_iteratorIPKlEESD_NSA_IPlEElN6hipcub16HIPCUB_304000_NS3MaxENSH_8EqualityElEE10hipError_tPvRmT2_T3_T4_T5_mT6_T7_P12ihipStream_tbENKUlT_T0_E_clISt17integral_constantIbLb1EESZ_IbLb0EEEEDaSV_SW_EUlSV_E_NS1_11comp_targetILNS1_3genE2ELNS1_11target_archE906ELNS1_3gpuE6ELNS1_3repE0EEENS1_30default_config_static_selectorELNS0_4arch9wavefront6targetE0EEEvT1_, .Lfunc_end162-_ZN7rocprim17ROCPRIM_400000_NS6detail17trampoline_kernelINS0_14default_configENS1_27scan_by_key_config_selectorIllEEZZNS1_16scan_by_key_implILNS1_25lookback_scan_determinismE0ELb0ES3_N6thrust23THRUST_200600_302600_NS16reverse_iteratorIPKlEESD_NSA_IPlEElN6hipcub16HIPCUB_304000_NS3MaxENSH_8EqualityElEE10hipError_tPvRmT2_T3_T4_T5_mT6_T7_P12ihipStream_tbENKUlT_T0_E_clISt17integral_constantIbLb1EESZ_IbLb0EEEEDaSV_SW_EUlSV_E_NS1_11comp_targetILNS1_3genE2ELNS1_11target_archE906ELNS1_3gpuE6ELNS1_3repE0EEENS1_30default_config_static_selectorELNS0_4arch9wavefront6targetE0EEEvT1_
                                        ; -- End function
	.set _ZN7rocprim17ROCPRIM_400000_NS6detail17trampoline_kernelINS0_14default_configENS1_27scan_by_key_config_selectorIllEEZZNS1_16scan_by_key_implILNS1_25lookback_scan_determinismE0ELb0ES3_N6thrust23THRUST_200600_302600_NS16reverse_iteratorIPKlEESD_NSA_IPlEElN6hipcub16HIPCUB_304000_NS3MaxENSH_8EqualityElEE10hipError_tPvRmT2_T3_T4_T5_mT6_T7_P12ihipStream_tbENKUlT_T0_E_clISt17integral_constantIbLb1EESZ_IbLb0EEEEDaSV_SW_EUlSV_E_NS1_11comp_targetILNS1_3genE2ELNS1_11target_archE906ELNS1_3gpuE6ELNS1_3repE0EEENS1_30default_config_static_selectorELNS0_4arch9wavefront6targetE0EEEvT1_.num_vgpr, 0
	.set _ZN7rocprim17ROCPRIM_400000_NS6detail17trampoline_kernelINS0_14default_configENS1_27scan_by_key_config_selectorIllEEZZNS1_16scan_by_key_implILNS1_25lookback_scan_determinismE0ELb0ES3_N6thrust23THRUST_200600_302600_NS16reverse_iteratorIPKlEESD_NSA_IPlEElN6hipcub16HIPCUB_304000_NS3MaxENSH_8EqualityElEE10hipError_tPvRmT2_T3_T4_T5_mT6_T7_P12ihipStream_tbENKUlT_T0_E_clISt17integral_constantIbLb1EESZ_IbLb0EEEEDaSV_SW_EUlSV_E_NS1_11comp_targetILNS1_3genE2ELNS1_11target_archE906ELNS1_3gpuE6ELNS1_3repE0EEENS1_30default_config_static_selectorELNS0_4arch9wavefront6targetE0EEEvT1_.num_agpr, 0
	.set _ZN7rocprim17ROCPRIM_400000_NS6detail17trampoline_kernelINS0_14default_configENS1_27scan_by_key_config_selectorIllEEZZNS1_16scan_by_key_implILNS1_25lookback_scan_determinismE0ELb0ES3_N6thrust23THRUST_200600_302600_NS16reverse_iteratorIPKlEESD_NSA_IPlEElN6hipcub16HIPCUB_304000_NS3MaxENSH_8EqualityElEE10hipError_tPvRmT2_T3_T4_T5_mT6_T7_P12ihipStream_tbENKUlT_T0_E_clISt17integral_constantIbLb1EESZ_IbLb0EEEEDaSV_SW_EUlSV_E_NS1_11comp_targetILNS1_3genE2ELNS1_11target_archE906ELNS1_3gpuE6ELNS1_3repE0EEENS1_30default_config_static_selectorELNS0_4arch9wavefront6targetE0EEEvT1_.numbered_sgpr, 0
	.set _ZN7rocprim17ROCPRIM_400000_NS6detail17trampoline_kernelINS0_14default_configENS1_27scan_by_key_config_selectorIllEEZZNS1_16scan_by_key_implILNS1_25lookback_scan_determinismE0ELb0ES3_N6thrust23THRUST_200600_302600_NS16reverse_iteratorIPKlEESD_NSA_IPlEElN6hipcub16HIPCUB_304000_NS3MaxENSH_8EqualityElEE10hipError_tPvRmT2_T3_T4_T5_mT6_T7_P12ihipStream_tbENKUlT_T0_E_clISt17integral_constantIbLb1EESZ_IbLb0EEEEDaSV_SW_EUlSV_E_NS1_11comp_targetILNS1_3genE2ELNS1_11target_archE906ELNS1_3gpuE6ELNS1_3repE0EEENS1_30default_config_static_selectorELNS0_4arch9wavefront6targetE0EEEvT1_.num_named_barrier, 0
	.set _ZN7rocprim17ROCPRIM_400000_NS6detail17trampoline_kernelINS0_14default_configENS1_27scan_by_key_config_selectorIllEEZZNS1_16scan_by_key_implILNS1_25lookback_scan_determinismE0ELb0ES3_N6thrust23THRUST_200600_302600_NS16reverse_iteratorIPKlEESD_NSA_IPlEElN6hipcub16HIPCUB_304000_NS3MaxENSH_8EqualityElEE10hipError_tPvRmT2_T3_T4_T5_mT6_T7_P12ihipStream_tbENKUlT_T0_E_clISt17integral_constantIbLb1EESZ_IbLb0EEEEDaSV_SW_EUlSV_E_NS1_11comp_targetILNS1_3genE2ELNS1_11target_archE906ELNS1_3gpuE6ELNS1_3repE0EEENS1_30default_config_static_selectorELNS0_4arch9wavefront6targetE0EEEvT1_.private_seg_size, 0
	.set _ZN7rocprim17ROCPRIM_400000_NS6detail17trampoline_kernelINS0_14default_configENS1_27scan_by_key_config_selectorIllEEZZNS1_16scan_by_key_implILNS1_25lookback_scan_determinismE0ELb0ES3_N6thrust23THRUST_200600_302600_NS16reverse_iteratorIPKlEESD_NSA_IPlEElN6hipcub16HIPCUB_304000_NS3MaxENSH_8EqualityElEE10hipError_tPvRmT2_T3_T4_T5_mT6_T7_P12ihipStream_tbENKUlT_T0_E_clISt17integral_constantIbLb1EESZ_IbLb0EEEEDaSV_SW_EUlSV_E_NS1_11comp_targetILNS1_3genE2ELNS1_11target_archE906ELNS1_3gpuE6ELNS1_3repE0EEENS1_30default_config_static_selectorELNS0_4arch9wavefront6targetE0EEEvT1_.uses_vcc, 0
	.set _ZN7rocprim17ROCPRIM_400000_NS6detail17trampoline_kernelINS0_14default_configENS1_27scan_by_key_config_selectorIllEEZZNS1_16scan_by_key_implILNS1_25lookback_scan_determinismE0ELb0ES3_N6thrust23THRUST_200600_302600_NS16reverse_iteratorIPKlEESD_NSA_IPlEElN6hipcub16HIPCUB_304000_NS3MaxENSH_8EqualityElEE10hipError_tPvRmT2_T3_T4_T5_mT6_T7_P12ihipStream_tbENKUlT_T0_E_clISt17integral_constantIbLb1EESZ_IbLb0EEEEDaSV_SW_EUlSV_E_NS1_11comp_targetILNS1_3genE2ELNS1_11target_archE906ELNS1_3gpuE6ELNS1_3repE0EEENS1_30default_config_static_selectorELNS0_4arch9wavefront6targetE0EEEvT1_.uses_flat_scratch, 0
	.set _ZN7rocprim17ROCPRIM_400000_NS6detail17trampoline_kernelINS0_14default_configENS1_27scan_by_key_config_selectorIllEEZZNS1_16scan_by_key_implILNS1_25lookback_scan_determinismE0ELb0ES3_N6thrust23THRUST_200600_302600_NS16reverse_iteratorIPKlEESD_NSA_IPlEElN6hipcub16HIPCUB_304000_NS3MaxENSH_8EqualityElEE10hipError_tPvRmT2_T3_T4_T5_mT6_T7_P12ihipStream_tbENKUlT_T0_E_clISt17integral_constantIbLb1EESZ_IbLb0EEEEDaSV_SW_EUlSV_E_NS1_11comp_targetILNS1_3genE2ELNS1_11target_archE906ELNS1_3gpuE6ELNS1_3repE0EEENS1_30default_config_static_selectorELNS0_4arch9wavefront6targetE0EEEvT1_.has_dyn_sized_stack, 0
	.set _ZN7rocprim17ROCPRIM_400000_NS6detail17trampoline_kernelINS0_14default_configENS1_27scan_by_key_config_selectorIllEEZZNS1_16scan_by_key_implILNS1_25lookback_scan_determinismE0ELb0ES3_N6thrust23THRUST_200600_302600_NS16reverse_iteratorIPKlEESD_NSA_IPlEElN6hipcub16HIPCUB_304000_NS3MaxENSH_8EqualityElEE10hipError_tPvRmT2_T3_T4_T5_mT6_T7_P12ihipStream_tbENKUlT_T0_E_clISt17integral_constantIbLb1EESZ_IbLb0EEEEDaSV_SW_EUlSV_E_NS1_11comp_targetILNS1_3genE2ELNS1_11target_archE906ELNS1_3gpuE6ELNS1_3repE0EEENS1_30default_config_static_selectorELNS0_4arch9wavefront6targetE0EEEvT1_.has_recursion, 0
	.set _ZN7rocprim17ROCPRIM_400000_NS6detail17trampoline_kernelINS0_14default_configENS1_27scan_by_key_config_selectorIllEEZZNS1_16scan_by_key_implILNS1_25lookback_scan_determinismE0ELb0ES3_N6thrust23THRUST_200600_302600_NS16reverse_iteratorIPKlEESD_NSA_IPlEElN6hipcub16HIPCUB_304000_NS3MaxENSH_8EqualityElEE10hipError_tPvRmT2_T3_T4_T5_mT6_T7_P12ihipStream_tbENKUlT_T0_E_clISt17integral_constantIbLb1EESZ_IbLb0EEEEDaSV_SW_EUlSV_E_NS1_11comp_targetILNS1_3genE2ELNS1_11target_archE906ELNS1_3gpuE6ELNS1_3repE0EEENS1_30default_config_static_selectorELNS0_4arch9wavefront6targetE0EEEvT1_.has_indirect_call, 0
	.section	.AMDGPU.csdata,"",@progbits
; Kernel info:
; codeLenInByte = 0
; TotalNumSgprs: 0
; NumVgprs: 0
; ScratchSize: 0
; MemoryBound: 0
; FloatMode: 240
; IeeeMode: 1
; LDSByteSize: 0 bytes/workgroup (compile time only)
; SGPRBlocks: 0
; VGPRBlocks: 0
; NumSGPRsForWavesPerEU: 1
; NumVGPRsForWavesPerEU: 1
; Occupancy: 16
; WaveLimiterHint : 0
; COMPUTE_PGM_RSRC2:SCRATCH_EN: 0
; COMPUTE_PGM_RSRC2:USER_SGPR: 6
; COMPUTE_PGM_RSRC2:TRAP_HANDLER: 0
; COMPUTE_PGM_RSRC2:TGID_X_EN: 1
; COMPUTE_PGM_RSRC2:TGID_Y_EN: 0
; COMPUTE_PGM_RSRC2:TGID_Z_EN: 0
; COMPUTE_PGM_RSRC2:TIDIG_COMP_CNT: 0
	.section	.text._ZN7rocprim17ROCPRIM_400000_NS6detail17trampoline_kernelINS0_14default_configENS1_27scan_by_key_config_selectorIllEEZZNS1_16scan_by_key_implILNS1_25lookback_scan_determinismE0ELb0ES3_N6thrust23THRUST_200600_302600_NS16reverse_iteratorIPKlEESD_NSA_IPlEElN6hipcub16HIPCUB_304000_NS3MaxENSH_8EqualityElEE10hipError_tPvRmT2_T3_T4_T5_mT6_T7_P12ihipStream_tbENKUlT_T0_E_clISt17integral_constantIbLb1EESZ_IbLb0EEEEDaSV_SW_EUlSV_E_NS1_11comp_targetILNS1_3genE10ELNS1_11target_archE1200ELNS1_3gpuE4ELNS1_3repE0EEENS1_30default_config_static_selectorELNS0_4arch9wavefront6targetE0EEEvT1_,"axG",@progbits,_ZN7rocprim17ROCPRIM_400000_NS6detail17trampoline_kernelINS0_14default_configENS1_27scan_by_key_config_selectorIllEEZZNS1_16scan_by_key_implILNS1_25lookback_scan_determinismE0ELb0ES3_N6thrust23THRUST_200600_302600_NS16reverse_iteratorIPKlEESD_NSA_IPlEElN6hipcub16HIPCUB_304000_NS3MaxENSH_8EqualityElEE10hipError_tPvRmT2_T3_T4_T5_mT6_T7_P12ihipStream_tbENKUlT_T0_E_clISt17integral_constantIbLb1EESZ_IbLb0EEEEDaSV_SW_EUlSV_E_NS1_11comp_targetILNS1_3genE10ELNS1_11target_archE1200ELNS1_3gpuE4ELNS1_3repE0EEENS1_30default_config_static_selectorELNS0_4arch9wavefront6targetE0EEEvT1_,comdat
	.protected	_ZN7rocprim17ROCPRIM_400000_NS6detail17trampoline_kernelINS0_14default_configENS1_27scan_by_key_config_selectorIllEEZZNS1_16scan_by_key_implILNS1_25lookback_scan_determinismE0ELb0ES3_N6thrust23THRUST_200600_302600_NS16reverse_iteratorIPKlEESD_NSA_IPlEElN6hipcub16HIPCUB_304000_NS3MaxENSH_8EqualityElEE10hipError_tPvRmT2_T3_T4_T5_mT6_T7_P12ihipStream_tbENKUlT_T0_E_clISt17integral_constantIbLb1EESZ_IbLb0EEEEDaSV_SW_EUlSV_E_NS1_11comp_targetILNS1_3genE10ELNS1_11target_archE1200ELNS1_3gpuE4ELNS1_3repE0EEENS1_30default_config_static_selectorELNS0_4arch9wavefront6targetE0EEEvT1_ ; -- Begin function _ZN7rocprim17ROCPRIM_400000_NS6detail17trampoline_kernelINS0_14default_configENS1_27scan_by_key_config_selectorIllEEZZNS1_16scan_by_key_implILNS1_25lookback_scan_determinismE0ELb0ES3_N6thrust23THRUST_200600_302600_NS16reverse_iteratorIPKlEESD_NSA_IPlEElN6hipcub16HIPCUB_304000_NS3MaxENSH_8EqualityElEE10hipError_tPvRmT2_T3_T4_T5_mT6_T7_P12ihipStream_tbENKUlT_T0_E_clISt17integral_constantIbLb1EESZ_IbLb0EEEEDaSV_SW_EUlSV_E_NS1_11comp_targetILNS1_3genE10ELNS1_11target_archE1200ELNS1_3gpuE4ELNS1_3repE0EEENS1_30default_config_static_selectorELNS0_4arch9wavefront6targetE0EEEvT1_
	.globl	_ZN7rocprim17ROCPRIM_400000_NS6detail17trampoline_kernelINS0_14default_configENS1_27scan_by_key_config_selectorIllEEZZNS1_16scan_by_key_implILNS1_25lookback_scan_determinismE0ELb0ES3_N6thrust23THRUST_200600_302600_NS16reverse_iteratorIPKlEESD_NSA_IPlEElN6hipcub16HIPCUB_304000_NS3MaxENSH_8EqualityElEE10hipError_tPvRmT2_T3_T4_T5_mT6_T7_P12ihipStream_tbENKUlT_T0_E_clISt17integral_constantIbLb1EESZ_IbLb0EEEEDaSV_SW_EUlSV_E_NS1_11comp_targetILNS1_3genE10ELNS1_11target_archE1200ELNS1_3gpuE4ELNS1_3repE0EEENS1_30default_config_static_selectorELNS0_4arch9wavefront6targetE0EEEvT1_
	.p2align	8
	.type	_ZN7rocprim17ROCPRIM_400000_NS6detail17trampoline_kernelINS0_14default_configENS1_27scan_by_key_config_selectorIllEEZZNS1_16scan_by_key_implILNS1_25lookback_scan_determinismE0ELb0ES3_N6thrust23THRUST_200600_302600_NS16reverse_iteratorIPKlEESD_NSA_IPlEElN6hipcub16HIPCUB_304000_NS3MaxENSH_8EqualityElEE10hipError_tPvRmT2_T3_T4_T5_mT6_T7_P12ihipStream_tbENKUlT_T0_E_clISt17integral_constantIbLb1EESZ_IbLb0EEEEDaSV_SW_EUlSV_E_NS1_11comp_targetILNS1_3genE10ELNS1_11target_archE1200ELNS1_3gpuE4ELNS1_3repE0EEENS1_30default_config_static_selectorELNS0_4arch9wavefront6targetE0EEEvT1_,@function
_ZN7rocprim17ROCPRIM_400000_NS6detail17trampoline_kernelINS0_14default_configENS1_27scan_by_key_config_selectorIllEEZZNS1_16scan_by_key_implILNS1_25lookback_scan_determinismE0ELb0ES3_N6thrust23THRUST_200600_302600_NS16reverse_iteratorIPKlEESD_NSA_IPlEElN6hipcub16HIPCUB_304000_NS3MaxENSH_8EqualityElEE10hipError_tPvRmT2_T3_T4_T5_mT6_T7_P12ihipStream_tbENKUlT_T0_E_clISt17integral_constantIbLb1EESZ_IbLb0EEEEDaSV_SW_EUlSV_E_NS1_11comp_targetILNS1_3genE10ELNS1_11target_archE1200ELNS1_3gpuE4ELNS1_3repE0EEENS1_30default_config_static_selectorELNS0_4arch9wavefront6targetE0EEEvT1_: ; @_ZN7rocprim17ROCPRIM_400000_NS6detail17trampoline_kernelINS0_14default_configENS1_27scan_by_key_config_selectorIllEEZZNS1_16scan_by_key_implILNS1_25lookback_scan_determinismE0ELb0ES3_N6thrust23THRUST_200600_302600_NS16reverse_iteratorIPKlEESD_NSA_IPlEElN6hipcub16HIPCUB_304000_NS3MaxENSH_8EqualityElEE10hipError_tPvRmT2_T3_T4_T5_mT6_T7_P12ihipStream_tbENKUlT_T0_E_clISt17integral_constantIbLb1EESZ_IbLb0EEEEDaSV_SW_EUlSV_E_NS1_11comp_targetILNS1_3genE10ELNS1_11target_archE1200ELNS1_3gpuE4ELNS1_3repE0EEENS1_30default_config_static_selectorELNS0_4arch9wavefront6targetE0EEEvT1_
; %bb.0:
	.section	.rodata,"a",@progbits
	.p2align	6, 0x0
	.amdhsa_kernel _ZN7rocprim17ROCPRIM_400000_NS6detail17trampoline_kernelINS0_14default_configENS1_27scan_by_key_config_selectorIllEEZZNS1_16scan_by_key_implILNS1_25lookback_scan_determinismE0ELb0ES3_N6thrust23THRUST_200600_302600_NS16reverse_iteratorIPKlEESD_NSA_IPlEElN6hipcub16HIPCUB_304000_NS3MaxENSH_8EqualityElEE10hipError_tPvRmT2_T3_T4_T5_mT6_T7_P12ihipStream_tbENKUlT_T0_E_clISt17integral_constantIbLb1EESZ_IbLb0EEEEDaSV_SW_EUlSV_E_NS1_11comp_targetILNS1_3genE10ELNS1_11target_archE1200ELNS1_3gpuE4ELNS1_3repE0EEENS1_30default_config_static_selectorELNS0_4arch9wavefront6targetE0EEEvT1_
		.amdhsa_group_segment_fixed_size 0
		.amdhsa_private_segment_fixed_size 0
		.amdhsa_kernarg_size 136
		.amdhsa_user_sgpr_count 6
		.amdhsa_user_sgpr_private_segment_buffer 1
		.amdhsa_user_sgpr_dispatch_ptr 0
		.amdhsa_user_sgpr_queue_ptr 0
		.amdhsa_user_sgpr_kernarg_segment_ptr 1
		.amdhsa_user_sgpr_dispatch_id 0
		.amdhsa_user_sgpr_flat_scratch_init 0
		.amdhsa_user_sgpr_private_segment_size 0
		.amdhsa_wavefront_size32 1
		.amdhsa_uses_dynamic_stack 0
		.amdhsa_system_sgpr_private_segment_wavefront_offset 0
		.amdhsa_system_sgpr_workgroup_id_x 1
		.amdhsa_system_sgpr_workgroup_id_y 0
		.amdhsa_system_sgpr_workgroup_id_z 0
		.amdhsa_system_sgpr_workgroup_info 0
		.amdhsa_system_vgpr_workitem_id 0
		.amdhsa_next_free_vgpr 1
		.amdhsa_next_free_sgpr 1
		.amdhsa_reserve_vcc 0
		.amdhsa_reserve_flat_scratch 0
		.amdhsa_float_round_mode_32 0
		.amdhsa_float_round_mode_16_64 0
		.amdhsa_float_denorm_mode_32 3
		.amdhsa_float_denorm_mode_16_64 3
		.amdhsa_dx10_clamp 1
		.amdhsa_ieee_mode 1
		.amdhsa_fp16_overflow 0
		.amdhsa_workgroup_processor_mode 1
		.amdhsa_memory_ordered 1
		.amdhsa_forward_progress 1
		.amdhsa_shared_vgpr_count 0
		.amdhsa_exception_fp_ieee_invalid_op 0
		.amdhsa_exception_fp_denorm_src 0
		.amdhsa_exception_fp_ieee_div_zero 0
		.amdhsa_exception_fp_ieee_overflow 0
		.amdhsa_exception_fp_ieee_underflow 0
		.amdhsa_exception_fp_ieee_inexact 0
		.amdhsa_exception_int_div_zero 0
	.end_amdhsa_kernel
	.section	.text._ZN7rocprim17ROCPRIM_400000_NS6detail17trampoline_kernelINS0_14default_configENS1_27scan_by_key_config_selectorIllEEZZNS1_16scan_by_key_implILNS1_25lookback_scan_determinismE0ELb0ES3_N6thrust23THRUST_200600_302600_NS16reverse_iteratorIPKlEESD_NSA_IPlEElN6hipcub16HIPCUB_304000_NS3MaxENSH_8EqualityElEE10hipError_tPvRmT2_T3_T4_T5_mT6_T7_P12ihipStream_tbENKUlT_T0_E_clISt17integral_constantIbLb1EESZ_IbLb0EEEEDaSV_SW_EUlSV_E_NS1_11comp_targetILNS1_3genE10ELNS1_11target_archE1200ELNS1_3gpuE4ELNS1_3repE0EEENS1_30default_config_static_selectorELNS0_4arch9wavefront6targetE0EEEvT1_,"axG",@progbits,_ZN7rocprim17ROCPRIM_400000_NS6detail17trampoline_kernelINS0_14default_configENS1_27scan_by_key_config_selectorIllEEZZNS1_16scan_by_key_implILNS1_25lookback_scan_determinismE0ELb0ES3_N6thrust23THRUST_200600_302600_NS16reverse_iteratorIPKlEESD_NSA_IPlEElN6hipcub16HIPCUB_304000_NS3MaxENSH_8EqualityElEE10hipError_tPvRmT2_T3_T4_T5_mT6_T7_P12ihipStream_tbENKUlT_T0_E_clISt17integral_constantIbLb1EESZ_IbLb0EEEEDaSV_SW_EUlSV_E_NS1_11comp_targetILNS1_3genE10ELNS1_11target_archE1200ELNS1_3gpuE4ELNS1_3repE0EEENS1_30default_config_static_selectorELNS0_4arch9wavefront6targetE0EEEvT1_,comdat
.Lfunc_end163:
	.size	_ZN7rocprim17ROCPRIM_400000_NS6detail17trampoline_kernelINS0_14default_configENS1_27scan_by_key_config_selectorIllEEZZNS1_16scan_by_key_implILNS1_25lookback_scan_determinismE0ELb0ES3_N6thrust23THRUST_200600_302600_NS16reverse_iteratorIPKlEESD_NSA_IPlEElN6hipcub16HIPCUB_304000_NS3MaxENSH_8EqualityElEE10hipError_tPvRmT2_T3_T4_T5_mT6_T7_P12ihipStream_tbENKUlT_T0_E_clISt17integral_constantIbLb1EESZ_IbLb0EEEEDaSV_SW_EUlSV_E_NS1_11comp_targetILNS1_3genE10ELNS1_11target_archE1200ELNS1_3gpuE4ELNS1_3repE0EEENS1_30default_config_static_selectorELNS0_4arch9wavefront6targetE0EEEvT1_, .Lfunc_end163-_ZN7rocprim17ROCPRIM_400000_NS6detail17trampoline_kernelINS0_14default_configENS1_27scan_by_key_config_selectorIllEEZZNS1_16scan_by_key_implILNS1_25lookback_scan_determinismE0ELb0ES3_N6thrust23THRUST_200600_302600_NS16reverse_iteratorIPKlEESD_NSA_IPlEElN6hipcub16HIPCUB_304000_NS3MaxENSH_8EqualityElEE10hipError_tPvRmT2_T3_T4_T5_mT6_T7_P12ihipStream_tbENKUlT_T0_E_clISt17integral_constantIbLb1EESZ_IbLb0EEEEDaSV_SW_EUlSV_E_NS1_11comp_targetILNS1_3genE10ELNS1_11target_archE1200ELNS1_3gpuE4ELNS1_3repE0EEENS1_30default_config_static_selectorELNS0_4arch9wavefront6targetE0EEEvT1_
                                        ; -- End function
	.set _ZN7rocprim17ROCPRIM_400000_NS6detail17trampoline_kernelINS0_14default_configENS1_27scan_by_key_config_selectorIllEEZZNS1_16scan_by_key_implILNS1_25lookback_scan_determinismE0ELb0ES3_N6thrust23THRUST_200600_302600_NS16reverse_iteratorIPKlEESD_NSA_IPlEElN6hipcub16HIPCUB_304000_NS3MaxENSH_8EqualityElEE10hipError_tPvRmT2_T3_T4_T5_mT6_T7_P12ihipStream_tbENKUlT_T0_E_clISt17integral_constantIbLb1EESZ_IbLb0EEEEDaSV_SW_EUlSV_E_NS1_11comp_targetILNS1_3genE10ELNS1_11target_archE1200ELNS1_3gpuE4ELNS1_3repE0EEENS1_30default_config_static_selectorELNS0_4arch9wavefront6targetE0EEEvT1_.num_vgpr, 0
	.set _ZN7rocprim17ROCPRIM_400000_NS6detail17trampoline_kernelINS0_14default_configENS1_27scan_by_key_config_selectorIllEEZZNS1_16scan_by_key_implILNS1_25lookback_scan_determinismE0ELb0ES3_N6thrust23THRUST_200600_302600_NS16reverse_iteratorIPKlEESD_NSA_IPlEElN6hipcub16HIPCUB_304000_NS3MaxENSH_8EqualityElEE10hipError_tPvRmT2_T3_T4_T5_mT6_T7_P12ihipStream_tbENKUlT_T0_E_clISt17integral_constantIbLb1EESZ_IbLb0EEEEDaSV_SW_EUlSV_E_NS1_11comp_targetILNS1_3genE10ELNS1_11target_archE1200ELNS1_3gpuE4ELNS1_3repE0EEENS1_30default_config_static_selectorELNS0_4arch9wavefront6targetE0EEEvT1_.num_agpr, 0
	.set _ZN7rocprim17ROCPRIM_400000_NS6detail17trampoline_kernelINS0_14default_configENS1_27scan_by_key_config_selectorIllEEZZNS1_16scan_by_key_implILNS1_25lookback_scan_determinismE0ELb0ES3_N6thrust23THRUST_200600_302600_NS16reverse_iteratorIPKlEESD_NSA_IPlEElN6hipcub16HIPCUB_304000_NS3MaxENSH_8EqualityElEE10hipError_tPvRmT2_T3_T4_T5_mT6_T7_P12ihipStream_tbENKUlT_T0_E_clISt17integral_constantIbLb1EESZ_IbLb0EEEEDaSV_SW_EUlSV_E_NS1_11comp_targetILNS1_3genE10ELNS1_11target_archE1200ELNS1_3gpuE4ELNS1_3repE0EEENS1_30default_config_static_selectorELNS0_4arch9wavefront6targetE0EEEvT1_.numbered_sgpr, 0
	.set _ZN7rocprim17ROCPRIM_400000_NS6detail17trampoline_kernelINS0_14default_configENS1_27scan_by_key_config_selectorIllEEZZNS1_16scan_by_key_implILNS1_25lookback_scan_determinismE0ELb0ES3_N6thrust23THRUST_200600_302600_NS16reverse_iteratorIPKlEESD_NSA_IPlEElN6hipcub16HIPCUB_304000_NS3MaxENSH_8EqualityElEE10hipError_tPvRmT2_T3_T4_T5_mT6_T7_P12ihipStream_tbENKUlT_T0_E_clISt17integral_constantIbLb1EESZ_IbLb0EEEEDaSV_SW_EUlSV_E_NS1_11comp_targetILNS1_3genE10ELNS1_11target_archE1200ELNS1_3gpuE4ELNS1_3repE0EEENS1_30default_config_static_selectorELNS0_4arch9wavefront6targetE0EEEvT1_.num_named_barrier, 0
	.set _ZN7rocprim17ROCPRIM_400000_NS6detail17trampoline_kernelINS0_14default_configENS1_27scan_by_key_config_selectorIllEEZZNS1_16scan_by_key_implILNS1_25lookback_scan_determinismE0ELb0ES3_N6thrust23THRUST_200600_302600_NS16reverse_iteratorIPKlEESD_NSA_IPlEElN6hipcub16HIPCUB_304000_NS3MaxENSH_8EqualityElEE10hipError_tPvRmT2_T3_T4_T5_mT6_T7_P12ihipStream_tbENKUlT_T0_E_clISt17integral_constantIbLb1EESZ_IbLb0EEEEDaSV_SW_EUlSV_E_NS1_11comp_targetILNS1_3genE10ELNS1_11target_archE1200ELNS1_3gpuE4ELNS1_3repE0EEENS1_30default_config_static_selectorELNS0_4arch9wavefront6targetE0EEEvT1_.private_seg_size, 0
	.set _ZN7rocprim17ROCPRIM_400000_NS6detail17trampoline_kernelINS0_14default_configENS1_27scan_by_key_config_selectorIllEEZZNS1_16scan_by_key_implILNS1_25lookback_scan_determinismE0ELb0ES3_N6thrust23THRUST_200600_302600_NS16reverse_iteratorIPKlEESD_NSA_IPlEElN6hipcub16HIPCUB_304000_NS3MaxENSH_8EqualityElEE10hipError_tPvRmT2_T3_T4_T5_mT6_T7_P12ihipStream_tbENKUlT_T0_E_clISt17integral_constantIbLb1EESZ_IbLb0EEEEDaSV_SW_EUlSV_E_NS1_11comp_targetILNS1_3genE10ELNS1_11target_archE1200ELNS1_3gpuE4ELNS1_3repE0EEENS1_30default_config_static_selectorELNS0_4arch9wavefront6targetE0EEEvT1_.uses_vcc, 0
	.set _ZN7rocprim17ROCPRIM_400000_NS6detail17trampoline_kernelINS0_14default_configENS1_27scan_by_key_config_selectorIllEEZZNS1_16scan_by_key_implILNS1_25lookback_scan_determinismE0ELb0ES3_N6thrust23THRUST_200600_302600_NS16reverse_iteratorIPKlEESD_NSA_IPlEElN6hipcub16HIPCUB_304000_NS3MaxENSH_8EqualityElEE10hipError_tPvRmT2_T3_T4_T5_mT6_T7_P12ihipStream_tbENKUlT_T0_E_clISt17integral_constantIbLb1EESZ_IbLb0EEEEDaSV_SW_EUlSV_E_NS1_11comp_targetILNS1_3genE10ELNS1_11target_archE1200ELNS1_3gpuE4ELNS1_3repE0EEENS1_30default_config_static_selectorELNS0_4arch9wavefront6targetE0EEEvT1_.uses_flat_scratch, 0
	.set _ZN7rocprim17ROCPRIM_400000_NS6detail17trampoline_kernelINS0_14default_configENS1_27scan_by_key_config_selectorIllEEZZNS1_16scan_by_key_implILNS1_25lookback_scan_determinismE0ELb0ES3_N6thrust23THRUST_200600_302600_NS16reverse_iteratorIPKlEESD_NSA_IPlEElN6hipcub16HIPCUB_304000_NS3MaxENSH_8EqualityElEE10hipError_tPvRmT2_T3_T4_T5_mT6_T7_P12ihipStream_tbENKUlT_T0_E_clISt17integral_constantIbLb1EESZ_IbLb0EEEEDaSV_SW_EUlSV_E_NS1_11comp_targetILNS1_3genE10ELNS1_11target_archE1200ELNS1_3gpuE4ELNS1_3repE0EEENS1_30default_config_static_selectorELNS0_4arch9wavefront6targetE0EEEvT1_.has_dyn_sized_stack, 0
	.set _ZN7rocprim17ROCPRIM_400000_NS6detail17trampoline_kernelINS0_14default_configENS1_27scan_by_key_config_selectorIllEEZZNS1_16scan_by_key_implILNS1_25lookback_scan_determinismE0ELb0ES3_N6thrust23THRUST_200600_302600_NS16reverse_iteratorIPKlEESD_NSA_IPlEElN6hipcub16HIPCUB_304000_NS3MaxENSH_8EqualityElEE10hipError_tPvRmT2_T3_T4_T5_mT6_T7_P12ihipStream_tbENKUlT_T0_E_clISt17integral_constantIbLb1EESZ_IbLb0EEEEDaSV_SW_EUlSV_E_NS1_11comp_targetILNS1_3genE10ELNS1_11target_archE1200ELNS1_3gpuE4ELNS1_3repE0EEENS1_30default_config_static_selectorELNS0_4arch9wavefront6targetE0EEEvT1_.has_recursion, 0
	.set _ZN7rocprim17ROCPRIM_400000_NS6detail17trampoline_kernelINS0_14default_configENS1_27scan_by_key_config_selectorIllEEZZNS1_16scan_by_key_implILNS1_25lookback_scan_determinismE0ELb0ES3_N6thrust23THRUST_200600_302600_NS16reverse_iteratorIPKlEESD_NSA_IPlEElN6hipcub16HIPCUB_304000_NS3MaxENSH_8EqualityElEE10hipError_tPvRmT2_T3_T4_T5_mT6_T7_P12ihipStream_tbENKUlT_T0_E_clISt17integral_constantIbLb1EESZ_IbLb0EEEEDaSV_SW_EUlSV_E_NS1_11comp_targetILNS1_3genE10ELNS1_11target_archE1200ELNS1_3gpuE4ELNS1_3repE0EEENS1_30default_config_static_selectorELNS0_4arch9wavefront6targetE0EEEvT1_.has_indirect_call, 0
	.section	.AMDGPU.csdata,"",@progbits
; Kernel info:
; codeLenInByte = 0
; TotalNumSgprs: 0
; NumVgprs: 0
; ScratchSize: 0
; MemoryBound: 0
; FloatMode: 240
; IeeeMode: 1
; LDSByteSize: 0 bytes/workgroup (compile time only)
; SGPRBlocks: 0
; VGPRBlocks: 0
; NumSGPRsForWavesPerEU: 1
; NumVGPRsForWavesPerEU: 1
; Occupancy: 16
; WaveLimiterHint : 0
; COMPUTE_PGM_RSRC2:SCRATCH_EN: 0
; COMPUTE_PGM_RSRC2:USER_SGPR: 6
; COMPUTE_PGM_RSRC2:TRAP_HANDLER: 0
; COMPUTE_PGM_RSRC2:TGID_X_EN: 1
; COMPUTE_PGM_RSRC2:TGID_Y_EN: 0
; COMPUTE_PGM_RSRC2:TGID_Z_EN: 0
; COMPUTE_PGM_RSRC2:TIDIG_COMP_CNT: 0
	.section	.text._ZN7rocprim17ROCPRIM_400000_NS6detail17trampoline_kernelINS0_14default_configENS1_27scan_by_key_config_selectorIllEEZZNS1_16scan_by_key_implILNS1_25lookback_scan_determinismE0ELb0ES3_N6thrust23THRUST_200600_302600_NS16reverse_iteratorIPKlEESD_NSA_IPlEElN6hipcub16HIPCUB_304000_NS3MaxENSH_8EqualityElEE10hipError_tPvRmT2_T3_T4_T5_mT6_T7_P12ihipStream_tbENKUlT_T0_E_clISt17integral_constantIbLb1EESZ_IbLb0EEEEDaSV_SW_EUlSV_E_NS1_11comp_targetILNS1_3genE9ELNS1_11target_archE1100ELNS1_3gpuE3ELNS1_3repE0EEENS1_30default_config_static_selectorELNS0_4arch9wavefront6targetE0EEEvT1_,"axG",@progbits,_ZN7rocprim17ROCPRIM_400000_NS6detail17trampoline_kernelINS0_14default_configENS1_27scan_by_key_config_selectorIllEEZZNS1_16scan_by_key_implILNS1_25lookback_scan_determinismE0ELb0ES3_N6thrust23THRUST_200600_302600_NS16reverse_iteratorIPKlEESD_NSA_IPlEElN6hipcub16HIPCUB_304000_NS3MaxENSH_8EqualityElEE10hipError_tPvRmT2_T3_T4_T5_mT6_T7_P12ihipStream_tbENKUlT_T0_E_clISt17integral_constantIbLb1EESZ_IbLb0EEEEDaSV_SW_EUlSV_E_NS1_11comp_targetILNS1_3genE9ELNS1_11target_archE1100ELNS1_3gpuE3ELNS1_3repE0EEENS1_30default_config_static_selectorELNS0_4arch9wavefront6targetE0EEEvT1_,comdat
	.protected	_ZN7rocprim17ROCPRIM_400000_NS6detail17trampoline_kernelINS0_14default_configENS1_27scan_by_key_config_selectorIllEEZZNS1_16scan_by_key_implILNS1_25lookback_scan_determinismE0ELb0ES3_N6thrust23THRUST_200600_302600_NS16reverse_iteratorIPKlEESD_NSA_IPlEElN6hipcub16HIPCUB_304000_NS3MaxENSH_8EqualityElEE10hipError_tPvRmT2_T3_T4_T5_mT6_T7_P12ihipStream_tbENKUlT_T0_E_clISt17integral_constantIbLb1EESZ_IbLb0EEEEDaSV_SW_EUlSV_E_NS1_11comp_targetILNS1_3genE9ELNS1_11target_archE1100ELNS1_3gpuE3ELNS1_3repE0EEENS1_30default_config_static_selectorELNS0_4arch9wavefront6targetE0EEEvT1_ ; -- Begin function _ZN7rocprim17ROCPRIM_400000_NS6detail17trampoline_kernelINS0_14default_configENS1_27scan_by_key_config_selectorIllEEZZNS1_16scan_by_key_implILNS1_25lookback_scan_determinismE0ELb0ES3_N6thrust23THRUST_200600_302600_NS16reverse_iteratorIPKlEESD_NSA_IPlEElN6hipcub16HIPCUB_304000_NS3MaxENSH_8EqualityElEE10hipError_tPvRmT2_T3_T4_T5_mT6_T7_P12ihipStream_tbENKUlT_T0_E_clISt17integral_constantIbLb1EESZ_IbLb0EEEEDaSV_SW_EUlSV_E_NS1_11comp_targetILNS1_3genE9ELNS1_11target_archE1100ELNS1_3gpuE3ELNS1_3repE0EEENS1_30default_config_static_selectorELNS0_4arch9wavefront6targetE0EEEvT1_
	.globl	_ZN7rocprim17ROCPRIM_400000_NS6detail17trampoline_kernelINS0_14default_configENS1_27scan_by_key_config_selectorIllEEZZNS1_16scan_by_key_implILNS1_25lookback_scan_determinismE0ELb0ES3_N6thrust23THRUST_200600_302600_NS16reverse_iteratorIPKlEESD_NSA_IPlEElN6hipcub16HIPCUB_304000_NS3MaxENSH_8EqualityElEE10hipError_tPvRmT2_T3_T4_T5_mT6_T7_P12ihipStream_tbENKUlT_T0_E_clISt17integral_constantIbLb1EESZ_IbLb0EEEEDaSV_SW_EUlSV_E_NS1_11comp_targetILNS1_3genE9ELNS1_11target_archE1100ELNS1_3gpuE3ELNS1_3repE0EEENS1_30default_config_static_selectorELNS0_4arch9wavefront6targetE0EEEvT1_
	.p2align	8
	.type	_ZN7rocprim17ROCPRIM_400000_NS6detail17trampoline_kernelINS0_14default_configENS1_27scan_by_key_config_selectorIllEEZZNS1_16scan_by_key_implILNS1_25lookback_scan_determinismE0ELb0ES3_N6thrust23THRUST_200600_302600_NS16reverse_iteratorIPKlEESD_NSA_IPlEElN6hipcub16HIPCUB_304000_NS3MaxENSH_8EqualityElEE10hipError_tPvRmT2_T3_T4_T5_mT6_T7_P12ihipStream_tbENKUlT_T0_E_clISt17integral_constantIbLb1EESZ_IbLb0EEEEDaSV_SW_EUlSV_E_NS1_11comp_targetILNS1_3genE9ELNS1_11target_archE1100ELNS1_3gpuE3ELNS1_3repE0EEENS1_30default_config_static_selectorELNS0_4arch9wavefront6targetE0EEEvT1_,@function
_ZN7rocprim17ROCPRIM_400000_NS6detail17trampoline_kernelINS0_14default_configENS1_27scan_by_key_config_selectorIllEEZZNS1_16scan_by_key_implILNS1_25lookback_scan_determinismE0ELb0ES3_N6thrust23THRUST_200600_302600_NS16reverse_iteratorIPKlEESD_NSA_IPlEElN6hipcub16HIPCUB_304000_NS3MaxENSH_8EqualityElEE10hipError_tPvRmT2_T3_T4_T5_mT6_T7_P12ihipStream_tbENKUlT_T0_E_clISt17integral_constantIbLb1EESZ_IbLb0EEEEDaSV_SW_EUlSV_E_NS1_11comp_targetILNS1_3genE9ELNS1_11target_archE1100ELNS1_3gpuE3ELNS1_3repE0EEENS1_30default_config_static_selectorELNS0_4arch9wavefront6targetE0EEEvT1_: ; @_ZN7rocprim17ROCPRIM_400000_NS6detail17trampoline_kernelINS0_14default_configENS1_27scan_by_key_config_selectorIllEEZZNS1_16scan_by_key_implILNS1_25lookback_scan_determinismE0ELb0ES3_N6thrust23THRUST_200600_302600_NS16reverse_iteratorIPKlEESD_NSA_IPlEElN6hipcub16HIPCUB_304000_NS3MaxENSH_8EqualityElEE10hipError_tPvRmT2_T3_T4_T5_mT6_T7_P12ihipStream_tbENKUlT_T0_E_clISt17integral_constantIbLb1EESZ_IbLb0EEEEDaSV_SW_EUlSV_E_NS1_11comp_targetILNS1_3genE9ELNS1_11target_archE1100ELNS1_3gpuE3ELNS1_3repE0EEENS1_30default_config_static_selectorELNS0_4arch9wavefront6targetE0EEEvT1_
; %bb.0:
	.section	.rodata,"a",@progbits
	.p2align	6, 0x0
	.amdhsa_kernel _ZN7rocprim17ROCPRIM_400000_NS6detail17trampoline_kernelINS0_14default_configENS1_27scan_by_key_config_selectorIllEEZZNS1_16scan_by_key_implILNS1_25lookback_scan_determinismE0ELb0ES3_N6thrust23THRUST_200600_302600_NS16reverse_iteratorIPKlEESD_NSA_IPlEElN6hipcub16HIPCUB_304000_NS3MaxENSH_8EqualityElEE10hipError_tPvRmT2_T3_T4_T5_mT6_T7_P12ihipStream_tbENKUlT_T0_E_clISt17integral_constantIbLb1EESZ_IbLb0EEEEDaSV_SW_EUlSV_E_NS1_11comp_targetILNS1_3genE9ELNS1_11target_archE1100ELNS1_3gpuE3ELNS1_3repE0EEENS1_30default_config_static_selectorELNS0_4arch9wavefront6targetE0EEEvT1_
		.amdhsa_group_segment_fixed_size 0
		.amdhsa_private_segment_fixed_size 0
		.amdhsa_kernarg_size 136
		.amdhsa_user_sgpr_count 6
		.amdhsa_user_sgpr_private_segment_buffer 1
		.amdhsa_user_sgpr_dispatch_ptr 0
		.amdhsa_user_sgpr_queue_ptr 0
		.amdhsa_user_sgpr_kernarg_segment_ptr 1
		.amdhsa_user_sgpr_dispatch_id 0
		.amdhsa_user_sgpr_flat_scratch_init 0
		.amdhsa_user_sgpr_private_segment_size 0
		.amdhsa_wavefront_size32 1
		.amdhsa_uses_dynamic_stack 0
		.amdhsa_system_sgpr_private_segment_wavefront_offset 0
		.amdhsa_system_sgpr_workgroup_id_x 1
		.amdhsa_system_sgpr_workgroup_id_y 0
		.amdhsa_system_sgpr_workgroup_id_z 0
		.amdhsa_system_sgpr_workgroup_info 0
		.amdhsa_system_vgpr_workitem_id 0
		.amdhsa_next_free_vgpr 1
		.amdhsa_next_free_sgpr 1
		.amdhsa_reserve_vcc 0
		.amdhsa_reserve_flat_scratch 0
		.amdhsa_float_round_mode_32 0
		.amdhsa_float_round_mode_16_64 0
		.amdhsa_float_denorm_mode_32 3
		.amdhsa_float_denorm_mode_16_64 3
		.amdhsa_dx10_clamp 1
		.amdhsa_ieee_mode 1
		.amdhsa_fp16_overflow 0
		.amdhsa_workgroup_processor_mode 1
		.amdhsa_memory_ordered 1
		.amdhsa_forward_progress 1
		.amdhsa_shared_vgpr_count 0
		.amdhsa_exception_fp_ieee_invalid_op 0
		.amdhsa_exception_fp_denorm_src 0
		.amdhsa_exception_fp_ieee_div_zero 0
		.amdhsa_exception_fp_ieee_overflow 0
		.amdhsa_exception_fp_ieee_underflow 0
		.amdhsa_exception_fp_ieee_inexact 0
		.amdhsa_exception_int_div_zero 0
	.end_amdhsa_kernel
	.section	.text._ZN7rocprim17ROCPRIM_400000_NS6detail17trampoline_kernelINS0_14default_configENS1_27scan_by_key_config_selectorIllEEZZNS1_16scan_by_key_implILNS1_25lookback_scan_determinismE0ELb0ES3_N6thrust23THRUST_200600_302600_NS16reverse_iteratorIPKlEESD_NSA_IPlEElN6hipcub16HIPCUB_304000_NS3MaxENSH_8EqualityElEE10hipError_tPvRmT2_T3_T4_T5_mT6_T7_P12ihipStream_tbENKUlT_T0_E_clISt17integral_constantIbLb1EESZ_IbLb0EEEEDaSV_SW_EUlSV_E_NS1_11comp_targetILNS1_3genE9ELNS1_11target_archE1100ELNS1_3gpuE3ELNS1_3repE0EEENS1_30default_config_static_selectorELNS0_4arch9wavefront6targetE0EEEvT1_,"axG",@progbits,_ZN7rocprim17ROCPRIM_400000_NS6detail17trampoline_kernelINS0_14default_configENS1_27scan_by_key_config_selectorIllEEZZNS1_16scan_by_key_implILNS1_25lookback_scan_determinismE0ELb0ES3_N6thrust23THRUST_200600_302600_NS16reverse_iteratorIPKlEESD_NSA_IPlEElN6hipcub16HIPCUB_304000_NS3MaxENSH_8EqualityElEE10hipError_tPvRmT2_T3_T4_T5_mT6_T7_P12ihipStream_tbENKUlT_T0_E_clISt17integral_constantIbLb1EESZ_IbLb0EEEEDaSV_SW_EUlSV_E_NS1_11comp_targetILNS1_3genE9ELNS1_11target_archE1100ELNS1_3gpuE3ELNS1_3repE0EEENS1_30default_config_static_selectorELNS0_4arch9wavefront6targetE0EEEvT1_,comdat
.Lfunc_end164:
	.size	_ZN7rocprim17ROCPRIM_400000_NS6detail17trampoline_kernelINS0_14default_configENS1_27scan_by_key_config_selectorIllEEZZNS1_16scan_by_key_implILNS1_25lookback_scan_determinismE0ELb0ES3_N6thrust23THRUST_200600_302600_NS16reverse_iteratorIPKlEESD_NSA_IPlEElN6hipcub16HIPCUB_304000_NS3MaxENSH_8EqualityElEE10hipError_tPvRmT2_T3_T4_T5_mT6_T7_P12ihipStream_tbENKUlT_T0_E_clISt17integral_constantIbLb1EESZ_IbLb0EEEEDaSV_SW_EUlSV_E_NS1_11comp_targetILNS1_3genE9ELNS1_11target_archE1100ELNS1_3gpuE3ELNS1_3repE0EEENS1_30default_config_static_selectorELNS0_4arch9wavefront6targetE0EEEvT1_, .Lfunc_end164-_ZN7rocprim17ROCPRIM_400000_NS6detail17trampoline_kernelINS0_14default_configENS1_27scan_by_key_config_selectorIllEEZZNS1_16scan_by_key_implILNS1_25lookback_scan_determinismE0ELb0ES3_N6thrust23THRUST_200600_302600_NS16reverse_iteratorIPKlEESD_NSA_IPlEElN6hipcub16HIPCUB_304000_NS3MaxENSH_8EqualityElEE10hipError_tPvRmT2_T3_T4_T5_mT6_T7_P12ihipStream_tbENKUlT_T0_E_clISt17integral_constantIbLb1EESZ_IbLb0EEEEDaSV_SW_EUlSV_E_NS1_11comp_targetILNS1_3genE9ELNS1_11target_archE1100ELNS1_3gpuE3ELNS1_3repE0EEENS1_30default_config_static_selectorELNS0_4arch9wavefront6targetE0EEEvT1_
                                        ; -- End function
	.set _ZN7rocprim17ROCPRIM_400000_NS6detail17trampoline_kernelINS0_14default_configENS1_27scan_by_key_config_selectorIllEEZZNS1_16scan_by_key_implILNS1_25lookback_scan_determinismE0ELb0ES3_N6thrust23THRUST_200600_302600_NS16reverse_iteratorIPKlEESD_NSA_IPlEElN6hipcub16HIPCUB_304000_NS3MaxENSH_8EqualityElEE10hipError_tPvRmT2_T3_T4_T5_mT6_T7_P12ihipStream_tbENKUlT_T0_E_clISt17integral_constantIbLb1EESZ_IbLb0EEEEDaSV_SW_EUlSV_E_NS1_11comp_targetILNS1_3genE9ELNS1_11target_archE1100ELNS1_3gpuE3ELNS1_3repE0EEENS1_30default_config_static_selectorELNS0_4arch9wavefront6targetE0EEEvT1_.num_vgpr, 0
	.set _ZN7rocprim17ROCPRIM_400000_NS6detail17trampoline_kernelINS0_14default_configENS1_27scan_by_key_config_selectorIllEEZZNS1_16scan_by_key_implILNS1_25lookback_scan_determinismE0ELb0ES3_N6thrust23THRUST_200600_302600_NS16reverse_iteratorIPKlEESD_NSA_IPlEElN6hipcub16HIPCUB_304000_NS3MaxENSH_8EqualityElEE10hipError_tPvRmT2_T3_T4_T5_mT6_T7_P12ihipStream_tbENKUlT_T0_E_clISt17integral_constantIbLb1EESZ_IbLb0EEEEDaSV_SW_EUlSV_E_NS1_11comp_targetILNS1_3genE9ELNS1_11target_archE1100ELNS1_3gpuE3ELNS1_3repE0EEENS1_30default_config_static_selectorELNS0_4arch9wavefront6targetE0EEEvT1_.num_agpr, 0
	.set _ZN7rocprim17ROCPRIM_400000_NS6detail17trampoline_kernelINS0_14default_configENS1_27scan_by_key_config_selectorIllEEZZNS1_16scan_by_key_implILNS1_25lookback_scan_determinismE0ELb0ES3_N6thrust23THRUST_200600_302600_NS16reverse_iteratorIPKlEESD_NSA_IPlEElN6hipcub16HIPCUB_304000_NS3MaxENSH_8EqualityElEE10hipError_tPvRmT2_T3_T4_T5_mT6_T7_P12ihipStream_tbENKUlT_T0_E_clISt17integral_constantIbLb1EESZ_IbLb0EEEEDaSV_SW_EUlSV_E_NS1_11comp_targetILNS1_3genE9ELNS1_11target_archE1100ELNS1_3gpuE3ELNS1_3repE0EEENS1_30default_config_static_selectorELNS0_4arch9wavefront6targetE0EEEvT1_.numbered_sgpr, 0
	.set _ZN7rocprim17ROCPRIM_400000_NS6detail17trampoline_kernelINS0_14default_configENS1_27scan_by_key_config_selectorIllEEZZNS1_16scan_by_key_implILNS1_25lookback_scan_determinismE0ELb0ES3_N6thrust23THRUST_200600_302600_NS16reverse_iteratorIPKlEESD_NSA_IPlEElN6hipcub16HIPCUB_304000_NS3MaxENSH_8EqualityElEE10hipError_tPvRmT2_T3_T4_T5_mT6_T7_P12ihipStream_tbENKUlT_T0_E_clISt17integral_constantIbLb1EESZ_IbLb0EEEEDaSV_SW_EUlSV_E_NS1_11comp_targetILNS1_3genE9ELNS1_11target_archE1100ELNS1_3gpuE3ELNS1_3repE0EEENS1_30default_config_static_selectorELNS0_4arch9wavefront6targetE0EEEvT1_.num_named_barrier, 0
	.set _ZN7rocprim17ROCPRIM_400000_NS6detail17trampoline_kernelINS0_14default_configENS1_27scan_by_key_config_selectorIllEEZZNS1_16scan_by_key_implILNS1_25lookback_scan_determinismE0ELb0ES3_N6thrust23THRUST_200600_302600_NS16reverse_iteratorIPKlEESD_NSA_IPlEElN6hipcub16HIPCUB_304000_NS3MaxENSH_8EqualityElEE10hipError_tPvRmT2_T3_T4_T5_mT6_T7_P12ihipStream_tbENKUlT_T0_E_clISt17integral_constantIbLb1EESZ_IbLb0EEEEDaSV_SW_EUlSV_E_NS1_11comp_targetILNS1_3genE9ELNS1_11target_archE1100ELNS1_3gpuE3ELNS1_3repE0EEENS1_30default_config_static_selectorELNS0_4arch9wavefront6targetE0EEEvT1_.private_seg_size, 0
	.set _ZN7rocprim17ROCPRIM_400000_NS6detail17trampoline_kernelINS0_14default_configENS1_27scan_by_key_config_selectorIllEEZZNS1_16scan_by_key_implILNS1_25lookback_scan_determinismE0ELb0ES3_N6thrust23THRUST_200600_302600_NS16reverse_iteratorIPKlEESD_NSA_IPlEElN6hipcub16HIPCUB_304000_NS3MaxENSH_8EqualityElEE10hipError_tPvRmT2_T3_T4_T5_mT6_T7_P12ihipStream_tbENKUlT_T0_E_clISt17integral_constantIbLb1EESZ_IbLb0EEEEDaSV_SW_EUlSV_E_NS1_11comp_targetILNS1_3genE9ELNS1_11target_archE1100ELNS1_3gpuE3ELNS1_3repE0EEENS1_30default_config_static_selectorELNS0_4arch9wavefront6targetE0EEEvT1_.uses_vcc, 0
	.set _ZN7rocprim17ROCPRIM_400000_NS6detail17trampoline_kernelINS0_14default_configENS1_27scan_by_key_config_selectorIllEEZZNS1_16scan_by_key_implILNS1_25lookback_scan_determinismE0ELb0ES3_N6thrust23THRUST_200600_302600_NS16reverse_iteratorIPKlEESD_NSA_IPlEElN6hipcub16HIPCUB_304000_NS3MaxENSH_8EqualityElEE10hipError_tPvRmT2_T3_T4_T5_mT6_T7_P12ihipStream_tbENKUlT_T0_E_clISt17integral_constantIbLb1EESZ_IbLb0EEEEDaSV_SW_EUlSV_E_NS1_11comp_targetILNS1_3genE9ELNS1_11target_archE1100ELNS1_3gpuE3ELNS1_3repE0EEENS1_30default_config_static_selectorELNS0_4arch9wavefront6targetE0EEEvT1_.uses_flat_scratch, 0
	.set _ZN7rocprim17ROCPRIM_400000_NS6detail17trampoline_kernelINS0_14default_configENS1_27scan_by_key_config_selectorIllEEZZNS1_16scan_by_key_implILNS1_25lookback_scan_determinismE0ELb0ES3_N6thrust23THRUST_200600_302600_NS16reverse_iteratorIPKlEESD_NSA_IPlEElN6hipcub16HIPCUB_304000_NS3MaxENSH_8EqualityElEE10hipError_tPvRmT2_T3_T4_T5_mT6_T7_P12ihipStream_tbENKUlT_T0_E_clISt17integral_constantIbLb1EESZ_IbLb0EEEEDaSV_SW_EUlSV_E_NS1_11comp_targetILNS1_3genE9ELNS1_11target_archE1100ELNS1_3gpuE3ELNS1_3repE0EEENS1_30default_config_static_selectorELNS0_4arch9wavefront6targetE0EEEvT1_.has_dyn_sized_stack, 0
	.set _ZN7rocprim17ROCPRIM_400000_NS6detail17trampoline_kernelINS0_14default_configENS1_27scan_by_key_config_selectorIllEEZZNS1_16scan_by_key_implILNS1_25lookback_scan_determinismE0ELb0ES3_N6thrust23THRUST_200600_302600_NS16reverse_iteratorIPKlEESD_NSA_IPlEElN6hipcub16HIPCUB_304000_NS3MaxENSH_8EqualityElEE10hipError_tPvRmT2_T3_T4_T5_mT6_T7_P12ihipStream_tbENKUlT_T0_E_clISt17integral_constantIbLb1EESZ_IbLb0EEEEDaSV_SW_EUlSV_E_NS1_11comp_targetILNS1_3genE9ELNS1_11target_archE1100ELNS1_3gpuE3ELNS1_3repE0EEENS1_30default_config_static_selectorELNS0_4arch9wavefront6targetE0EEEvT1_.has_recursion, 0
	.set _ZN7rocprim17ROCPRIM_400000_NS6detail17trampoline_kernelINS0_14default_configENS1_27scan_by_key_config_selectorIllEEZZNS1_16scan_by_key_implILNS1_25lookback_scan_determinismE0ELb0ES3_N6thrust23THRUST_200600_302600_NS16reverse_iteratorIPKlEESD_NSA_IPlEElN6hipcub16HIPCUB_304000_NS3MaxENSH_8EqualityElEE10hipError_tPvRmT2_T3_T4_T5_mT6_T7_P12ihipStream_tbENKUlT_T0_E_clISt17integral_constantIbLb1EESZ_IbLb0EEEEDaSV_SW_EUlSV_E_NS1_11comp_targetILNS1_3genE9ELNS1_11target_archE1100ELNS1_3gpuE3ELNS1_3repE0EEENS1_30default_config_static_selectorELNS0_4arch9wavefront6targetE0EEEvT1_.has_indirect_call, 0
	.section	.AMDGPU.csdata,"",@progbits
; Kernel info:
; codeLenInByte = 0
; TotalNumSgprs: 0
; NumVgprs: 0
; ScratchSize: 0
; MemoryBound: 0
; FloatMode: 240
; IeeeMode: 1
; LDSByteSize: 0 bytes/workgroup (compile time only)
; SGPRBlocks: 0
; VGPRBlocks: 0
; NumSGPRsForWavesPerEU: 1
; NumVGPRsForWavesPerEU: 1
; Occupancy: 16
; WaveLimiterHint : 0
; COMPUTE_PGM_RSRC2:SCRATCH_EN: 0
; COMPUTE_PGM_RSRC2:USER_SGPR: 6
; COMPUTE_PGM_RSRC2:TRAP_HANDLER: 0
; COMPUTE_PGM_RSRC2:TGID_X_EN: 1
; COMPUTE_PGM_RSRC2:TGID_Y_EN: 0
; COMPUTE_PGM_RSRC2:TGID_Z_EN: 0
; COMPUTE_PGM_RSRC2:TIDIG_COMP_CNT: 0
	.section	.text._ZN7rocprim17ROCPRIM_400000_NS6detail17trampoline_kernelINS0_14default_configENS1_27scan_by_key_config_selectorIllEEZZNS1_16scan_by_key_implILNS1_25lookback_scan_determinismE0ELb0ES3_N6thrust23THRUST_200600_302600_NS16reverse_iteratorIPKlEESD_NSA_IPlEElN6hipcub16HIPCUB_304000_NS3MaxENSH_8EqualityElEE10hipError_tPvRmT2_T3_T4_T5_mT6_T7_P12ihipStream_tbENKUlT_T0_E_clISt17integral_constantIbLb1EESZ_IbLb0EEEEDaSV_SW_EUlSV_E_NS1_11comp_targetILNS1_3genE8ELNS1_11target_archE1030ELNS1_3gpuE2ELNS1_3repE0EEENS1_30default_config_static_selectorELNS0_4arch9wavefront6targetE0EEEvT1_,"axG",@progbits,_ZN7rocprim17ROCPRIM_400000_NS6detail17trampoline_kernelINS0_14default_configENS1_27scan_by_key_config_selectorIllEEZZNS1_16scan_by_key_implILNS1_25lookback_scan_determinismE0ELb0ES3_N6thrust23THRUST_200600_302600_NS16reverse_iteratorIPKlEESD_NSA_IPlEElN6hipcub16HIPCUB_304000_NS3MaxENSH_8EqualityElEE10hipError_tPvRmT2_T3_T4_T5_mT6_T7_P12ihipStream_tbENKUlT_T0_E_clISt17integral_constantIbLb1EESZ_IbLb0EEEEDaSV_SW_EUlSV_E_NS1_11comp_targetILNS1_3genE8ELNS1_11target_archE1030ELNS1_3gpuE2ELNS1_3repE0EEENS1_30default_config_static_selectorELNS0_4arch9wavefront6targetE0EEEvT1_,comdat
	.protected	_ZN7rocprim17ROCPRIM_400000_NS6detail17trampoline_kernelINS0_14default_configENS1_27scan_by_key_config_selectorIllEEZZNS1_16scan_by_key_implILNS1_25lookback_scan_determinismE0ELb0ES3_N6thrust23THRUST_200600_302600_NS16reverse_iteratorIPKlEESD_NSA_IPlEElN6hipcub16HIPCUB_304000_NS3MaxENSH_8EqualityElEE10hipError_tPvRmT2_T3_T4_T5_mT6_T7_P12ihipStream_tbENKUlT_T0_E_clISt17integral_constantIbLb1EESZ_IbLb0EEEEDaSV_SW_EUlSV_E_NS1_11comp_targetILNS1_3genE8ELNS1_11target_archE1030ELNS1_3gpuE2ELNS1_3repE0EEENS1_30default_config_static_selectorELNS0_4arch9wavefront6targetE0EEEvT1_ ; -- Begin function _ZN7rocprim17ROCPRIM_400000_NS6detail17trampoline_kernelINS0_14default_configENS1_27scan_by_key_config_selectorIllEEZZNS1_16scan_by_key_implILNS1_25lookback_scan_determinismE0ELb0ES3_N6thrust23THRUST_200600_302600_NS16reverse_iteratorIPKlEESD_NSA_IPlEElN6hipcub16HIPCUB_304000_NS3MaxENSH_8EqualityElEE10hipError_tPvRmT2_T3_T4_T5_mT6_T7_P12ihipStream_tbENKUlT_T0_E_clISt17integral_constantIbLb1EESZ_IbLb0EEEEDaSV_SW_EUlSV_E_NS1_11comp_targetILNS1_3genE8ELNS1_11target_archE1030ELNS1_3gpuE2ELNS1_3repE0EEENS1_30default_config_static_selectorELNS0_4arch9wavefront6targetE0EEEvT1_
	.globl	_ZN7rocprim17ROCPRIM_400000_NS6detail17trampoline_kernelINS0_14default_configENS1_27scan_by_key_config_selectorIllEEZZNS1_16scan_by_key_implILNS1_25lookback_scan_determinismE0ELb0ES3_N6thrust23THRUST_200600_302600_NS16reverse_iteratorIPKlEESD_NSA_IPlEElN6hipcub16HIPCUB_304000_NS3MaxENSH_8EqualityElEE10hipError_tPvRmT2_T3_T4_T5_mT6_T7_P12ihipStream_tbENKUlT_T0_E_clISt17integral_constantIbLb1EESZ_IbLb0EEEEDaSV_SW_EUlSV_E_NS1_11comp_targetILNS1_3genE8ELNS1_11target_archE1030ELNS1_3gpuE2ELNS1_3repE0EEENS1_30default_config_static_selectorELNS0_4arch9wavefront6targetE0EEEvT1_
	.p2align	8
	.type	_ZN7rocprim17ROCPRIM_400000_NS6detail17trampoline_kernelINS0_14default_configENS1_27scan_by_key_config_selectorIllEEZZNS1_16scan_by_key_implILNS1_25lookback_scan_determinismE0ELb0ES3_N6thrust23THRUST_200600_302600_NS16reverse_iteratorIPKlEESD_NSA_IPlEElN6hipcub16HIPCUB_304000_NS3MaxENSH_8EqualityElEE10hipError_tPvRmT2_T3_T4_T5_mT6_T7_P12ihipStream_tbENKUlT_T0_E_clISt17integral_constantIbLb1EESZ_IbLb0EEEEDaSV_SW_EUlSV_E_NS1_11comp_targetILNS1_3genE8ELNS1_11target_archE1030ELNS1_3gpuE2ELNS1_3repE0EEENS1_30default_config_static_selectorELNS0_4arch9wavefront6targetE0EEEvT1_,@function
_ZN7rocprim17ROCPRIM_400000_NS6detail17trampoline_kernelINS0_14default_configENS1_27scan_by_key_config_selectorIllEEZZNS1_16scan_by_key_implILNS1_25lookback_scan_determinismE0ELb0ES3_N6thrust23THRUST_200600_302600_NS16reverse_iteratorIPKlEESD_NSA_IPlEElN6hipcub16HIPCUB_304000_NS3MaxENSH_8EqualityElEE10hipError_tPvRmT2_T3_T4_T5_mT6_T7_P12ihipStream_tbENKUlT_T0_E_clISt17integral_constantIbLb1EESZ_IbLb0EEEEDaSV_SW_EUlSV_E_NS1_11comp_targetILNS1_3genE8ELNS1_11target_archE1030ELNS1_3gpuE2ELNS1_3repE0EEENS1_30default_config_static_selectorELNS0_4arch9wavefront6targetE0EEEvT1_: ; @_ZN7rocprim17ROCPRIM_400000_NS6detail17trampoline_kernelINS0_14default_configENS1_27scan_by_key_config_selectorIllEEZZNS1_16scan_by_key_implILNS1_25lookback_scan_determinismE0ELb0ES3_N6thrust23THRUST_200600_302600_NS16reverse_iteratorIPKlEESD_NSA_IPlEElN6hipcub16HIPCUB_304000_NS3MaxENSH_8EqualityElEE10hipError_tPvRmT2_T3_T4_T5_mT6_T7_P12ihipStream_tbENKUlT_T0_E_clISt17integral_constantIbLb1EESZ_IbLb0EEEEDaSV_SW_EUlSV_E_NS1_11comp_targetILNS1_3genE8ELNS1_11target_archE1030ELNS1_3gpuE2ELNS1_3repE0EEENS1_30default_config_static_selectorELNS0_4arch9wavefront6targetE0EEEvT1_
; %bb.0:
	s_endpgm
	.section	.rodata,"a",@progbits
	.p2align	6, 0x0
	.amdhsa_kernel _ZN7rocprim17ROCPRIM_400000_NS6detail17trampoline_kernelINS0_14default_configENS1_27scan_by_key_config_selectorIllEEZZNS1_16scan_by_key_implILNS1_25lookback_scan_determinismE0ELb0ES3_N6thrust23THRUST_200600_302600_NS16reverse_iteratorIPKlEESD_NSA_IPlEElN6hipcub16HIPCUB_304000_NS3MaxENSH_8EqualityElEE10hipError_tPvRmT2_T3_T4_T5_mT6_T7_P12ihipStream_tbENKUlT_T0_E_clISt17integral_constantIbLb1EESZ_IbLb0EEEEDaSV_SW_EUlSV_E_NS1_11comp_targetILNS1_3genE8ELNS1_11target_archE1030ELNS1_3gpuE2ELNS1_3repE0EEENS1_30default_config_static_selectorELNS0_4arch9wavefront6targetE0EEEvT1_
		.amdhsa_group_segment_fixed_size 0
		.amdhsa_private_segment_fixed_size 0
		.amdhsa_kernarg_size 136
		.amdhsa_user_sgpr_count 6
		.amdhsa_user_sgpr_private_segment_buffer 1
		.amdhsa_user_sgpr_dispatch_ptr 0
		.amdhsa_user_sgpr_queue_ptr 0
		.amdhsa_user_sgpr_kernarg_segment_ptr 1
		.amdhsa_user_sgpr_dispatch_id 0
		.amdhsa_user_sgpr_flat_scratch_init 0
		.amdhsa_user_sgpr_private_segment_size 0
		.amdhsa_wavefront_size32 1
		.amdhsa_uses_dynamic_stack 0
		.amdhsa_system_sgpr_private_segment_wavefront_offset 0
		.amdhsa_system_sgpr_workgroup_id_x 1
		.amdhsa_system_sgpr_workgroup_id_y 0
		.amdhsa_system_sgpr_workgroup_id_z 0
		.amdhsa_system_sgpr_workgroup_info 0
		.amdhsa_system_vgpr_workitem_id 0
		.amdhsa_next_free_vgpr 1
		.amdhsa_next_free_sgpr 1
		.amdhsa_reserve_vcc 0
		.amdhsa_reserve_flat_scratch 0
		.amdhsa_float_round_mode_32 0
		.amdhsa_float_round_mode_16_64 0
		.amdhsa_float_denorm_mode_32 3
		.amdhsa_float_denorm_mode_16_64 3
		.amdhsa_dx10_clamp 1
		.amdhsa_ieee_mode 1
		.amdhsa_fp16_overflow 0
		.amdhsa_workgroup_processor_mode 1
		.amdhsa_memory_ordered 1
		.amdhsa_forward_progress 1
		.amdhsa_shared_vgpr_count 0
		.amdhsa_exception_fp_ieee_invalid_op 0
		.amdhsa_exception_fp_denorm_src 0
		.amdhsa_exception_fp_ieee_div_zero 0
		.amdhsa_exception_fp_ieee_overflow 0
		.amdhsa_exception_fp_ieee_underflow 0
		.amdhsa_exception_fp_ieee_inexact 0
		.amdhsa_exception_int_div_zero 0
	.end_amdhsa_kernel
	.section	.text._ZN7rocprim17ROCPRIM_400000_NS6detail17trampoline_kernelINS0_14default_configENS1_27scan_by_key_config_selectorIllEEZZNS1_16scan_by_key_implILNS1_25lookback_scan_determinismE0ELb0ES3_N6thrust23THRUST_200600_302600_NS16reverse_iteratorIPKlEESD_NSA_IPlEElN6hipcub16HIPCUB_304000_NS3MaxENSH_8EqualityElEE10hipError_tPvRmT2_T3_T4_T5_mT6_T7_P12ihipStream_tbENKUlT_T0_E_clISt17integral_constantIbLb1EESZ_IbLb0EEEEDaSV_SW_EUlSV_E_NS1_11comp_targetILNS1_3genE8ELNS1_11target_archE1030ELNS1_3gpuE2ELNS1_3repE0EEENS1_30default_config_static_selectorELNS0_4arch9wavefront6targetE0EEEvT1_,"axG",@progbits,_ZN7rocprim17ROCPRIM_400000_NS6detail17trampoline_kernelINS0_14default_configENS1_27scan_by_key_config_selectorIllEEZZNS1_16scan_by_key_implILNS1_25lookback_scan_determinismE0ELb0ES3_N6thrust23THRUST_200600_302600_NS16reverse_iteratorIPKlEESD_NSA_IPlEElN6hipcub16HIPCUB_304000_NS3MaxENSH_8EqualityElEE10hipError_tPvRmT2_T3_T4_T5_mT6_T7_P12ihipStream_tbENKUlT_T0_E_clISt17integral_constantIbLb1EESZ_IbLb0EEEEDaSV_SW_EUlSV_E_NS1_11comp_targetILNS1_3genE8ELNS1_11target_archE1030ELNS1_3gpuE2ELNS1_3repE0EEENS1_30default_config_static_selectorELNS0_4arch9wavefront6targetE0EEEvT1_,comdat
.Lfunc_end165:
	.size	_ZN7rocprim17ROCPRIM_400000_NS6detail17trampoline_kernelINS0_14default_configENS1_27scan_by_key_config_selectorIllEEZZNS1_16scan_by_key_implILNS1_25lookback_scan_determinismE0ELb0ES3_N6thrust23THRUST_200600_302600_NS16reverse_iteratorIPKlEESD_NSA_IPlEElN6hipcub16HIPCUB_304000_NS3MaxENSH_8EqualityElEE10hipError_tPvRmT2_T3_T4_T5_mT6_T7_P12ihipStream_tbENKUlT_T0_E_clISt17integral_constantIbLb1EESZ_IbLb0EEEEDaSV_SW_EUlSV_E_NS1_11comp_targetILNS1_3genE8ELNS1_11target_archE1030ELNS1_3gpuE2ELNS1_3repE0EEENS1_30default_config_static_selectorELNS0_4arch9wavefront6targetE0EEEvT1_, .Lfunc_end165-_ZN7rocprim17ROCPRIM_400000_NS6detail17trampoline_kernelINS0_14default_configENS1_27scan_by_key_config_selectorIllEEZZNS1_16scan_by_key_implILNS1_25lookback_scan_determinismE0ELb0ES3_N6thrust23THRUST_200600_302600_NS16reverse_iteratorIPKlEESD_NSA_IPlEElN6hipcub16HIPCUB_304000_NS3MaxENSH_8EqualityElEE10hipError_tPvRmT2_T3_T4_T5_mT6_T7_P12ihipStream_tbENKUlT_T0_E_clISt17integral_constantIbLb1EESZ_IbLb0EEEEDaSV_SW_EUlSV_E_NS1_11comp_targetILNS1_3genE8ELNS1_11target_archE1030ELNS1_3gpuE2ELNS1_3repE0EEENS1_30default_config_static_selectorELNS0_4arch9wavefront6targetE0EEEvT1_
                                        ; -- End function
	.set _ZN7rocprim17ROCPRIM_400000_NS6detail17trampoline_kernelINS0_14default_configENS1_27scan_by_key_config_selectorIllEEZZNS1_16scan_by_key_implILNS1_25lookback_scan_determinismE0ELb0ES3_N6thrust23THRUST_200600_302600_NS16reverse_iteratorIPKlEESD_NSA_IPlEElN6hipcub16HIPCUB_304000_NS3MaxENSH_8EqualityElEE10hipError_tPvRmT2_T3_T4_T5_mT6_T7_P12ihipStream_tbENKUlT_T0_E_clISt17integral_constantIbLb1EESZ_IbLb0EEEEDaSV_SW_EUlSV_E_NS1_11comp_targetILNS1_3genE8ELNS1_11target_archE1030ELNS1_3gpuE2ELNS1_3repE0EEENS1_30default_config_static_selectorELNS0_4arch9wavefront6targetE0EEEvT1_.num_vgpr, 0
	.set _ZN7rocprim17ROCPRIM_400000_NS6detail17trampoline_kernelINS0_14default_configENS1_27scan_by_key_config_selectorIllEEZZNS1_16scan_by_key_implILNS1_25lookback_scan_determinismE0ELb0ES3_N6thrust23THRUST_200600_302600_NS16reverse_iteratorIPKlEESD_NSA_IPlEElN6hipcub16HIPCUB_304000_NS3MaxENSH_8EqualityElEE10hipError_tPvRmT2_T3_T4_T5_mT6_T7_P12ihipStream_tbENKUlT_T0_E_clISt17integral_constantIbLb1EESZ_IbLb0EEEEDaSV_SW_EUlSV_E_NS1_11comp_targetILNS1_3genE8ELNS1_11target_archE1030ELNS1_3gpuE2ELNS1_3repE0EEENS1_30default_config_static_selectorELNS0_4arch9wavefront6targetE0EEEvT1_.num_agpr, 0
	.set _ZN7rocprim17ROCPRIM_400000_NS6detail17trampoline_kernelINS0_14default_configENS1_27scan_by_key_config_selectorIllEEZZNS1_16scan_by_key_implILNS1_25lookback_scan_determinismE0ELb0ES3_N6thrust23THRUST_200600_302600_NS16reverse_iteratorIPKlEESD_NSA_IPlEElN6hipcub16HIPCUB_304000_NS3MaxENSH_8EqualityElEE10hipError_tPvRmT2_T3_T4_T5_mT6_T7_P12ihipStream_tbENKUlT_T0_E_clISt17integral_constantIbLb1EESZ_IbLb0EEEEDaSV_SW_EUlSV_E_NS1_11comp_targetILNS1_3genE8ELNS1_11target_archE1030ELNS1_3gpuE2ELNS1_3repE0EEENS1_30default_config_static_selectorELNS0_4arch9wavefront6targetE0EEEvT1_.numbered_sgpr, 0
	.set _ZN7rocprim17ROCPRIM_400000_NS6detail17trampoline_kernelINS0_14default_configENS1_27scan_by_key_config_selectorIllEEZZNS1_16scan_by_key_implILNS1_25lookback_scan_determinismE0ELb0ES3_N6thrust23THRUST_200600_302600_NS16reverse_iteratorIPKlEESD_NSA_IPlEElN6hipcub16HIPCUB_304000_NS3MaxENSH_8EqualityElEE10hipError_tPvRmT2_T3_T4_T5_mT6_T7_P12ihipStream_tbENKUlT_T0_E_clISt17integral_constantIbLb1EESZ_IbLb0EEEEDaSV_SW_EUlSV_E_NS1_11comp_targetILNS1_3genE8ELNS1_11target_archE1030ELNS1_3gpuE2ELNS1_3repE0EEENS1_30default_config_static_selectorELNS0_4arch9wavefront6targetE0EEEvT1_.num_named_barrier, 0
	.set _ZN7rocprim17ROCPRIM_400000_NS6detail17trampoline_kernelINS0_14default_configENS1_27scan_by_key_config_selectorIllEEZZNS1_16scan_by_key_implILNS1_25lookback_scan_determinismE0ELb0ES3_N6thrust23THRUST_200600_302600_NS16reverse_iteratorIPKlEESD_NSA_IPlEElN6hipcub16HIPCUB_304000_NS3MaxENSH_8EqualityElEE10hipError_tPvRmT2_T3_T4_T5_mT6_T7_P12ihipStream_tbENKUlT_T0_E_clISt17integral_constantIbLb1EESZ_IbLb0EEEEDaSV_SW_EUlSV_E_NS1_11comp_targetILNS1_3genE8ELNS1_11target_archE1030ELNS1_3gpuE2ELNS1_3repE0EEENS1_30default_config_static_selectorELNS0_4arch9wavefront6targetE0EEEvT1_.private_seg_size, 0
	.set _ZN7rocprim17ROCPRIM_400000_NS6detail17trampoline_kernelINS0_14default_configENS1_27scan_by_key_config_selectorIllEEZZNS1_16scan_by_key_implILNS1_25lookback_scan_determinismE0ELb0ES3_N6thrust23THRUST_200600_302600_NS16reverse_iteratorIPKlEESD_NSA_IPlEElN6hipcub16HIPCUB_304000_NS3MaxENSH_8EqualityElEE10hipError_tPvRmT2_T3_T4_T5_mT6_T7_P12ihipStream_tbENKUlT_T0_E_clISt17integral_constantIbLb1EESZ_IbLb0EEEEDaSV_SW_EUlSV_E_NS1_11comp_targetILNS1_3genE8ELNS1_11target_archE1030ELNS1_3gpuE2ELNS1_3repE0EEENS1_30default_config_static_selectorELNS0_4arch9wavefront6targetE0EEEvT1_.uses_vcc, 0
	.set _ZN7rocprim17ROCPRIM_400000_NS6detail17trampoline_kernelINS0_14default_configENS1_27scan_by_key_config_selectorIllEEZZNS1_16scan_by_key_implILNS1_25lookback_scan_determinismE0ELb0ES3_N6thrust23THRUST_200600_302600_NS16reverse_iteratorIPKlEESD_NSA_IPlEElN6hipcub16HIPCUB_304000_NS3MaxENSH_8EqualityElEE10hipError_tPvRmT2_T3_T4_T5_mT6_T7_P12ihipStream_tbENKUlT_T0_E_clISt17integral_constantIbLb1EESZ_IbLb0EEEEDaSV_SW_EUlSV_E_NS1_11comp_targetILNS1_3genE8ELNS1_11target_archE1030ELNS1_3gpuE2ELNS1_3repE0EEENS1_30default_config_static_selectorELNS0_4arch9wavefront6targetE0EEEvT1_.uses_flat_scratch, 0
	.set _ZN7rocprim17ROCPRIM_400000_NS6detail17trampoline_kernelINS0_14default_configENS1_27scan_by_key_config_selectorIllEEZZNS1_16scan_by_key_implILNS1_25lookback_scan_determinismE0ELb0ES3_N6thrust23THRUST_200600_302600_NS16reverse_iteratorIPKlEESD_NSA_IPlEElN6hipcub16HIPCUB_304000_NS3MaxENSH_8EqualityElEE10hipError_tPvRmT2_T3_T4_T5_mT6_T7_P12ihipStream_tbENKUlT_T0_E_clISt17integral_constantIbLb1EESZ_IbLb0EEEEDaSV_SW_EUlSV_E_NS1_11comp_targetILNS1_3genE8ELNS1_11target_archE1030ELNS1_3gpuE2ELNS1_3repE0EEENS1_30default_config_static_selectorELNS0_4arch9wavefront6targetE0EEEvT1_.has_dyn_sized_stack, 0
	.set _ZN7rocprim17ROCPRIM_400000_NS6detail17trampoline_kernelINS0_14default_configENS1_27scan_by_key_config_selectorIllEEZZNS1_16scan_by_key_implILNS1_25lookback_scan_determinismE0ELb0ES3_N6thrust23THRUST_200600_302600_NS16reverse_iteratorIPKlEESD_NSA_IPlEElN6hipcub16HIPCUB_304000_NS3MaxENSH_8EqualityElEE10hipError_tPvRmT2_T3_T4_T5_mT6_T7_P12ihipStream_tbENKUlT_T0_E_clISt17integral_constantIbLb1EESZ_IbLb0EEEEDaSV_SW_EUlSV_E_NS1_11comp_targetILNS1_3genE8ELNS1_11target_archE1030ELNS1_3gpuE2ELNS1_3repE0EEENS1_30default_config_static_selectorELNS0_4arch9wavefront6targetE0EEEvT1_.has_recursion, 0
	.set _ZN7rocprim17ROCPRIM_400000_NS6detail17trampoline_kernelINS0_14default_configENS1_27scan_by_key_config_selectorIllEEZZNS1_16scan_by_key_implILNS1_25lookback_scan_determinismE0ELb0ES3_N6thrust23THRUST_200600_302600_NS16reverse_iteratorIPKlEESD_NSA_IPlEElN6hipcub16HIPCUB_304000_NS3MaxENSH_8EqualityElEE10hipError_tPvRmT2_T3_T4_T5_mT6_T7_P12ihipStream_tbENKUlT_T0_E_clISt17integral_constantIbLb1EESZ_IbLb0EEEEDaSV_SW_EUlSV_E_NS1_11comp_targetILNS1_3genE8ELNS1_11target_archE1030ELNS1_3gpuE2ELNS1_3repE0EEENS1_30default_config_static_selectorELNS0_4arch9wavefront6targetE0EEEvT1_.has_indirect_call, 0
	.section	.AMDGPU.csdata,"",@progbits
; Kernel info:
; codeLenInByte = 4
; TotalNumSgprs: 0
; NumVgprs: 0
; ScratchSize: 0
; MemoryBound: 0
; FloatMode: 240
; IeeeMode: 1
; LDSByteSize: 0 bytes/workgroup (compile time only)
; SGPRBlocks: 0
; VGPRBlocks: 0
; NumSGPRsForWavesPerEU: 1
; NumVGPRsForWavesPerEU: 1
; Occupancy: 16
; WaveLimiterHint : 0
; COMPUTE_PGM_RSRC2:SCRATCH_EN: 0
; COMPUTE_PGM_RSRC2:USER_SGPR: 6
; COMPUTE_PGM_RSRC2:TRAP_HANDLER: 0
; COMPUTE_PGM_RSRC2:TGID_X_EN: 1
; COMPUTE_PGM_RSRC2:TGID_Y_EN: 0
; COMPUTE_PGM_RSRC2:TGID_Z_EN: 0
; COMPUTE_PGM_RSRC2:TIDIG_COMP_CNT: 0
	.section	.text._ZN7rocprim17ROCPRIM_400000_NS6detail30init_device_scan_by_key_kernelINS1_19lookback_scan_stateINS0_5tupleIJlbEEELb0ELb0EEEN6thrust23THRUST_200600_302600_NS16reverse_iteratorIPKlEEjNS1_16block_id_wrapperIjLb1EEEEEvT_jjPNSF_10value_typeET0_PNSt15iterator_traitsISI_E10value_typeEmT1_T2_,"axG",@progbits,_ZN7rocprim17ROCPRIM_400000_NS6detail30init_device_scan_by_key_kernelINS1_19lookback_scan_stateINS0_5tupleIJlbEEELb0ELb0EEEN6thrust23THRUST_200600_302600_NS16reverse_iteratorIPKlEEjNS1_16block_id_wrapperIjLb1EEEEEvT_jjPNSF_10value_typeET0_PNSt15iterator_traitsISI_E10value_typeEmT1_T2_,comdat
	.protected	_ZN7rocprim17ROCPRIM_400000_NS6detail30init_device_scan_by_key_kernelINS1_19lookback_scan_stateINS0_5tupleIJlbEEELb0ELb0EEEN6thrust23THRUST_200600_302600_NS16reverse_iteratorIPKlEEjNS1_16block_id_wrapperIjLb1EEEEEvT_jjPNSF_10value_typeET0_PNSt15iterator_traitsISI_E10value_typeEmT1_T2_ ; -- Begin function _ZN7rocprim17ROCPRIM_400000_NS6detail30init_device_scan_by_key_kernelINS1_19lookback_scan_stateINS0_5tupleIJlbEEELb0ELb0EEEN6thrust23THRUST_200600_302600_NS16reverse_iteratorIPKlEEjNS1_16block_id_wrapperIjLb1EEEEEvT_jjPNSF_10value_typeET0_PNSt15iterator_traitsISI_E10value_typeEmT1_T2_
	.globl	_ZN7rocprim17ROCPRIM_400000_NS6detail30init_device_scan_by_key_kernelINS1_19lookback_scan_stateINS0_5tupleIJlbEEELb0ELb0EEEN6thrust23THRUST_200600_302600_NS16reverse_iteratorIPKlEEjNS1_16block_id_wrapperIjLb1EEEEEvT_jjPNSF_10value_typeET0_PNSt15iterator_traitsISI_E10value_typeEmT1_T2_
	.p2align	8
	.type	_ZN7rocprim17ROCPRIM_400000_NS6detail30init_device_scan_by_key_kernelINS1_19lookback_scan_stateINS0_5tupleIJlbEEELb0ELb0EEEN6thrust23THRUST_200600_302600_NS16reverse_iteratorIPKlEEjNS1_16block_id_wrapperIjLb1EEEEEvT_jjPNSF_10value_typeET0_PNSt15iterator_traitsISI_E10value_typeEmT1_T2_,@function
_ZN7rocprim17ROCPRIM_400000_NS6detail30init_device_scan_by_key_kernelINS1_19lookback_scan_stateINS0_5tupleIJlbEEELb0ELb0EEEN6thrust23THRUST_200600_302600_NS16reverse_iteratorIPKlEEjNS1_16block_id_wrapperIjLb1EEEEEvT_jjPNSF_10value_typeET0_PNSt15iterator_traitsISI_E10value_typeEmT1_T2_: ; @_ZN7rocprim17ROCPRIM_400000_NS6detail30init_device_scan_by_key_kernelINS1_19lookback_scan_stateINS0_5tupleIJlbEEELb0ELb0EEEN6thrust23THRUST_200600_302600_NS16reverse_iteratorIPKlEEjNS1_16block_id_wrapperIjLb1EEEEEvT_jjPNSF_10value_typeET0_PNSt15iterator_traitsISI_E10value_typeEmT1_T2_
; %bb.0:
	s_clause 0x2
	s_load_dword s0, s[4:5], 0x5c
	s_load_dwordx8 s[8:15], s[4:5], 0x10
	s_load_dword s18, s[4:5], 0x50
	s_waitcnt lgkmcnt(0)
	s_and_b32 s19, s0, 0xffff
	s_cmp_eq_u64 s[12:13], 0
	v_mad_u64_u32 v[0:1], null, s6, s19, v[0:1]
	s_cbranch_scc1 .LBB166_6
; %bb.1:
	s_cmp_lt_u32 s11, s10
	s_mov_b32 s7, 0
	s_cselect_b32 s0, s11, 0
	s_mov_b32 s20, exec_lo
	v_cmpx_eq_u32_e64 s0, v0
	s_cbranch_execz .LBB166_5
; %bb.2:
	s_add_i32 s6, s11, 32
	s_load_dwordx4 s[0:3], s[4:5], 0x0
	v_mov_b32_e32 v1, s6
	s_add_u32 s16, s8, s6
	s_addc_u32 s17, s9, 0
	global_load_ubyte v2, v1, s[8:9] glc dlc
	v_mov_b32_e32 v1, 0
	s_waitcnt vmcnt(0)
	v_cmp_ne_u32_sdwa s21, v2, v1 src0_sel:WORD_0 src1_sel:DWORD
	v_readfirstlane_b32 s11, v2
	s_and_b32 vcc_lo, exec_lo, s21
	s_cbranch_vccnz .LBB166_4
.LBB166_3:                              ; =>This Inner Loop Header: Depth=1
	global_load_ubyte v2, v1, s[16:17] glc dlc
	s_waitcnt vmcnt(0)
	v_cmp_eq_u32_sdwa s21, v2, v1 src0_sel:WORD_0 src1_sel:DWORD
	v_readfirstlane_b32 s11, v2
	s_and_b32 vcc_lo, exec_lo, s21
	s_cbranch_vccnz .LBB166_3
.LBB166_4:
	s_and_b32 s11, 0xffff, s11
	v_mov_b32_e32 v3, 0
	s_cmp_eq_u32 s11, 1
	s_waitcnt lgkmcnt(0)
	buffer_gl1_inv
	buffer_gl0_inv
	s_cselect_b32 s3, s1, s3
	s_cselect_b32 s2, s0, s2
	s_lshl_b64 s[0:1], s[6:7], 4
	s_add_u32 s0, s2, s0
	s_addc_u32 s1, s3, s1
	s_clause 0x1
	global_load_dwordx2 v[1:2], v3, s[0:1]
	global_load_ubyte v4, v3, s[0:1] offset:8
	s_waitcnt vmcnt(1)
	global_store_dwordx2 v3, v[1:2], s[12:13]
	s_waitcnt vmcnt(0)
	global_store_byte v3, v4, s[12:13] offset:8
.LBB166_5:
	s_or_b32 exec_lo, exec_lo, s20
.LBB166_6:
	s_mov_b32 s0, exec_lo
	v_cmpx_eq_u32_e32 0, v0
	s_cbranch_execz .LBB166_8
; %bb.7:
	s_load_dwordx2 s[2:3], s[4:5], 0x48
	v_mov_b32_e32 v1, 0
	s_waitcnt lgkmcnt(0)
	global_store_dword v1, v1, s[2:3]
.LBB166_8:
	s_or_b32 exec_lo, exec_lo, s0
	s_mov_b32 s0, exec_lo
	v_cmpx_gt_u32_e64 s10, v0
	s_cbranch_execz .LBB166_10
; %bb.9:
	v_add_nc_u32_e32 v1, 32, v0
	v_mov_b32_e32 v2, 0
	global_store_byte v1, v2, s[8:9]
.LBB166_10:
	s_or_b32 exec_lo, exec_lo, s0
	v_mov_b32_e32 v1, 0
	s_mov_b32 s0, exec_lo
	v_cmpx_gt_u32_e32 32, v0
	s_cbranch_execz .LBB166_12
; %bb.11:
	v_add_co_u32 v2, s1, s8, v0
	v_add_co_ci_u32_e64 v3, null, s9, 0, s1
	v_mov_b32_e32 v4, 0xff
	global_store_byte v[2:3], v4, off
.LBB166_12:
	s_or_b32 exec_lo, exec_lo, s0
	s_load_dwordx2 s[2:3], s[4:5], 0x38
	s_mov_b32 s0, exec_lo
	s_waitcnt lgkmcnt(0)
	v_cmpx_gt_u64_e64 s[2:3], v[0:1]
	s_cbranch_execz .LBB166_15
; %bb.13:
	s_clause 0x1
	s_load_dword s8, s[4:5], 0x40
	s_load_dwordx2 s[6:7], s[4:5], 0x30
	s_mov_b32 s1, 0
	v_lshlrev_b64 v[4:5], 3, v[0:1]
	s_mul_i32 s4, s18, s19
	s_mov_b32 s5, s1
	s_waitcnt lgkmcnt(0)
	s_add_i32 s0, s8, -1
	s_mul_hi_u32 s9, s8, s4
	v_mad_u64_u32 v[2:3], null, s8, v0, s[0:1]
	s_mul_i32 s8, s8, s4
	s_lshl_b64 s[8:9], s[8:9], 3
	s_sub_u32 s8, 0, s8
	s_subb_u32 s9, 0, s9
	v_not_b32_e32 v3, v3
	v_not_b32_e32 v2, v2
	v_lshlrev_b64 v[2:3], 3, v[2:3]
	v_add_co_u32 v2, vcc_lo, s14, v2
	v_add_co_ci_u32_e64 v3, null, s15, v3, vcc_lo
	v_add_co_u32 v4, vcc_lo, s6, v4
	v_add_co_ci_u32_e64 v5, null, s7, v5, vcc_lo
	s_lshl_b64 s[6:7], s[4:5], 3
	.p2align	6
.LBB166_14:                             ; =>This Inner Loop Header: Depth=1
	global_load_dwordx2 v[6:7], v[2:3], off
	v_add_co_u32 v0, vcc_lo, v0, s4
	v_add_co_ci_u32_e64 v1, null, 0, v1, vcc_lo
	v_add_co_u32 v2, vcc_lo, v2, s8
	v_add_co_ci_u32_e64 v3, null, s9, v3, vcc_lo
	v_cmp_le_u64_e32 vcc_lo, s[2:3], v[0:1]
	s_or_b32 s1, vcc_lo, s1
	s_waitcnt vmcnt(0)
	global_store_dwordx2 v[4:5], v[6:7], off
	v_add_co_u32 v4, s0, v4, s6
	v_add_co_ci_u32_e64 v5, null, s7, v5, s0
	s_andn2_b32 exec_lo, exec_lo, s1
	s_cbranch_execnz .LBB166_14
.LBB166_15:
	s_endpgm
	.section	.rodata,"a",@progbits
	.p2align	6, 0x0
	.amdhsa_kernel _ZN7rocprim17ROCPRIM_400000_NS6detail30init_device_scan_by_key_kernelINS1_19lookback_scan_stateINS0_5tupleIJlbEEELb0ELb0EEEN6thrust23THRUST_200600_302600_NS16reverse_iteratorIPKlEEjNS1_16block_id_wrapperIjLb1EEEEEvT_jjPNSF_10value_typeET0_PNSt15iterator_traitsISI_E10value_typeEmT1_T2_
		.amdhsa_group_segment_fixed_size 0
		.amdhsa_private_segment_fixed_size 0
		.amdhsa_kernarg_size 336
		.amdhsa_user_sgpr_count 6
		.amdhsa_user_sgpr_private_segment_buffer 1
		.amdhsa_user_sgpr_dispatch_ptr 0
		.amdhsa_user_sgpr_queue_ptr 0
		.amdhsa_user_sgpr_kernarg_segment_ptr 1
		.amdhsa_user_sgpr_dispatch_id 0
		.amdhsa_user_sgpr_flat_scratch_init 0
		.amdhsa_user_sgpr_private_segment_size 0
		.amdhsa_wavefront_size32 1
		.amdhsa_uses_dynamic_stack 0
		.amdhsa_system_sgpr_private_segment_wavefront_offset 0
		.amdhsa_system_sgpr_workgroup_id_x 1
		.amdhsa_system_sgpr_workgroup_id_y 0
		.amdhsa_system_sgpr_workgroup_id_z 0
		.amdhsa_system_sgpr_workgroup_info 0
		.amdhsa_system_vgpr_workitem_id 0
		.amdhsa_next_free_vgpr 8
		.amdhsa_next_free_sgpr 22
		.amdhsa_reserve_vcc 1
		.amdhsa_reserve_flat_scratch 0
		.amdhsa_float_round_mode_32 0
		.amdhsa_float_round_mode_16_64 0
		.amdhsa_float_denorm_mode_32 3
		.amdhsa_float_denorm_mode_16_64 3
		.amdhsa_dx10_clamp 1
		.amdhsa_ieee_mode 1
		.amdhsa_fp16_overflow 0
		.amdhsa_workgroup_processor_mode 1
		.amdhsa_memory_ordered 1
		.amdhsa_forward_progress 1
		.amdhsa_shared_vgpr_count 0
		.amdhsa_exception_fp_ieee_invalid_op 0
		.amdhsa_exception_fp_denorm_src 0
		.amdhsa_exception_fp_ieee_div_zero 0
		.amdhsa_exception_fp_ieee_overflow 0
		.amdhsa_exception_fp_ieee_underflow 0
		.amdhsa_exception_fp_ieee_inexact 0
		.amdhsa_exception_int_div_zero 0
	.end_amdhsa_kernel
	.section	.text._ZN7rocprim17ROCPRIM_400000_NS6detail30init_device_scan_by_key_kernelINS1_19lookback_scan_stateINS0_5tupleIJlbEEELb0ELb0EEEN6thrust23THRUST_200600_302600_NS16reverse_iteratorIPKlEEjNS1_16block_id_wrapperIjLb1EEEEEvT_jjPNSF_10value_typeET0_PNSt15iterator_traitsISI_E10value_typeEmT1_T2_,"axG",@progbits,_ZN7rocprim17ROCPRIM_400000_NS6detail30init_device_scan_by_key_kernelINS1_19lookback_scan_stateINS0_5tupleIJlbEEELb0ELb0EEEN6thrust23THRUST_200600_302600_NS16reverse_iteratorIPKlEEjNS1_16block_id_wrapperIjLb1EEEEEvT_jjPNSF_10value_typeET0_PNSt15iterator_traitsISI_E10value_typeEmT1_T2_,comdat
.Lfunc_end166:
	.size	_ZN7rocprim17ROCPRIM_400000_NS6detail30init_device_scan_by_key_kernelINS1_19lookback_scan_stateINS0_5tupleIJlbEEELb0ELb0EEEN6thrust23THRUST_200600_302600_NS16reverse_iteratorIPKlEEjNS1_16block_id_wrapperIjLb1EEEEEvT_jjPNSF_10value_typeET0_PNSt15iterator_traitsISI_E10value_typeEmT1_T2_, .Lfunc_end166-_ZN7rocprim17ROCPRIM_400000_NS6detail30init_device_scan_by_key_kernelINS1_19lookback_scan_stateINS0_5tupleIJlbEEELb0ELb0EEEN6thrust23THRUST_200600_302600_NS16reverse_iteratorIPKlEEjNS1_16block_id_wrapperIjLb1EEEEEvT_jjPNSF_10value_typeET0_PNSt15iterator_traitsISI_E10value_typeEmT1_T2_
                                        ; -- End function
	.set _ZN7rocprim17ROCPRIM_400000_NS6detail30init_device_scan_by_key_kernelINS1_19lookback_scan_stateINS0_5tupleIJlbEEELb0ELb0EEEN6thrust23THRUST_200600_302600_NS16reverse_iteratorIPKlEEjNS1_16block_id_wrapperIjLb1EEEEEvT_jjPNSF_10value_typeET0_PNSt15iterator_traitsISI_E10value_typeEmT1_T2_.num_vgpr, 8
	.set _ZN7rocprim17ROCPRIM_400000_NS6detail30init_device_scan_by_key_kernelINS1_19lookback_scan_stateINS0_5tupleIJlbEEELb0ELb0EEEN6thrust23THRUST_200600_302600_NS16reverse_iteratorIPKlEEjNS1_16block_id_wrapperIjLb1EEEEEvT_jjPNSF_10value_typeET0_PNSt15iterator_traitsISI_E10value_typeEmT1_T2_.num_agpr, 0
	.set _ZN7rocprim17ROCPRIM_400000_NS6detail30init_device_scan_by_key_kernelINS1_19lookback_scan_stateINS0_5tupleIJlbEEELb0ELb0EEEN6thrust23THRUST_200600_302600_NS16reverse_iteratorIPKlEEjNS1_16block_id_wrapperIjLb1EEEEEvT_jjPNSF_10value_typeET0_PNSt15iterator_traitsISI_E10value_typeEmT1_T2_.numbered_sgpr, 22
	.set _ZN7rocprim17ROCPRIM_400000_NS6detail30init_device_scan_by_key_kernelINS1_19lookback_scan_stateINS0_5tupleIJlbEEELb0ELb0EEEN6thrust23THRUST_200600_302600_NS16reverse_iteratorIPKlEEjNS1_16block_id_wrapperIjLb1EEEEEvT_jjPNSF_10value_typeET0_PNSt15iterator_traitsISI_E10value_typeEmT1_T2_.num_named_barrier, 0
	.set _ZN7rocprim17ROCPRIM_400000_NS6detail30init_device_scan_by_key_kernelINS1_19lookback_scan_stateINS0_5tupleIJlbEEELb0ELb0EEEN6thrust23THRUST_200600_302600_NS16reverse_iteratorIPKlEEjNS1_16block_id_wrapperIjLb1EEEEEvT_jjPNSF_10value_typeET0_PNSt15iterator_traitsISI_E10value_typeEmT1_T2_.private_seg_size, 0
	.set _ZN7rocprim17ROCPRIM_400000_NS6detail30init_device_scan_by_key_kernelINS1_19lookback_scan_stateINS0_5tupleIJlbEEELb0ELb0EEEN6thrust23THRUST_200600_302600_NS16reverse_iteratorIPKlEEjNS1_16block_id_wrapperIjLb1EEEEEvT_jjPNSF_10value_typeET0_PNSt15iterator_traitsISI_E10value_typeEmT1_T2_.uses_vcc, 1
	.set _ZN7rocprim17ROCPRIM_400000_NS6detail30init_device_scan_by_key_kernelINS1_19lookback_scan_stateINS0_5tupleIJlbEEELb0ELb0EEEN6thrust23THRUST_200600_302600_NS16reverse_iteratorIPKlEEjNS1_16block_id_wrapperIjLb1EEEEEvT_jjPNSF_10value_typeET0_PNSt15iterator_traitsISI_E10value_typeEmT1_T2_.uses_flat_scratch, 0
	.set _ZN7rocprim17ROCPRIM_400000_NS6detail30init_device_scan_by_key_kernelINS1_19lookback_scan_stateINS0_5tupleIJlbEEELb0ELb0EEEN6thrust23THRUST_200600_302600_NS16reverse_iteratorIPKlEEjNS1_16block_id_wrapperIjLb1EEEEEvT_jjPNSF_10value_typeET0_PNSt15iterator_traitsISI_E10value_typeEmT1_T2_.has_dyn_sized_stack, 0
	.set _ZN7rocprim17ROCPRIM_400000_NS6detail30init_device_scan_by_key_kernelINS1_19lookback_scan_stateINS0_5tupleIJlbEEELb0ELb0EEEN6thrust23THRUST_200600_302600_NS16reverse_iteratorIPKlEEjNS1_16block_id_wrapperIjLb1EEEEEvT_jjPNSF_10value_typeET0_PNSt15iterator_traitsISI_E10value_typeEmT1_T2_.has_recursion, 0
	.set _ZN7rocprim17ROCPRIM_400000_NS6detail30init_device_scan_by_key_kernelINS1_19lookback_scan_stateINS0_5tupleIJlbEEELb0ELb0EEEN6thrust23THRUST_200600_302600_NS16reverse_iteratorIPKlEEjNS1_16block_id_wrapperIjLb1EEEEEvT_jjPNSF_10value_typeET0_PNSt15iterator_traitsISI_E10value_typeEmT1_T2_.has_indirect_call, 0
	.section	.AMDGPU.csdata,"",@progbits
; Kernel info:
; codeLenInByte = 664
; TotalNumSgprs: 24
; NumVgprs: 8
; ScratchSize: 0
; MemoryBound: 0
; FloatMode: 240
; IeeeMode: 1
; LDSByteSize: 0 bytes/workgroup (compile time only)
; SGPRBlocks: 0
; VGPRBlocks: 0
; NumSGPRsForWavesPerEU: 24
; NumVGPRsForWavesPerEU: 8
; Occupancy: 16
; WaveLimiterHint : 0
; COMPUTE_PGM_RSRC2:SCRATCH_EN: 0
; COMPUTE_PGM_RSRC2:USER_SGPR: 6
; COMPUTE_PGM_RSRC2:TRAP_HANDLER: 0
; COMPUTE_PGM_RSRC2:TGID_X_EN: 1
; COMPUTE_PGM_RSRC2:TGID_Y_EN: 0
; COMPUTE_PGM_RSRC2:TGID_Z_EN: 0
; COMPUTE_PGM_RSRC2:TIDIG_COMP_CNT: 0
	.section	.text._ZN7rocprim17ROCPRIM_400000_NS6detail17trampoline_kernelINS0_14default_configENS1_27scan_by_key_config_selectorIllEEZZNS1_16scan_by_key_implILNS1_25lookback_scan_determinismE0ELb0ES3_N6thrust23THRUST_200600_302600_NS16reverse_iteratorIPKlEESD_NSA_IPlEElN6hipcub16HIPCUB_304000_NS3MaxENSH_8EqualityElEE10hipError_tPvRmT2_T3_T4_T5_mT6_T7_P12ihipStream_tbENKUlT_T0_E_clISt17integral_constantIbLb0EESZ_IbLb1EEEEDaSV_SW_EUlSV_E_NS1_11comp_targetILNS1_3genE0ELNS1_11target_archE4294967295ELNS1_3gpuE0ELNS1_3repE0EEENS1_30default_config_static_selectorELNS0_4arch9wavefront6targetE0EEEvT1_,"axG",@progbits,_ZN7rocprim17ROCPRIM_400000_NS6detail17trampoline_kernelINS0_14default_configENS1_27scan_by_key_config_selectorIllEEZZNS1_16scan_by_key_implILNS1_25lookback_scan_determinismE0ELb0ES3_N6thrust23THRUST_200600_302600_NS16reverse_iteratorIPKlEESD_NSA_IPlEElN6hipcub16HIPCUB_304000_NS3MaxENSH_8EqualityElEE10hipError_tPvRmT2_T3_T4_T5_mT6_T7_P12ihipStream_tbENKUlT_T0_E_clISt17integral_constantIbLb0EESZ_IbLb1EEEEDaSV_SW_EUlSV_E_NS1_11comp_targetILNS1_3genE0ELNS1_11target_archE4294967295ELNS1_3gpuE0ELNS1_3repE0EEENS1_30default_config_static_selectorELNS0_4arch9wavefront6targetE0EEEvT1_,comdat
	.protected	_ZN7rocprim17ROCPRIM_400000_NS6detail17trampoline_kernelINS0_14default_configENS1_27scan_by_key_config_selectorIllEEZZNS1_16scan_by_key_implILNS1_25lookback_scan_determinismE0ELb0ES3_N6thrust23THRUST_200600_302600_NS16reverse_iteratorIPKlEESD_NSA_IPlEElN6hipcub16HIPCUB_304000_NS3MaxENSH_8EqualityElEE10hipError_tPvRmT2_T3_T4_T5_mT6_T7_P12ihipStream_tbENKUlT_T0_E_clISt17integral_constantIbLb0EESZ_IbLb1EEEEDaSV_SW_EUlSV_E_NS1_11comp_targetILNS1_3genE0ELNS1_11target_archE4294967295ELNS1_3gpuE0ELNS1_3repE0EEENS1_30default_config_static_selectorELNS0_4arch9wavefront6targetE0EEEvT1_ ; -- Begin function _ZN7rocprim17ROCPRIM_400000_NS6detail17trampoline_kernelINS0_14default_configENS1_27scan_by_key_config_selectorIllEEZZNS1_16scan_by_key_implILNS1_25lookback_scan_determinismE0ELb0ES3_N6thrust23THRUST_200600_302600_NS16reverse_iteratorIPKlEESD_NSA_IPlEElN6hipcub16HIPCUB_304000_NS3MaxENSH_8EqualityElEE10hipError_tPvRmT2_T3_T4_T5_mT6_T7_P12ihipStream_tbENKUlT_T0_E_clISt17integral_constantIbLb0EESZ_IbLb1EEEEDaSV_SW_EUlSV_E_NS1_11comp_targetILNS1_3genE0ELNS1_11target_archE4294967295ELNS1_3gpuE0ELNS1_3repE0EEENS1_30default_config_static_selectorELNS0_4arch9wavefront6targetE0EEEvT1_
	.globl	_ZN7rocprim17ROCPRIM_400000_NS6detail17trampoline_kernelINS0_14default_configENS1_27scan_by_key_config_selectorIllEEZZNS1_16scan_by_key_implILNS1_25lookback_scan_determinismE0ELb0ES3_N6thrust23THRUST_200600_302600_NS16reverse_iteratorIPKlEESD_NSA_IPlEElN6hipcub16HIPCUB_304000_NS3MaxENSH_8EqualityElEE10hipError_tPvRmT2_T3_T4_T5_mT6_T7_P12ihipStream_tbENKUlT_T0_E_clISt17integral_constantIbLb0EESZ_IbLb1EEEEDaSV_SW_EUlSV_E_NS1_11comp_targetILNS1_3genE0ELNS1_11target_archE4294967295ELNS1_3gpuE0ELNS1_3repE0EEENS1_30default_config_static_selectorELNS0_4arch9wavefront6targetE0EEEvT1_
	.p2align	8
	.type	_ZN7rocprim17ROCPRIM_400000_NS6detail17trampoline_kernelINS0_14default_configENS1_27scan_by_key_config_selectorIllEEZZNS1_16scan_by_key_implILNS1_25lookback_scan_determinismE0ELb0ES3_N6thrust23THRUST_200600_302600_NS16reverse_iteratorIPKlEESD_NSA_IPlEElN6hipcub16HIPCUB_304000_NS3MaxENSH_8EqualityElEE10hipError_tPvRmT2_T3_T4_T5_mT6_T7_P12ihipStream_tbENKUlT_T0_E_clISt17integral_constantIbLb0EESZ_IbLb1EEEEDaSV_SW_EUlSV_E_NS1_11comp_targetILNS1_3genE0ELNS1_11target_archE4294967295ELNS1_3gpuE0ELNS1_3repE0EEENS1_30default_config_static_selectorELNS0_4arch9wavefront6targetE0EEEvT1_,@function
_ZN7rocprim17ROCPRIM_400000_NS6detail17trampoline_kernelINS0_14default_configENS1_27scan_by_key_config_selectorIllEEZZNS1_16scan_by_key_implILNS1_25lookback_scan_determinismE0ELb0ES3_N6thrust23THRUST_200600_302600_NS16reverse_iteratorIPKlEESD_NSA_IPlEElN6hipcub16HIPCUB_304000_NS3MaxENSH_8EqualityElEE10hipError_tPvRmT2_T3_T4_T5_mT6_T7_P12ihipStream_tbENKUlT_T0_E_clISt17integral_constantIbLb0EESZ_IbLb1EEEEDaSV_SW_EUlSV_E_NS1_11comp_targetILNS1_3genE0ELNS1_11target_archE4294967295ELNS1_3gpuE0ELNS1_3repE0EEENS1_30default_config_static_selectorELNS0_4arch9wavefront6targetE0EEEvT1_: ; @_ZN7rocprim17ROCPRIM_400000_NS6detail17trampoline_kernelINS0_14default_configENS1_27scan_by_key_config_selectorIllEEZZNS1_16scan_by_key_implILNS1_25lookback_scan_determinismE0ELb0ES3_N6thrust23THRUST_200600_302600_NS16reverse_iteratorIPKlEESD_NSA_IPlEElN6hipcub16HIPCUB_304000_NS3MaxENSH_8EqualityElEE10hipError_tPvRmT2_T3_T4_T5_mT6_T7_P12ihipStream_tbENKUlT_T0_E_clISt17integral_constantIbLb0EESZ_IbLb1EEEEDaSV_SW_EUlSV_E_NS1_11comp_targetILNS1_3genE0ELNS1_11target_archE4294967295ELNS1_3gpuE0ELNS1_3repE0EEENS1_30default_config_static_selectorELNS0_4arch9wavefront6targetE0EEEvT1_
; %bb.0:
	.section	.rodata,"a",@progbits
	.p2align	6, 0x0
	.amdhsa_kernel _ZN7rocprim17ROCPRIM_400000_NS6detail17trampoline_kernelINS0_14default_configENS1_27scan_by_key_config_selectorIllEEZZNS1_16scan_by_key_implILNS1_25lookback_scan_determinismE0ELb0ES3_N6thrust23THRUST_200600_302600_NS16reverse_iteratorIPKlEESD_NSA_IPlEElN6hipcub16HIPCUB_304000_NS3MaxENSH_8EqualityElEE10hipError_tPvRmT2_T3_T4_T5_mT6_T7_P12ihipStream_tbENKUlT_T0_E_clISt17integral_constantIbLb0EESZ_IbLb1EEEEDaSV_SW_EUlSV_E_NS1_11comp_targetILNS1_3genE0ELNS1_11target_archE4294967295ELNS1_3gpuE0ELNS1_3repE0EEENS1_30default_config_static_selectorELNS0_4arch9wavefront6targetE0EEEvT1_
		.amdhsa_group_segment_fixed_size 0
		.amdhsa_private_segment_fixed_size 0
		.amdhsa_kernarg_size 136
		.amdhsa_user_sgpr_count 6
		.amdhsa_user_sgpr_private_segment_buffer 1
		.amdhsa_user_sgpr_dispatch_ptr 0
		.amdhsa_user_sgpr_queue_ptr 0
		.amdhsa_user_sgpr_kernarg_segment_ptr 1
		.amdhsa_user_sgpr_dispatch_id 0
		.amdhsa_user_sgpr_flat_scratch_init 0
		.amdhsa_user_sgpr_private_segment_size 0
		.amdhsa_wavefront_size32 1
		.amdhsa_uses_dynamic_stack 0
		.amdhsa_system_sgpr_private_segment_wavefront_offset 0
		.amdhsa_system_sgpr_workgroup_id_x 1
		.amdhsa_system_sgpr_workgroup_id_y 0
		.amdhsa_system_sgpr_workgroup_id_z 0
		.amdhsa_system_sgpr_workgroup_info 0
		.amdhsa_system_vgpr_workitem_id 0
		.amdhsa_next_free_vgpr 1
		.amdhsa_next_free_sgpr 1
		.amdhsa_reserve_vcc 0
		.amdhsa_reserve_flat_scratch 0
		.amdhsa_float_round_mode_32 0
		.amdhsa_float_round_mode_16_64 0
		.amdhsa_float_denorm_mode_32 3
		.amdhsa_float_denorm_mode_16_64 3
		.amdhsa_dx10_clamp 1
		.amdhsa_ieee_mode 1
		.amdhsa_fp16_overflow 0
		.amdhsa_workgroup_processor_mode 1
		.amdhsa_memory_ordered 1
		.amdhsa_forward_progress 1
		.amdhsa_shared_vgpr_count 0
		.amdhsa_exception_fp_ieee_invalid_op 0
		.amdhsa_exception_fp_denorm_src 0
		.amdhsa_exception_fp_ieee_div_zero 0
		.amdhsa_exception_fp_ieee_overflow 0
		.amdhsa_exception_fp_ieee_underflow 0
		.amdhsa_exception_fp_ieee_inexact 0
		.amdhsa_exception_int_div_zero 0
	.end_amdhsa_kernel
	.section	.text._ZN7rocprim17ROCPRIM_400000_NS6detail17trampoline_kernelINS0_14default_configENS1_27scan_by_key_config_selectorIllEEZZNS1_16scan_by_key_implILNS1_25lookback_scan_determinismE0ELb0ES3_N6thrust23THRUST_200600_302600_NS16reverse_iteratorIPKlEESD_NSA_IPlEElN6hipcub16HIPCUB_304000_NS3MaxENSH_8EqualityElEE10hipError_tPvRmT2_T3_T4_T5_mT6_T7_P12ihipStream_tbENKUlT_T0_E_clISt17integral_constantIbLb0EESZ_IbLb1EEEEDaSV_SW_EUlSV_E_NS1_11comp_targetILNS1_3genE0ELNS1_11target_archE4294967295ELNS1_3gpuE0ELNS1_3repE0EEENS1_30default_config_static_selectorELNS0_4arch9wavefront6targetE0EEEvT1_,"axG",@progbits,_ZN7rocprim17ROCPRIM_400000_NS6detail17trampoline_kernelINS0_14default_configENS1_27scan_by_key_config_selectorIllEEZZNS1_16scan_by_key_implILNS1_25lookback_scan_determinismE0ELb0ES3_N6thrust23THRUST_200600_302600_NS16reverse_iteratorIPKlEESD_NSA_IPlEElN6hipcub16HIPCUB_304000_NS3MaxENSH_8EqualityElEE10hipError_tPvRmT2_T3_T4_T5_mT6_T7_P12ihipStream_tbENKUlT_T0_E_clISt17integral_constantIbLb0EESZ_IbLb1EEEEDaSV_SW_EUlSV_E_NS1_11comp_targetILNS1_3genE0ELNS1_11target_archE4294967295ELNS1_3gpuE0ELNS1_3repE0EEENS1_30default_config_static_selectorELNS0_4arch9wavefront6targetE0EEEvT1_,comdat
.Lfunc_end167:
	.size	_ZN7rocprim17ROCPRIM_400000_NS6detail17trampoline_kernelINS0_14default_configENS1_27scan_by_key_config_selectorIllEEZZNS1_16scan_by_key_implILNS1_25lookback_scan_determinismE0ELb0ES3_N6thrust23THRUST_200600_302600_NS16reverse_iteratorIPKlEESD_NSA_IPlEElN6hipcub16HIPCUB_304000_NS3MaxENSH_8EqualityElEE10hipError_tPvRmT2_T3_T4_T5_mT6_T7_P12ihipStream_tbENKUlT_T0_E_clISt17integral_constantIbLb0EESZ_IbLb1EEEEDaSV_SW_EUlSV_E_NS1_11comp_targetILNS1_3genE0ELNS1_11target_archE4294967295ELNS1_3gpuE0ELNS1_3repE0EEENS1_30default_config_static_selectorELNS0_4arch9wavefront6targetE0EEEvT1_, .Lfunc_end167-_ZN7rocprim17ROCPRIM_400000_NS6detail17trampoline_kernelINS0_14default_configENS1_27scan_by_key_config_selectorIllEEZZNS1_16scan_by_key_implILNS1_25lookback_scan_determinismE0ELb0ES3_N6thrust23THRUST_200600_302600_NS16reverse_iteratorIPKlEESD_NSA_IPlEElN6hipcub16HIPCUB_304000_NS3MaxENSH_8EqualityElEE10hipError_tPvRmT2_T3_T4_T5_mT6_T7_P12ihipStream_tbENKUlT_T0_E_clISt17integral_constantIbLb0EESZ_IbLb1EEEEDaSV_SW_EUlSV_E_NS1_11comp_targetILNS1_3genE0ELNS1_11target_archE4294967295ELNS1_3gpuE0ELNS1_3repE0EEENS1_30default_config_static_selectorELNS0_4arch9wavefront6targetE0EEEvT1_
                                        ; -- End function
	.set _ZN7rocprim17ROCPRIM_400000_NS6detail17trampoline_kernelINS0_14default_configENS1_27scan_by_key_config_selectorIllEEZZNS1_16scan_by_key_implILNS1_25lookback_scan_determinismE0ELb0ES3_N6thrust23THRUST_200600_302600_NS16reverse_iteratorIPKlEESD_NSA_IPlEElN6hipcub16HIPCUB_304000_NS3MaxENSH_8EqualityElEE10hipError_tPvRmT2_T3_T4_T5_mT6_T7_P12ihipStream_tbENKUlT_T0_E_clISt17integral_constantIbLb0EESZ_IbLb1EEEEDaSV_SW_EUlSV_E_NS1_11comp_targetILNS1_3genE0ELNS1_11target_archE4294967295ELNS1_3gpuE0ELNS1_3repE0EEENS1_30default_config_static_selectorELNS0_4arch9wavefront6targetE0EEEvT1_.num_vgpr, 0
	.set _ZN7rocprim17ROCPRIM_400000_NS6detail17trampoline_kernelINS0_14default_configENS1_27scan_by_key_config_selectorIllEEZZNS1_16scan_by_key_implILNS1_25lookback_scan_determinismE0ELb0ES3_N6thrust23THRUST_200600_302600_NS16reverse_iteratorIPKlEESD_NSA_IPlEElN6hipcub16HIPCUB_304000_NS3MaxENSH_8EqualityElEE10hipError_tPvRmT2_T3_T4_T5_mT6_T7_P12ihipStream_tbENKUlT_T0_E_clISt17integral_constantIbLb0EESZ_IbLb1EEEEDaSV_SW_EUlSV_E_NS1_11comp_targetILNS1_3genE0ELNS1_11target_archE4294967295ELNS1_3gpuE0ELNS1_3repE0EEENS1_30default_config_static_selectorELNS0_4arch9wavefront6targetE0EEEvT1_.num_agpr, 0
	.set _ZN7rocprim17ROCPRIM_400000_NS6detail17trampoline_kernelINS0_14default_configENS1_27scan_by_key_config_selectorIllEEZZNS1_16scan_by_key_implILNS1_25lookback_scan_determinismE0ELb0ES3_N6thrust23THRUST_200600_302600_NS16reverse_iteratorIPKlEESD_NSA_IPlEElN6hipcub16HIPCUB_304000_NS3MaxENSH_8EqualityElEE10hipError_tPvRmT2_T3_T4_T5_mT6_T7_P12ihipStream_tbENKUlT_T0_E_clISt17integral_constantIbLb0EESZ_IbLb1EEEEDaSV_SW_EUlSV_E_NS1_11comp_targetILNS1_3genE0ELNS1_11target_archE4294967295ELNS1_3gpuE0ELNS1_3repE0EEENS1_30default_config_static_selectorELNS0_4arch9wavefront6targetE0EEEvT1_.numbered_sgpr, 0
	.set _ZN7rocprim17ROCPRIM_400000_NS6detail17trampoline_kernelINS0_14default_configENS1_27scan_by_key_config_selectorIllEEZZNS1_16scan_by_key_implILNS1_25lookback_scan_determinismE0ELb0ES3_N6thrust23THRUST_200600_302600_NS16reverse_iteratorIPKlEESD_NSA_IPlEElN6hipcub16HIPCUB_304000_NS3MaxENSH_8EqualityElEE10hipError_tPvRmT2_T3_T4_T5_mT6_T7_P12ihipStream_tbENKUlT_T0_E_clISt17integral_constantIbLb0EESZ_IbLb1EEEEDaSV_SW_EUlSV_E_NS1_11comp_targetILNS1_3genE0ELNS1_11target_archE4294967295ELNS1_3gpuE0ELNS1_3repE0EEENS1_30default_config_static_selectorELNS0_4arch9wavefront6targetE0EEEvT1_.num_named_barrier, 0
	.set _ZN7rocprim17ROCPRIM_400000_NS6detail17trampoline_kernelINS0_14default_configENS1_27scan_by_key_config_selectorIllEEZZNS1_16scan_by_key_implILNS1_25lookback_scan_determinismE0ELb0ES3_N6thrust23THRUST_200600_302600_NS16reverse_iteratorIPKlEESD_NSA_IPlEElN6hipcub16HIPCUB_304000_NS3MaxENSH_8EqualityElEE10hipError_tPvRmT2_T3_T4_T5_mT6_T7_P12ihipStream_tbENKUlT_T0_E_clISt17integral_constantIbLb0EESZ_IbLb1EEEEDaSV_SW_EUlSV_E_NS1_11comp_targetILNS1_3genE0ELNS1_11target_archE4294967295ELNS1_3gpuE0ELNS1_3repE0EEENS1_30default_config_static_selectorELNS0_4arch9wavefront6targetE0EEEvT1_.private_seg_size, 0
	.set _ZN7rocprim17ROCPRIM_400000_NS6detail17trampoline_kernelINS0_14default_configENS1_27scan_by_key_config_selectorIllEEZZNS1_16scan_by_key_implILNS1_25lookback_scan_determinismE0ELb0ES3_N6thrust23THRUST_200600_302600_NS16reverse_iteratorIPKlEESD_NSA_IPlEElN6hipcub16HIPCUB_304000_NS3MaxENSH_8EqualityElEE10hipError_tPvRmT2_T3_T4_T5_mT6_T7_P12ihipStream_tbENKUlT_T0_E_clISt17integral_constantIbLb0EESZ_IbLb1EEEEDaSV_SW_EUlSV_E_NS1_11comp_targetILNS1_3genE0ELNS1_11target_archE4294967295ELNS1_3gpuE0ELNS1_3repE0EEENS1_30default_config_static_selectorELNS0_4arch9wavefront6targetE0EEEvT1_.uses_vcc, 0
	.set _ZN7rocprim17ROCPRIM_400000_NS6detail17trampoline_kernelINS0_14default_configENS1_27scan_by_key_config_selectorIllEEZZNS1_16scan_by_key_implILNS1_25lookback_scan_determinismE0ELb0ES3_N6thrust23THRUST_200600_302600_NS16reverse_iteratorIPKlEESD_NSA_IPlEElN6hipcub16HIPCUB_304000_NS3MaxENSH_8EqualityElEE10hipError_tPvRmT2_T3_T4_T5_mT6_T7_P12ihipStream_tbENKUlT_T0_E_clISt17integral_constantIbLb0EESZ_IbLb1EEEEDaSV_SW_EUlSV_E_NS1_11comp_targetILNS1_3genE0ELNS1_11target_archE4294967295ELNS1_3gpuE0ELNS1_3repE0EEENS1_30default_config_static_selectorELNS0_4arch9wavefront6targetE0EEEvT1_.uses_flat_scratch, 0
	.set _ZN7rocprim17ROCPRIM_400000_NS6detail17trampoline_kernelINS0_14default_configENS1_27scan_by_key_config_selectorIllEEZZNS1_16scan_by_key_implILNS1_25lookback_scan_determinismE0ELb0ES3_N6thrust23THRUST_200600_302600_NS16reverse_iteratorIPKlEESD_NSA_IPlEElN6hipcub16HIPCUB_304000_NS3MaxENSH_8EqualityElEE10hipError_tPvRmT2_T3_T4_T5_mT6_T7_P12ihipStream_tbENKUlT_T0_E_clISt17integral_constantIbLb0EESZ_IbLb1EEEEDaSV_SW_EUlSV_E_NS1_11comp_targetILNS1_3genE0ELNS1_11target_archE4294967295ELNS1_3gpuE0ELNS1_3repE0EEENS1_30default_config_static_selectorELNS0_4arch9wavefront6targetE0EEEvT1_.has_dyn_sized_stack, 0
	.set _ZN7rocprim17ROCPRIM_400000_NS6detail17trampoline_kernelINS0_14default_configENS1_27scan_by_key_config_selectorIllEEZZNS1_16scan_by_key_implILNS1_25lookback_scan_determinismE0ELb0ES3_N6thrust23THRUST_200600_302600_NS16reverse_iteratorIPKlEESD_NSA_IPlEElN6hipcub16HIPCUB_304000_NS3MaxENSH_8EqualityElEE10hipError_tPvRmT2_T3_T4_T5_mT6_T7_P12ihipStream_tbENKUlT_T0_E_clISt17integral_constantIbLb0EESZ_IbLb1EEEEDaSV_SW_EUlSV_E_NS1_11comp_targetILNS1_3genE0ELNS1_11target_archE4294967295ELNS1_3gpuE0ELNS1_3repE0EEENS1_30default_config_static_selectorELNS0_4arch9wavefront6targetE0EEEvT1_.has_recursion, 0
	.set _ZN7rocprim17ROCPRIM_400000_NS6detail17trampoline_kernelINS0_14default_configENS1_27scan_by_key_config_selectorIllEEZZNS1_16scan_by_key_implILNS1_25lookback_scan_determinismE0ELb0ES3_N6thrust23THRUST_200600_302600_NS16reverse_iteratorIPKlEESD_NSA_IPlEElN6hipcub16HIPCUB_304000_NS3MaxENSH_8EqualityElEE10hipError_tPvRmT2_T3_T4_T5_mT6_T7_P12ihipStream_tbENKUlT_T0_E_clISt17integral_constantIbLb0EESZ_IbLb1EEEEDaSV_SW_EUlSV_E_NS1_11comp_targetILNS1_3genE0ELNS1_11target_archE4294967295ELNS1_3gpuE0ELNS1_3repE0EEENS1_30default_config_static_selectorELNS0_4arch9wavefront6targetE0EEEvT1_.has_indirect_call, 0
	.section	.AMDGPU.csdata,"",@progbits
; Kernel info:
; codeLenInByte = 0
; TotalNumSgprs: 0
; NumVgprs: 0
; ScratchSize: 0
; MemoryBound: 0
; FloatMode: 240
; IeeeMode: 1
; LDSByteSize: 0 bytes/workgroup (compile time only)
; SGPRBlocks: 0
; VGPRBlocks: 0
; NumSGPRsForWavesPerEU: 1
; NumVGPRsForWavesPerEU: 1
; Occupancy: 16
; WaveLimiterHint : 0
; COMPUTE_PGM_RSRC2:SCRATCH_EN: 0
; COMPUTE_PGM_RSRC2:USER_SGPR: 6
; COMPUTE_PGM_RSRC2:TRAP_HANDLER: 0
; COMPUTE_PGM_RSRC2:TGID_X_EN: 1
; COMPUTE_PGM_RSRC2:TGID_Y_EN: 0
; COMPUTE_PGM_RSRC2:TGID_Z_EN: 0
; COMPUTE_PGM_RSRC2:TIDIG_COMP_CNT: 0
	.section	.text._ZN7rocprim17ROCPRIM_400000_NS6detail17trampoline_kernelINS0_14default_configENS1_27scan_by_key_config_selectorIllEEZZNS1_16scan_by_key_implILNS1_25lookback_scan_determinismE0ELb0ES3_N6thrust23THRUST_200600_302600_NS16reverse_iteratorIPKlEESD_NSA_IPlEElN6hipcub16HIPCUB_304000_NS3MaxENSH_8EqualityElEE10hipError_tPvRmT2_T3_T4_T5_mT6_T7_P12ihipStream_tbENKUlT_T0_E_clISt17integral_constantIbLb0EESZ_IbLb1EEEEDaSV_SW_EUlSV_E_NS1_11comp_targetILNS1_3genE10ELNS1_11target_archE1201ELNS1_3gpuE5ELNS1_3repE0EEENS1_30default_config_static_selectorELNS0_4arch9wavefront6targetE0EEEvT1_,"axG",@progbits,_ZN7rocprim17ROCPRIM_400000_NS6detail17trampoline_kernelINS0_14default_configENS1_27scan_by_key_config_selectorIllEEZZNS1_16scan_by_key_implILNS1_25lookback_scan_determinismE0ELb0ES3_N6thrust23THRUST_200600_302600_NS16reverse_iteratorIPKlEESD_NSA_IPlEElN6hipcub16HIPCUB_304000_NS3MaxENSH_8EqualityElEE10hipError_tPvRmT2_T3_T4_T5_mT6_T7_P12ihipStream_tbENKUlT_T0_E_clISt17integral_constantIbLb0EESZ_IbLb1EEEEDaSV_SW_EUlSV_E_NS1_11comp_targetILNS1_3genE10ELNS1_11target_archE1201ELNS1_3gpuE5ELNS1_3repE0EEENS1_30default_config_static_selectorELNS0_4arch9wavefront6targetE0EEEvT1_,comdat
	.protected	_ZN7rocprim17ROCPRIM_400000_NS6detail17trampoline_kernelINS0_14default_configENS1_27scan_by_key_config_selectorIllEEZZNS1_16scan_by_key_implILNS1_25lookback_scan_determinismE0ELb0ES3_N6thrust23THRUST_200600_302600_NS16reverse_iteratorIPKlEESD_NSA_IPlEElN6hipcub16HIPCUB_304000_NS3MaxENSH_8EqualityElEE10hipError_tPvRmT2_T3_T4_T5_mT6_T7_P12ihipStream_tbENKUlT_T0_E_clISt17integral_constantIbLb0EESZ_IbLb1EEEEDaSV_SW_EUlSV_E_NS1_11comp_targetILNS1_3genE10ELNS1_11target_archE1201ELNS1_3gpuE5ELNS1_3repE0EEENS1_30default_config_static_selectorELNS0_4arch9wavefront6targetE0EEEvT1_ ; -- Begin function _ZN7rocprim17ROCPRIM_400000_NS6detail17trampoline_kernelINS0_14default_configENS1_27scan_by_key_config_selectorIllEEZZNS1_16scan_by_key_implILNS1_25lookback_scan_determinismE0ELb0ES3_N6thrust23THRUST_200600_302600_NS16reverse_iteratorIPKlEESD_NSA_IPlEElN6hipcub16HIPCUB_304000_NS3MaxENSH_8EqualityElEE10hipError_tPvRmT2_T3_T4_T5_mT6_T7_P12ihipStream_tbENKUlT_T0_E_clISt17integral_constantIbLb0EESZ_IbLb1EEEEDaSV_SW_EUlSV_E_NS1_11comp_targetILNS1_3genE10ELNS1_11target_archE1201ELNS1_3gpuE5ELNS1_3repE0EEENS1_30default_config_static_selectorELNS0_4arch9wavefront6targetE0EEEvT1_
	.globl	_ZN7rocprim17ROCPRIM_400000_NS6detail17trampoline_kernelINS0_14default_configENS1_27scan_by_key_config_selectorIllEEZZNS1_16scan_by_key_implILNS1_25lookback_scan_determinismE0ELb0ES3_N6thrust23THRUST_200600_302600_NS16reverse_iteratorIPKlEESD_NSA_IPlEElN6hipcub16HIPCUB_304000_NS3MaxENSH_8EqualityElEE10hipError_tPvRmT2_T3_T4_T5_mT6_T7_P12ihipStream_tbENKUlT_T0_E_clISt17integral_constantIbLb0EESZ_IbLb1EEEEDaSV_SW_EUlSV_E_NS1_11comp_targetILNS1_3genE10ELNS1_11target_archE1201ELNS1_3gpuE5ELNS1_3repE0EEENS1_30default_config_static_selectorELNS0_4arch9wavefront6targetE0EEEvT1_
	.p2align	8
	.type	_ZN7rocprim17ROCPRIM_400000_NS6detail17trampoline_kernelINS0_14default_configENS1_27scan_by_key_config_selectorIllEEZZNS1_16scan_by_key_implILNS1_25lookback_scan_determinismE0ELb0ES3_N6thrust23THRUST_200600_302600_NS16reverse_iteratorIPKlEESD_NSA_IPlEElN6hipcub16HIPCUB_304000_NS3MaxENSH_8EqualityElEE10hipError_tPvRmT2_T3_T4_T5_mT6_T7_P12ihipStream_tbENKUlT_T0_E_clISt17integral_constantIbLb0EESZ_IbLb1EEEEDaSV_SW_EUlSV_E_NS1_11comp_targetILNS1_3genE10ELNS1_11target_archE1201ELNS1_3gpuE5ELNS1_3repE0EEENS1_30default_config_static_selectorELNS0_4arch9wavefront6targetE0EEEvT1_,@function
_ZN7rocprim17ROCPRIM_400000_NS6detail17trampoline_kernelINS0_14default_configENS1_27scan_by_key_config_selectorIllEEZZNS1_16scan_by_key_implILNS1_25lookback_scan_determinismE0ELb0ES3_N6thrust23THRUST_200600_302600_NS16reverse_iteratorIPKlEESD_NSA_IPlEElN6hipcub16HIPCUB_304000_NS3MaxENSH_8EqualityElEE10hipError_tPvRmT2_T3_T4_T5_mT6_T7_P12ihipStream_tbENKUlT_T0_E_clISt17integral_constantIbLb0EESZ_IbLb1EEEEDaSV_SW_EUlSV_E_NS1_11comp_targetILNS1_3genE10ELNS1_11target_archE1201ELNS1_3gpuE5ELNS1_3repE0EEENS1_30default_config_static_selectorELNS0_4arch9wavefront6targetE0EEEvT1_: ; @_ZN7rocprim17ROCPRIM_400000_NS6detail17trampoline_kernelINS0_14default_configENS1_27scan_by_key_config_selectorIllEEZZNS1_16scan_by_key_implILNS1_25lookback_scan_determinismE0ELb0ES3_N6thrust23THRUST_200600_302600_NS16reverse_iteratorIPKlEESD_NSA_IPlEElN6hipcub16HIPCUB_304000_NS3MaxENSH_8EqualityElEE10hipError_tPvRmT2_T3_T4_T5_mT6_T7_P12ihipStream_tbENKUlT_T0_E_clISt17integral_constantIbLb0EESZ_IbLb1EEEEDaSV_SW_EUlSV_E_NS1_11comp_targetILNS1_3genE10ELNS1_11target_archE1201ELNS1_3gpuE5ELNS1_3repE0EEENS1_30default_config_static_selectorELNS0_4arch9wavefront6targetE0EEEvT1_
; %bb.0:
	.section	.rodata,"a",@progbits
	.p2align	6, 0x0
	.amdhsa_kernel _ZN7rocprim17ROCPRIM_400000_NS6detail17trampoline_kernelINS0_14default_configENS1_27scan_by_key_config_selectorIllEEZZNS1_16scan_by_key_implILNS1_25lookback_scan_determinismE0ELb0ES3_N6thrust23THRUST_200600_302600_NS16reverse_iteratorIPKlEESD_NSA_IPlEElN6hipcub16HIPCUB_304000_NS3MaxENSH_8EqualityElEE10hipError_tPvRmT2_T3_T4_T5_mT6_T7_P12ihipStream_tbENKUlT_T0_E_clISt17integral_constantIbLb0EESZ_IbLb1EEEEDaSV_SW_EUlSV_E_NS1_11comp_targetILNS1_3genE10ELNS1_11target_archE1201ELNS1_3gpuE5ELNS1_3repE0EEENS1_30default_config_static_selectorELNS0_4arch9wavefront6targetE0EEEvT1_
		.amdhsa_group_segment_fixed_size 0
		.amdhsa_private_segment_fixed_size 0
		.amdhsa_kernarg_size 136
		.amdhsa_user_sgpr_count 6
		.amdhsa_user_sgpr_private_segment_buffer 1
		.amdhsa_user_sgpr_dispatch_ptr 0
		.amdhsa_user_sgpr_queue_ptr 0
		.amdhsa_user_sgpr_kernarg_segment_ptr 1
		.amdhsa_user_sgpr_dispatch_id 0
		.amdhsa_user_sgpr_flat_scratch_init 0
		.amdhsa_user_sgpr_private_segment_size 0
		.amdhsa_wavefront_size32 1
		.amdhsa_uses_dynamic_stack 0
		.amdhsa_system_sgpr_private_segment_wavefront_offset 0
		.amdhsa_system_sgpr_workgroup_id_x 1
		.amdhsa_system_sgpr_workgroup_id_y 0
		.amdhsa_system_sgpr_workgroup_id_z 0
		.amdhsa_system_sgpr_workgroup_info 0
		.amdhsa_system_vgpr_workitem_id 0
		.amdhsa_next_free_vgpr 1
		.amdhsa_next_free_sgpr 1
		.amdhsa_reserve_vcc 0
		.amdhsa_reserve_flat_scratch 0
		.amdhsa_float_round_mode_32 0
		.amdhsa_float_round_mode_16_64 0
		.amdhsa_float_denorm_mode_32 3
		.amdhsa_float_denorm_mode_16_64 3
		.amdhsa_dx10_clamp 1
		.amdhsa_ieee_mode 1
		.amdhsa_fp16_overflow 0
		.amdhsa_workgroup_processor_mode 1
		.amdhsa_memory_ordered 1
		.amdhsa_forward_progress 1
		.amdhsa_shared_vgpr_count 0
		.amdhsa_exception_fp_ieee_invalid_op 0
		.amdhsa_exception_fp_denorm_src 0
		.amdhsa_exception_fp_ieee_div_zero 0
		.amdhsa_exception_fp_ieee_overflow 0
		.amdhsa_exception_fp_ieee_underflow 0
		.amdhsa_exception_fp_ieee_inexact 0
		.amdhsa_exception_int_div_zero 0
	.end_amdhsa_kernel
	.section	.text._ZN7rocprim17ROCPRIM_400000_NS6detail17trampoline_kernelINS0_14default_configENS1_27scan_by_key_config_selectorIllEEZZNS1_16scan_by_key_implILNS1_25lookback_scan_determinismE0ELb0ES3_N6thrust23THRUST_200600_302600_NS16reverse_iteratorIPKlEESD_NSA_IPlEElN6hipcub16HIPCUB_304000_NS3MaxENSH_8EqualityElEE10hipError_tPvRmT2_T3_T4_T5_mT6_T7_P12ihipStream_tbENKUlT_T0_E_clISt17integral_constantIbLb0EESZ_IbLb1EEEEDaSV_SW_EUlSV_E_NS1_11comp_targetILNS1_3genE10ELNS1_11target_archE1201ELNS1_3gpuE5ELNS1_3repE0EEENS1_30default_config_static_selectorELNS0_4arch9wavefront6targetE0EEEvT1_,"axG",@progbits,_ZN7rocprim17ROCPRIM_400000_NS6detail17trampoline_kernelINS0_14default_configENS1_27scan_by_key_config_selectorIllEEZZNS1_16scan_by_key_implILNS1_25lookback_scan_determinismE0ELb0ES3_N6thrust23THRUST_200600_302600_NS16reverse_iteratorIPKlEESD_NSA_IPlEElN6hipcub16HIPCUB_304000_NS3MaxENSH_8EqualityElEE10hipError_tPvRmT2_T3_T4_T5_mT6_T7_P12ihipStream_tbENKUlT_T0_E_clISt17integral_constantIbLb0EESZ_IbLb1EEEEDaSV_SW_EUlSV_E_NS1_11comp_targetILNS1_3genE10ELNS1_11target_archE1201ELNS1_3gpuE5ELNS1_3repE0EEENS1_30default_config_static_selectorELNS0_4arch9wavefront6targetE0EEEvT1_,comdat
.Lfunc_end168:
	.size	_ZN7rocprim17ROCPRIM_400000_NS6detail17trampoline_kernelINS0_14default_configENS1_27scan_by_key_config_selectorIllEEZZNS1_16scan_by_key_implILNS1_25lookback_scan_determinismE0ELb0ES3_N6thrust23THRUST_200600_302600_NS16reverse_iteratorIPKlEESD_NSA_IPlEElN6hipcub16HIPCUB_304000_NS3MaxENSH_8EqualityElEE10hipError_tPvRmT2_T3_T4_T5_mT6_T7_P12ihipStream_tbENKUlT_T0_E_clISt17integral_constantIbLb0EESZ_IbLb1EEEEDaSV_SW_EUlSV_E_NS1_11comp_targetILNS1_3genE10ELNS1_11target_archE1201ELNS1_3gpuE5ELNS1_3repE0EEENS1_30default_config_static_selectorELNS0_4arch9wavefront6targetE0EEEvT1_, .Lfunc_end168-_ZN7rocprim17ROCPRIM_400000_NS6detail17trampoline_kernelINS0_14default_configENS1_27scan_by_key_config_selectorIllEEZZNS1_16scan_by_key_implILNS1_25lookback_scan_determinismE0ELb0ES3_N6thrust23THRUST_200600_302600_NS16reverse_iteratorIPKlEESD_NSA_IPlEElN6hipcub16HIPCUB_304000_NS3MaxENSH_8EqualityElEE10hipError_tPvRmT2_T3_T4_T5_mT6_T7_P12ihipStream_tbENKUlT_T0_E_clISt17integral_constantIbLb0EESZ_IbLb1EEEEDaSV_SW_EUlSV_E_NS1_11comp_targetILNS1_3genE10ELNS1_11target_archE1201ELNS1_3gpuE5ELNS1_3repE0EEENS1_30default_config_static_selectorELNS0_4arch9wavefront6targetE0EEEvT1_
                                        ; -- End function
	.set _ZN7rocprim17ROCPRIM_400000_NS6detail17trampoline_kernelINS0_14default_configENS1_27scan_by_key_config_selectorIllEEZZNS1_16scan_by_key_implILNS1_25lookback_scan_determinismE0ELb0ES3_N6thrust23THRUST_200600_302600_NS16reverse_iteratorIPKlEESD_NSA_IPlEElN6hipcub16HIPCUB_304000_NS3MaxENSH_8EqualityElEE10hipError_tPvRmT2_T3_T4_T5_mT6_T7_P12ihipStream_tbENKUlT_T0_E_clISt17integral_constantIbLb0EESZ_IbLb1EEEEDaSV_SW_EUlSV_E_NS1_11comp_targetILNS1_3genE10ELNS1_11target_archE1201ELNS1_3gpuE5ELNS1_3repE0EEENS1_30default_config_static_selectorELNS0_4arch9wavefront6targetE0EEEvT1_.num_vgpr, 0
	.set _ZN7rocprim17ROCPRIM_400000_NS6detail17trampoline_kernelINS0_14default_configENS1_27scan_by_key_config_selectorIllEEZZNS1_16scan_by_key_implILNS1_25lookback_scan_determinismE0ELb0ES3_N6thrust23THRUST_200600_302600_NS16reverse_iteratorIPKlEESD_NSA_IPlEElN6hipcub16HIPCUB_304000_NS3MaxENSH_8EqualityElEE10hipError_tPvRmT2_T3_T4_T5_mT6_T7_P12ihipStream_tbENKUlT_T0_E_clISt17integral_constantIbLb0EESZ_IbLb1EEEEDaSV_SW_EUlSV_E_NS1_11comp_targetILNS1_3genE10ELNS1_11target_archE1201ELNS1_3gpuE5ELNS1_3repE0EEENS1_30default_config_static_selectorELNS0_4arch9wavefront6targetE0EEEvT1_.num_agpr, 0
	.set _ZN7rocprim17ROCPRIM_400000_NS6detail17trampoline_kernelINS0_14default_configENS1_27scan_by_key_config_selectorIllEEZZNS1_16scan_by_key_implILNS1_25lookback_scan_determinismE0ELb0ES3_N6thrust23THRUST_200600_302600_NS16reverse_iteratorIPKlEESD_NSA_IPlEElN6hipcub16HIPCUB_304000_NS3MaxENSH_8EqualityElEE10hipError_tPvRmT2_T3_T4_T5_mT6_T7_P12ihipStream_tbENKUlT_T0_E_clISt17integral_constantIbLb0EESZ_IbLb1EEEEDaSV_SW_EUlSV_E_NS1_11comp_targetILNS1_3genE10ELNS1_11target_archE1201ELNS1_3gpuE5ELNS1_3repE0EEENS1_30default_config_static_selectorELNS0_4arch9wavefront6targetE0EEEvT1_.numbered_sgpr, 0
	.set _ZN7rocprim17ROCPRIM_400000_NS6detail17trampoline_kernelINS0_14default_configENS1_27scan_by_key_config_selectorIllEEZZNS1_16scan_by_key_implILNS1_25lookback_scan_determinismE0ELb0ES3_N6thrust23THRUST_200600_302600_NS16reverse_iteratorIPKlEESD_NSA_IPlEElN6hipcub16HIPCUB_304000_NS3MaxENSH_8EqualityElEE10hipError_tPvRmT2_T3_T4_T5_mT6_T7_P12ihipStream_tbENKUlT_T0_E_clISt17integral_constantIbLb0EESZ_IbLb1EEEEDaSV_SW_EUlSV_E_NS1_11comp_targetILNS1_3genE10ELNS1_11target_archE1201ELNS1_3gpuE5ELNS1_3repE0EEENS1_30default_config_static_selectorELNS0_4arch9wavefront6targetE0EEEvT1_.num_named_barrier, 0
	.set _ZN7rocprim17ROCPRIM_400000_NS6detail17trampoline_kernelINS0_14default_configENS1_27scan_by_key_config_selectorIllEEZZNS1_16scan_by_key_implILNS1_25lookback_scan_determinismE0ELb0ES3_N6thrust23THRUST_200600_302600_NS16reverse_iteratorIPKlEESD_NSA_IPlEElN6hipcub16HIPCUB_304000_NS3MaxENSH_8EqualityElEE10hipError_tPvRmT2_T3_T4_T5_mT6_T7_P12ihipStream_tbENKUlT_T0_E_clISt17integral_constantIbLb0EESZ_IbLb1EEEEDaSV_SW_EUlSV_E_NS1_11comp_targetILNS1_3genE10ELNS1_11target_archE1201ELNS1_3gpuE5ELNS1_3repE0EEENS1_30default_config_static_selectorELNS0_4arch9wavefront6targetE0EEEvT1_.private_seg_size, 0
	.set _ZN7rocprim17ROCPRIM_400000_NS6detail17trampoline_kernelINS0_14default_configENS1_27scan_by_key_config_selectorIllEEZZNS1_16scan_by_key_implILNS1_25lookback_scan_determinismE0ELb0ES3_N6thrust23THRUST_200600_302600_NS16reverse_iteratorIPKlEESD_NSA_IPlEElN6hipcub16HIPCUB_304000_NS3MaxENSH_8EqualityElEE10hipError_tPvRmT2_T3_T4_T5_mT6_T7_P12ihipStream_tbENKUlT_T0_E_clISt17integral_constantIbLb0EESZ_IbLb1EEEEDaSV_SW_EUlSV_E_NS1_11comp_targetILNS1_3genE10ELNS1_11target_archE1201ELNS1_3gpuE5ELNS1_3repE0EEENS1_30default_config_static_selectorELNS0_4arch9wavefront6targetE0EEEvT1_.uses_vcc, 0
	.set _ZN7rocprim17ROCPRIM_400000_NS6detail17trampoline_kernelINS0_14default_configENS1_27scan_by_key_config_selectorIllEEZZNS1_16scan_by_key_implILNS1_25lookback_scan_determinismE0ELb0ES3_N6thrust23THRUST_200600_302600_NS16reverse_iteratorIPKlEESD_NSA_IPlEElN6hipcub16HIPCUB_304000_NS3MaxENSH_8EqualityElEE10hipError_tPvRmT2_T3_T4_T5_mT6_T7_P12ihipStream_tbENKUlT_T0_E_clISt17integral_constantIbLb0EESZ_IbLb1EEEEDaSV_SW_EUlSV_E_NS1_11comp_targetILNS1_3genE10ELNS1_11target_archE1201ELNS1_3gpuE5ELNS1_3repE0EEENS1_30default_config_static_selectorELNS0_4arch9wavefront6targetE0EEEvT1_.uses_flat_scratch, 0
	.set _ZN7rocprim17ROCPRIM_400000_NS6detail17trampoline_kernelINS0_14default_configENS1_27scan_by_key_config_selectorIllEEZZNS1_16scan_by_key_implILNS1_25lookback_scan_determinismE0ELb0ES3_N6thrust23THRUST_200600_302600_NS16reverse_iteratorIPKlEESD_NSA_IPlEElN6hipcub16HIPCUB_304000_NS3MaxENSH_8EqualityElEE10hipError_tPvRmT2_T3_T4_T5_mT6_T7_P12ihipStream_tbENKUlT_T0_E_clISt17integral_constantIbLb0EESZ_IbLb1EEEEDaSV_SW_EUlSV_E_NS1_11comp_targetILNS1_3genE10ELNS1_11target_archE1201ELNS1_3gpuE5ELNS1_3repE0EEENS1_30default_config_static_selectorELNS0_4arch9wavefront6targetE0EEEvT1_.has_dyn_sized_stack, 0
	.set _ZN7rocprim17ROCPRIM_400000_NS6detail17trampoline_kernelINS0_14default_configENS1_27scan_by_key_config_selectorIllEEZZNS1_16scan_by_key_implILNS1_25lookback_scan_determinismE0ELb0ES3_N6thrust23THRUST_200600_302600_NS16reverse_iteratorIPKlEESD_NSA_IPlEElN6hipcub16HIPCUB_304000_NS3MaxENSH_8EqualityElEE10hipError_tPvRmT2_T3_T4_T5_mT6_T7_P12ihipStream_tbENKUlT_T0_E_clISt17integral_constantIbLb0EESZ_IbLb1EEEEDaSV_SW_EUlSV_E_NS1_11comp_targetILNS1_3genE10ELNS1_11target_archE1201ELNS1_3gpuE5ELNS1_3repE0EEENS1_30default_config_static_selectorELNS0_4arch9wavefront6targetE0EEEvT1_.has_recursion, 0
	.set _ZN7rocprim17ROCPRIM_400000_NS6detail17trampoline_kernelINS0_14default_configENS1_27scan_by_key_config_selectorIllEEZZNS1_16scan_by_key_implILNS1_25lookback_scan_determinismE0ELb0ES3_N6thrust23THRUST_200600_302600_NS16reverse_iteratorIPKlEESD_NSA_IPlEElN6hipcub16HIPCUB_304000_NS3MaxENSH_8EqualityElEE10hipError_tPvRmT2_T3_T4_T5_mT6_T7_P12ihipStream_tbENKUlT_T0_E_clISt17integral_constantIbLb0EESZ_IbLb1EEEEDaSV_SW_EUlSV_E_NS1_11comp_targetILNS1_3genE10ELNS1_11target_archE1201ELNS1_3gpuE5ELNS1_3repE0EEENS1_30default_config_static_selectorELNS0_4arch9wavefront6targetE0EEEvT1_.has_indirect_call, 0
	.section	.AMDGPU.csdata,"",@progbits
; Kernel info:
; codeLenInByte = 0
; TotalNumSgprs: 0
; NumVgprs: 0
; ScratchSize: 0
; MemoryBound: 0
; FloatMode: 240
; IeeeMode: 1
; LDSByteSize: 0 bytes/workgroup (compile time only)
; SGPRBlocks: 0
; VGPRBlocks: 0
; NumSGPRsForWavesPerEU: 1
; NumVGPRsForWavesPerEU: 1
; Occupancy: 16
; WaveLimiterHint : 0
; COMPUTE_PGM_RSRC2:SCRATCH_EN: 0
; COMPUTE_PGM_RSRC2:USER_SGPR: 6
; COMPUTE_PGM_RSRC2:TRAP_HANDLER: 0
; COMPUTE_PGM_RSRC2:TGID_X_EN: 1
; COMPUTE_PGM_RSRC2:TGID_Y_EN: 0
; COMPUTE_PGM_RSRC2:TGID_Z_EN: 0
; COMPUTE_PGM_RSRC2:TIDIG_COMP_CNT: 0
	.section	.text._ZN7rocprim17ROCPRIM_400000_NS6detail17trampoline_kernelINS0_14default_configENS1_27scan_by_key_config_selectorIllEEZZNS1_16scan_by_key_implILNS1_25lookback_scan_determinismE0ELb0ES3_N6thrust23THRUST_200600_302600_NS16reverse_iteratorIPKlEESD_NSA_IPlEElN6hipcub16HIPCUB_304000_NS3MaxENSH_8EqualityElEE10hipError_tPvRmT2_T3_T4_T5_mT6_T7_P12ihipStream_tbENKUlT_T0_E_clISt17integral_constantIbLb0EESZ_IbLb1EEEEDaSV_SW_EUlSV_E_NS1_11comp_targetILNS1_3genE5ELNS1_11target_archE942ELNS1_3gpuE9ELNS1_3repE0EEENS1_30default_config_static_selectorELNS0_4arch9wavefront6targetE0EEEvT1_,"axG",@progbits,_ZN7rocprim17ROCPRIM_400000_NS6detail17trampoline_kernelINS0_14default_configENS1_27scan_by_key_config_selectorIllEEZZNS1_16scan_by_key_implILNS1_25lookback_scan_determinismE0ELb0ES3_N6thrust23THRUST_200600_302600_NS16reverse_iteratorIPKlEESD_NSA_IPlEElN6hipcub16HIPCUB_304000_NS3MaxENSH_8EqualityElEE10hipError_tPvRmT2_T3_T4_T5_mT6_T7_P12ihipStream_tbENKUlT_T0_E_clISt17integral_constantIbLb0EESZ_IbLb1EEEEDaSV_SW_EUlSV_E_NS1_11comp_targetILNS1_3genE5ELNS1_11target_archE942ELNS1_3gpuE9ELNS1_3repE0EEENS1_30default_config_static_selectorELNS0_4arch9wavefront6targetE0EEEvT1_,comdat
	.protected	_ZN7rocprim17ROCPRIM_400000_NS6detail17trampoline_kernelINS0_14default_configENS1_27scan_by_key_config_selectorIllEEZZNS1_16scan_by_key_implILNS1_25lookback_scan_determinismE0ELb0ES3_N6thrust23THRUST_200600_302600_NS16reverse_iteratorIPKlEESD_NSA_IPlEElN6hipcub16HIPCUB_304000_NS3MaxENSH_8EqualityElEE10hipError_tPvRmT2_T3_T4_T5_mT6_T7_P12ihipStream_tbENKUlT_T0_E_clISt17integral_constantIbLb0EESZ_IbLb1EEEEDaSV_SW_EUlSV_E_NS1_11comp_targetILNS1_3genE5ELNS1_11target_archE942ELNS1_3gpuE9ELNS1_3repE0EEENS1_30default_config_static_selectorELNS0_4arch9wavefront6targetE0EEEvT1_ ; -- Begin function _ZN7rocprim17ROCPRIM_400000_NS6detail17trampoline_kernelINS0_14default_configENS1_27scan_by_key_config_selectorIllEEZZNS1_16scan_by_key_implILNS1_25lookback_scan_determinismE0ELb0ES3_N6thrust23THRUST_200600_302600_NS16reverse_iteratorIPKlEESD_NSA_IPlEElN6hipcub16HIPCUB_304000_NS3MaxENSH_8EqualityElEE10hipError_tPvRmT2_T3_T4_T5_mT6_T7_P12ihipStream_tbENKUlT_T0_E_clISt17integral_constantIbLb0EESZ_IbLb1EEEEDaSV_SW_EUlSV_E_NS1_11comp_targetILNS1_3genE5ELNS1_11target_archE942ELNS1_3gpuE9ELNS1_3repE0EEENS1_30default_config_static_selectorELNS0_4arch9wavefront6targetE0EEEvT1_
	.globl	_ZN7rocprim17ROCPRIM_400000_NS6detail17trampoline_kernelINS0_14default_configENS1_27scan_by_key_config_selectorIllEEZZNS1_16scan_by_key_implILNS1_25lookback_scan_determinismE0ELb0ES3_N6thrust23THRUST_200600_302600_NS16reverse_iteratorIPKlEESD_NSA_IPlEElN6hipcub16HIPCUB_304000_NS3MaxENSH_8EqualityElEE10hipError_tPvRmT2_T3_T4_T5_mT6_T7_P12ihipStream_tbENKUlT_T0_E_clISt17integral_constantIbLb0EESZ_IbLb1EEEEDaSV_SW_EUlSV_E_NS1_11comp_targetILNS1_3genE5ELNS1_11target_archE942ELNS1_3gpuE9ELNS1_3repE0EEENS1_30default_config_static_selectorELNS0_4arch9wavefront6targetE0EEEvT1_
	.p2align	8
	.type	_ZN7rocprim17ROCPRIM_400000_NS6detail17trampoline_kernelINS0_14default_configENS1_27scan_by_key_config_selectorIllEEZZNS1_16scan_by_key_implILNS1_25lookback_scan_determinismE0ELb0ES3_N6thrust23THRUST_200600_302600_NS16reverse_iteratorIPKlEESD_NSA_IPlEElN6hipcub16HIPCUB_304000_NS3MaxENSH_8EqualityElEE10hipError_tPvRmT2_T3_T4_T5_mT6_T7_P12ihipStream_tbENKUlT_T0_E_clISt17integral_constantIbLb0EESZ_IbLb1EEEEDaSV_SW_EUlSV_E_NS1_11comp_targetILNS1_3genE5ELNS1_11target_archE942ELNS1_3gpuE9ELNS1_3repE0EEENS1_30default_config_static_selectorELNS0_4arch9wavefront6targetE0EEEvT1_,@function
_ZN7rocprim17ROCPRIM_400000_NS6detail17trampoline_kernelINS0_14default_configENS1_27scan_by_key_config_selectorIllEEZZNS1_16scan_by_key_implILNS1_25lookback_scan_determinismE0ELb0ES3_N6thrust23THRUST_200600_302600_NS16reverse_iteratorIPKlEESD_NSA_IPlEElN6hipcub16HIPCUB_304000_NS3MaxENSH_8EqualityElEE10hipError_tPvRmT2_T3_T4_T5_mT6_T7_P12ihipStream_tbENKUlT_T0_E_clISt17integral_constantIbLb0EESZ_IbLb1EEEEDaSV_SW_EUlSV_E_NS1_11comp_targetILNS1_3genE5ELNS1_11target_archE942ELNS1_3gpuE9ELNS1_3repE0EEENS1_30default_config_static_selectorELNS0_4arch9wavefront6targetE0EEEvT1_: ; @_ZN7rocprim17ROCPRIM_400000_NS6detail17trampoline_kernelINS0_14default_configENS1_27scan_by_key_config_selectorIllEEZZNS1_16scan_by_key_implILNS1_25lookback_scan_determinismE0ELb0ES3_N6thrust23THRUST_200600_302600_NS16reverse_iteratorIPKlEESD_NSA_IPlEElN6hipcub16HIPCUB_304000_NS3MaxENSH_8EqualityElEE10hipError_tPvRmT2_T3_T4_T5_mT6_T7_P12ihipStream_tbENKUlT_T0_E_clISt17integral_constantIbLb0EESZ_IbLb1EEEEDaSV_SW_EUlSV_E_NS1_11comp_targetILNS1_3genE5ELNS1_11target_archE942ELNS1_3gpuE9ELNS1_3repE0EEENS1_30default_config_static_selectorELNS0_4arch9wavefront6targetE0EEEvT1_
; %bb.0:
	.section	.rodata,"a",@progbits
	.p2align	6, 0x0
	.amdhsa_kernel _ZN7rocprim17ROCPRIM_400000_NS6detail17trampoline_kernelINS0_14default_configENS1_27scan_by_key_config_selectorIllEEZZNS1_16scan_by_key_implILNS1_25lookback_scan_determinismE0ELb0ES3_N6thrust23THRUST_200600_302600_NS16reverse_iteratorIPKlEESD_NSA_IPlEElN6hipcub16HIPCUB_304000_NS3MaxENSH_8EqualityElEE10hipError_tPvRmT2_T3_T4_T5_mT6_T7_P12ihipStream_tbENKUlT_T0_E_clISt17integral_constantIbLb0EESZ_IbLb1EEEEDaSV_SW_EUlSV_E_NS1_11comp_targetILNS1_3genE5ELNS1_11target_archE942ELNS1_3gpuE9ELNS1_3repE0EEENS1_30default_config_static_selectorELNS0_4arch9wavefront6targetE0EEEvT1_
		.amdhsa_group_segment_fixed_size 0
		.amdhsa_private_segment_fixed_size 0
		.amdhsa_kernarg_size 136
		.amdhsa_user_sgpr_count 6
		.amdhsa_user_sgpr_private_segment_buffer 1
		.amdhsa_user_sgpr_dispatch_ptr 0
		.amdhsa_user_sgpr_queue_ptr 0
		.amdhsa_user_sgpr_kernarg_segment_ptr 1
		.amdhsa_user_sgpr_dispatch_id 0
		.amdhsa_user_sgpr_flat_scratch_init 0
		.amdhsa_user_sgpr_private_segment_size 0
		.amdhsa_wavefront_size32 1
		.amdhsa_uses_dynamic_stack 0
		.amdhsa_system_sgpr_private_segment_wavefront_offset 0
		.amdhsa_system_sgpr_workgroup_id_x 1
		.amdhsa_system_sgpr_workgroup_id_y 0
		.amdhsa_system_sgpr_workgroup_id_z 0
		.amdhsa_system_sgpr_workgroup_info 0
		.amdhsa_system_vgpr_workitem_id 0
		.amdhsa_next_free_vgpr 1
		.amdhsa_next_free_sgpr 1
		.amdhsa_reserve_vcc 0
		.amdhsa_reserve_flat_scratch 0
		.amdhsa_float_round_mode_32 0
		.amdhsa_float_round_mode_16_64 0
		.amdhsa_float_denorm_mode_32 3
		.amdhsa_float_denorm_mode_16_64 3
		.amdhsa_dx10_clamp 1
		.amdhsa_ieee_mode 1
		.amdhsa_fp16_overflow 0
		.amdhsa_workgroup_processor_mode 1
		.amdhsa_memory_ordered 1
		.amdhsa_forward_progress 1
		.amdhsa_shared_vgpr_count 0
		.amdhsa_exception_fp_ieee_invalid_op 0
		.amdhsa_exception_fp_denorm_src 0
		.amdhsa_exception_fp_ieee_div_zero 0
		.amdhsa_exception_fp_ieee_overflow 0
		.amdhsa_exception_fp_ieee_underflow 0
		.amdhsa_exception_fp_ieee_inexact 0
		.amdhsa_exception_int_div_zero 0
	.end_amdhsa_kernel
	.section	.text._ZN7rocprim17ROCPRIM_400000_NS6detail17trampoline_kernelINS0_14default_configENS1_27scan_by_key_config_selectorIllEEZZNS1_16scan_by_key_implILNS1_25lookback_scan_determinismE0ELb0ES3_N6thrust23THRUST_200600_302600_NS16reverse_iteratorIPKlEESD_NSA_IPlEElN6hipcub16HIPCUB_304000_NS3MaxENSH_8EqualityElEE10hipError_tPvRmT2_T3_T4_T5_mT6_T7_P12ihipStream_tbENKUlT_T0_E_clISt17integral_constantIbLb0EESZ_IbLb1EEEEDaSV_SW_EUlSV_E_NS1_11comp_targetILNS1_3genE5ELNS1_11target_archE942ELNS1_3gpuE9ELNS1_3repE0EEENS1_30default_config_static_selectorELNS0_4arch9wavefront6targetE0EEEvT1_,"axG",@progbits,_ZN7rocprim17ROCPRIM_400000_NS6detail17trampoline_kernelINS0_14default_configENS1_27scan_by_key_config_selectorIllEEZZNS1_16scan_by_key_implILNS1_25lookback_scan_determinismE0ELb0ES3_N6thrust23THRUST_200600_302600_NS16reverse_iteratorIPKlEESD_NSA_IPlEElN6hipcub16HIPCUB_304000_NS3MaxENSH_8EqualityElEE10hipError_tPvRmT2_T3_T4_T5_mT6_T7_P12ihipStream_tbENKUlT_T0_E_clISt17integral_constantIbLb0EESZ_IbLb1EEEEDaSV_SW_EUlSV_E_NS1_11comp_targetILNS1_3genE5ELNS1_11target_archE942ELNS1_3gpuE9ELNS1_3repE0EEENS1_30default_config_static_selectorELNS0_4arch9wavefront6targetE0EEEvT1_,comdat
.Lfunc_end169:
	.size	_ZN7rocprim17ROCPRIM_400000_NS6detail17trampoline_kernelINS0_14default_configENS1_27scan_by_key_config_selectorIllEEZZNS1_16scan_by_key_implILNS1_25lookback_scan_determinismE0ELb0ES3_N6thrust23THRUST_200600_302600_NS16reverse_iteratorIPKlEESD_NSA_IPlEElN6hipcub16HIPCUB_304000_NS3MaxENSH_8EqualityElEE10hipError_tPvRmT2_T3_T4_T5_mT6_T7_P12ihipStream_tbENKUlT_T0_E_clISt17integral_constantIbLb0EESZ_IbLb1EEEEDaSV_SW_EUlSV_E_NS1_11comp_targetILNS1_3genE5ELNS1_11target_archE942ELNS1_3gpuE9ELNS1_3repE0EEENS1_30default_config_static_selectorELNS0_4arch9wavefront6targetE0EEEvT1_, .Lfunc_end169-_ZN7rocprim17ROCPRIM_400000_NS6detail17trampoline_kernelINS0_14default_configENS1_27scan_by_key_config_selectorIllEEZZNS1_16scan_by_key_implILNS1_25lookback_scan_determinismE0ELb0ES3_N6thrust23THRUST_200600_302600_NS16reverse_iteratorIPKlEESD_NSA_IPlEElN6hipcub16HIPCUB_304000_NS3MaxENSH_8EqualityElEE10hipError_tPvRmT2_T3_T4_T5_mT6_T7_P12ihipStream_tbENKUlT_T0_E_clISt17integral_constantIbLb0EESZ_IbLb1EEEEDaSV_SW_EUlSV_E_NS1_11comp_targetILNS1_3genE5ELNS1_11target_archE942ELNS1_3gpuE9ELNS1_3repE0EEENS1_30default_config_static_selectorELNS0_4arch9wavefront6targetE0EEEvT1_
                                        ; -- End function
	.set _ZN7rocprim17ROCPRIM_400000_NS6detail17trampoline_kernelINS0_14default_configENS1_27scan_by_key_config_selectorIllEEZZNS1_16scan_by_key_implILNS1_25lookback_scan_determinismE0ELb0ES3_N6thrust23THRUST_200600_302600_NS16reverse_iteratorIPKlEESD_NSA_IPlEElN6hipcub16HIPCUB_304000_NS3MaxENSH_8EqualityElEE10hipError_tPvRmT2_T3_T4_T5_mT6_T7_P12ihipStream_tbENKUlT_T0_E_clISt17integral_constantIbLb0EESZ_IbLb1EEEEDaSV_SW_EUlSV_E_NS1_11comp_targetILNS1_3genE5ELNS1_11target_archE942ELNS1_3gpuE9ELNS1_3repE0EEENS1_30default_config_static_selectorELNS0_4arch9wavefront6targetE0EEEvT1_.num_vgpr, 0
	.set _ZN7rocprim17ROCPRIM_400000_NS6detail17trampoline_kernelINS0_14default_configENS1_27scan_by_key_config_selectorIllEEZZNS1_16scan_by_key_implILNS1_25lookback_scan_determinismE0ELb0ES3_N6thrust23THRUST_200600_302600_NS16reverse_iteratorIPKlEESD_NSA_IPlEElN6hipcub16HIPCUB_304000_NS3MaxENSH_8EqualityElEE10hipError_tPvRmT2_T3_T4_T5_mT6_T7_P12ihipStream_tbENKUlT_T0_E_clISt17integral_constantIbLb0EESZ_IbLb1EEEEDaSV_SW_EUlSV_E_NS1_11comp_targetILNS1_3genE5ELNS1_11target_archE942ELNS1_3gpuE9ELNS1_3repE0EEENS1_30default_config_static_selectorELNS0_4arch9wavefront6targetE0EEEvT1_.num_agpr, 0
	.set _ZN7rocprim17ROCPRIM_400000_NS6detail17trampoline_kernelINS0_14default_configENS1_27scan_by_key_config_selectorIllEEZZNS1_16scan_by_key_implILNS1_25lookback_scan_determinismE0ELb0ES3_N6thrust23THRUST_200600_302600_NS16reverse_iteratorIPKlEESD_NSA_IPlEElN6hipcub16HIPCUB_304000_NS3MaxENSH_8EqualityElEE10hipError_tPvRmT2_T3_T4_T5_mT6_T7_P12ihipStream_tbENKUlT_T0_E_clISt17integral_constantIbLb0EESZ_IbLb1EEEEDaSV_SW_EUlSV_E_NS1_11comp_targetILNS1_3genE5ELNS1_11target_archE942ELNS1_3gpuE9ELNS1_3repE0EEENS1_30default_config_static_selectorELNS0_4arch9wavefront6targetE0EEEvT1_.numbered_sgpr, 0
	.set _ZN7rocprim17ROCPRIM_400000_NS6detail17trampoline_kernelINS0_14default_configENS1_27scan_by_key_config_selectorIllEEZZNS1_16scan_by_key_implILNS1_25lookback_scan_determinismE0ELb0ES3_N6thrust23THRUST_200600_302600_NS16reverse_iteratorIPKlEESD_NSA_IPlEElN6hipcub16HIPCUB_304000_NS3MaxENSH_8EqualityElEE10hipError_tPvRmT2_T3_T4_T5_mT6_T7_P12ihipStream_tbENKUlT_T0_E_clISt17integral_constantIbLb0EESZ_IbLb1EEEEDaSV_SW_EUlSV_E_NS1_11comp_targetILNS1_3genE5ELNS1_11target_archE942ELNS1_3gpuE9ELNS1_3repE0EEENS1_30default_config_static_selectorELNS0_4arch9wavefront6targetE0EEEvT1_.num_named_barrier, 0
	.set _ZN7rocprim17ROCPRIM_400000_NS6detail17trampoline_kernelINS0_14default_configENS1_27scan_by_key_config_selectorIllEEZZNS1_16scan_by_key_implILNS1_25lookback_scan_determinismE0ELb0ES3_N6thrust23THRUST_200600_302600_NS16reverse_iteratorIPKlEESD_NSA_IPlEElN6hipcub16HIPCUB_304000_NS3MaxENSH_8EqualityElEE10hipError_tPvRmT2_T3_T4_T5_mT6_T7_P12ihipStream_tbENKUlT_T0_E_clISt17integral_constantIbLb0EESZ_IbLb1EEEEDaSV_SW_EUlSV_E_NS1_11comp_targetILNS1_3genE5ELNS1_11target_archE942ELNS1_3gpuE9ELNS1_3repE0EEENS1_30default_config_static_selectorELNS0_4arch9wavefront6targetE0EEEvT1_.private_seg_size, 0
	.set _ZN7rocprim17ROCPRIM_400000_NS6detail17trampoline_kernelINS0_14default_configENS1_27scan_by_key_config_selectorIllEEZZNS1_16scan_by_key_implILNS1_25lookback_scan_determinismE0ELb0ES3_N6thrust23THRUST_200600_302600_NS16reverse_iteratorIPKlEESD_NSA_IPlEElN6hipcub16HIPCUB_304000_NS3MaxENSH_8EqualityElEE10hipError_tPvRmT2_T3_T4_T5_mT6_T7_P12ihipStream_tbENKUlT_T0_E_clISt17integral_constantIbLb0EESZ_IbLb1EEEEDaSV_SW_EUlSV_E_NS1_11comp_targetILNS1_3genE5ELNS1_11target_archE942ELNS1_3gpuE9ELNS1_3repE0EEENS1_30default_config_static_selectorELNS0_4arch9wavefront6targetE0EEEvT1_.uses_vcc, 0
	.set _ZN7rocprim17ROCPRIM_400000_NS6detail17trampoline_kernelINS0_14default_configENS1_27scan_by_key_config_selectorIllEEZZNS1_16scan_by_key_implILNS1_25lookback_scan_determinismE0ELb0ES3_N6thrust23THRUST_200600_302600_NS16reverse_iteratorIPKlEESD_NSA_IPlEElN6hipcub16HIPCUB_304000_NS3MaxENSH_8EqualityElEE10hipError_tPvRmT2_T3_T4_T5_mT6_T7_P12ihipStream_tbENKUlT_T0_E_clISt17integral_constantIbLb0EESZ_IbLb1EEEEDaSV_SW_EUlSV_E_NS1_11comp_targetILNS1_3genE5ELNS1_11target_archE942ELNS1_3gpuE9ELNS1_3repE0EEENS1_30default_config_static_selectorELNS0_4arch9wavefront6targetE0EEEvT1_.uses_flat_scratch, 0
	.set _ZN7rocprim17ROCPRIM_400000_NS6detail17trampoline_kernelINS0_14default_configENS1_27scan_by_key_config_selectorIllEEZZNS1_16scan_by_key_implILNS1_25lookback_scan_determinismE0ELb0ES3_N6thrust23THRUST_200600_302600_NS16reverse_iteratorIPKlEESD_NSA_IPlEElN6hipcub16HIPCUB_304000_NS3MaxENSH_8EqualityElEE10hipError_tPvRmT2_T3_T4_T5_mT6_T7_P12ihipStream_tbENKUlT_T0_E_clISt17integral_constantIbLb0EESZ_IbLb1EEEEDaSV_SW_EUlSV_E_NS1_11comp_targetILNS1_3genE5ELNS1_11target_archE942ELNS1_3gpuE9ELNS1_3repE0EEENS1_30default_config_static_selectorELNS0_4arch9wavefront6targetE0EEEvT1_.has_dyn_sized_stack, 0
	.set _ZN7rocprim17ROCPRIM_400000_NS6detail17trampoline_kernelINS0_14default_configENS1_27scan_by_key_config_selectorIllEEZZNS1_16scan_by_key_implILNS1_25lookback_scan_determinismE0ELb0ES3_N6thrust23THRUST_200600_302600_NS16reverse_iteratorIPKlEESD_NSA_IPlEElN6hipcub16HIPCUB_304000_NS3MaxENSH_8EqualityElEE10hipError_tPvRmT2_T3_T4_T5_mT6_T7_P12ihipStream_tbENKUlT_T0_E_clISt17integral_constantIbLb0EESZ_IbLb1EEEEDaSV_SW_EUlSV_E_NS1_11comp_targetILNS1_3genE5ELNS1_11target_archE942ELNS1_3gpuE9ELNS1_3repE0EEENS1_30default_config_static_selectorELNS0_4arch9wavefront6targetE0EEEvT1_.has_recursion, 0
	.set _ZN7rocprim17ROCPRIM_400000_NS6detail17trampoline_kernelINS0_14default_configENS1_27scan_by_key_config_selectorIllEEZZNS1_16scan_by_key_implILNS1_25lookback_scan_determinismE0ELb0ES3_N6thrust23THRUST_200600_302600_NS16reverse_iteratorIPKlEESD_NSA_IPlEElN6hipcub16HIPCUB_304000_NS3MaxENSH_8EqualityElEE10hipError_tPvRmT2_T3_T4_T5_mT6_T7_P12ihipStream_tbENKUlT_T0_E_clISt17integral_constantIbLb0EESZ_IbLb1EEEEDaSV_SW_EUlSV_E_NS1_11comp_targetILNS1_3genE5ELNS1_11target_archE942ELNS1_3gpuE9ELNS1_3repE0EEENS1_30default_config_static_selectorELNS0_4arch9wavefront6targetE0EEEvT1_.has_indirect_call, 0
	.section	.AMDGPU.csdata,"",@progbits
; Kernel info:
; codeLenInByte = 0
; TotalNumSgprs: 0
; NumVgprs: 0
; ScratchSize: 0
; MemoryBound: 0
; FloatMode: 240
; IeeeMode: 1
; LDSByteSize: 0 bytes/workgroup (compile time only)
; SGPRBlocks: 0
; VGPRBlocks: 0
; NumSGPRsForWavesPerEU: 1
; NumVGPRsForWavesPerEU: 1
; Occupancy: 16
; WaveLimiterHint : 0
; COMPUTE_PGM_RSRC2:SCRATCH_EN: 0
; COMPUTE_PGM_RSRC2:USER_SGPR: 6
; COMPUTE_PGM_RSRC2:TRAP_HANDLER: 0
; COMPUTE_PGM_RSRC2:TGID_X_EN: 1
; COMPUTE_PGM_RSRC2:TGID_Y_EN: 0
; COMPUTE_PGM_RSRC2:TGID_Z_EN: 0
; COMPUTE_PGM_RSRC2:TIDIG_COMP_CNT: 0
	.section	.text._ZN7rocprim17ROCPRIM_400000_NS6detail17trampoline_kernelINS0_14default_configENS1_27scan_by_key_config_selectorIllEEZZNS1_16scan_by_key_implILNS1_25lookback_scan_determinismE0ELb0ES3_N6thrust23THRUST_200600_302600_NS16reverse_iteratorIPKlEESD_NSA_IPlEElN6hipcub16HIPCUB_304000_NS3MaxENSH_8EqualityElEE10hipError_tPvRmT2_T3_T4_T5_mT6_T7_P12ihipStream_tbENKUlT_T0_E_clISt17integral_constantIbLb0EESZ_IbLb1EEEEDaSV_SW_EUlSV_E_NS1_11comp_targetILNS1_3genE4ELNS1_11target_archE910ELNS1_3gpuE8ELNS1_3repE0EEENS1_30default_config_static_selectorELNS0_4arch9wavefront6targetE0EEEvT1_,"axG",@progbits,_ZN7rocprim17ROCPRIM_400000_NS6detail17trampoline_kernelINS0_14default_configENS1_27scan_by_key_config_selectorIllEEZZNS1_16scan_by_key_implILNS1_25lookback_scan_determinismE0ELb0ES3_N6thrust23THRUST_200600_302600_NS16reverse_iteratorIPKlEESD_NSA_IPlEElN6hipcub16HIPCUB_304000_NS3MaxENSH_8EqualityElEE10hipError_tPvRmT2_T3_T4_T5_mT6_T7_P12ihipStream_tbENKUlT_T0_E_clISt17integral_constantIbLb0EESZ_IbLb1EEEEDaSV_SW_EUlSV_E_NS1_11comp_targetILNS1_3genE4ELNS1_11target_archE910ELNS1_3gpuE8ELNS1_3repE0EEENS1_30default_config_static_selectorELNS0_4arch9wavefront6targetE0EEEvT1_,comdat
	.protected	_ZN7rocprim17ROCPRIM_400000_NS6detail17trampoline_kernelINS0_14default_configENS1_27scan_by_key_config_selectorIllEEZZNS1_16scan_by_key_implILNS1_25lookback_scan_determinismE0ELb0ES3_N6thrust23THRUST_200600_302600_NS16reverse_iteratorIPKlEESD_NSA_IPlEElN6hipcub16HIPCUB_304000_NS3MaxENSH_8EqualityElEE10hipError_tPvRmT2_T3_T4_T5_mT6_T7_P12ihipStream_tbENKUlT_T0_E_clISt17integral_constantIbLb0EESZ_IbLb1EEEEDaSV_SW_EUlSV_E_NS1_11comp_targetILNS1_3genE4ELNS1_11target_archE910ELNS1_3gpuE8ELNS1_3repE0EEENS1_30default_config_static_selectorELNS0_4arch9wavefront6targetE0EEEvT1_ ; -- Begin function _ZN7rocprim17ROCPRIM_400000_NS6detail17trampoline_kernelINS0_14default_configENS1_27scan_by_key_config_selectorIllEEZZNS1_16scan_by_key_implILNS1_25lookback_scan_determinismE0ELb0ES3_N6thrust23THRUST_200600_302600_NS16reverse_iteratorIPKlEESD_NSA_IPlEElN6hipcub16HIPCUB_304000_NS3MaxENSH_8EqualityElEE10hipError_tPvRmT2_T3_T4_T5_mT6_T7_P12ihipStream_tbENKUlT_T0_E_clISt17integral_constantIbLb0EESZ_IbLb1EEEEDaSV_SW_EUlSV_E_NS1_11comp_targetILNS1_3genE4ELNS1_11target_archE910ELNS1_3gpuE8ELNS1_3repE0EEENS1_30default_config_static_selectorELNS0_4arch9wavefront6targetE0EEEvT1_
	.globl	_ZN7rocprim17ROCPRIM_400000_NS6detail17trampoline_kernelINS0_14default_configENS1_27scan_by_key_config_selectorIllEEZZNS1_16scan_by_key_implILNS1_25lookback_scan_determinismE0ELb0ES3_N6thrust23THRUST_200600_302600_NS16reverse_iteratorIPKlEESD_NSA_IPlEElN6hipcub16HIPCUB_304000_NS3MaxENSH_8EqualityElEE10hipError_tPvRmT2_T3_T4_T5_mT6_T7_P12ihipStream_tbENKUlT_T0_E_clISt17integral_constantIbLb0EESZ_IbLb1EEEEDaSV_SW_EUlSV_E_NS1_11comp_targetILNS1_3genE4ELNS1_11target_archE910ELNS1_3gpuE8ELNS1_3repE0EEENS1_30default_config_static_selectorELNS0_4arch9wavefront6targetE0EEEvT1_
	.p2align	8
	.type	_ZN7rocprim17ROCPRIM_400000_NS6detail17trampoline_kernelINS0_14default_configENS1_27scan_by_key_config_selectorIllEEZZNS1_16scan_by_key_implILNS1_25lookback_scan_determinismE0ELb0ES3_N6thrust23THRUST_200600_302600_NS16reverse_iteratorIPKlEESD_NSA_IPlEElN6hipcub16HIPCUB_304000_NS3MaxENSH_8EqualityElEE10hipError_tPvRmT2_T3_T4_T5_mT6_T7_P12ihipStream_tbENKUlT_T0_E_clISt17integral_constantIbLb0EESZ_IbLb1EEEEDaSV_SW_EUlSV_E_NS1_11comp_targetILNS1_3genE4ELNS1_11target_archE910ELNS1_3gpuE8ELNS1_3repE0EEENS1_30default_config_static_selectorELNS0_4arch9wavefront6targetE0EEEvT1_,@function
_ZN7rocprim17ROCPRIM_400000_NS6detail17trampoline_kernelINS0_14default_configENS1_27scan_by_key_config_selectorIllEEZZNS1_16scan_by_key_implILNS1_25lookback_scan_determinismE0ELb0ES3_N6thrust23THRUST_200600_302600_NS16reverse_iteratorIPKlEESD_NSA_IPlEElN6hipcub16HIPCUB_304000_NS3MaxENSH_8EqualityElEE10hipError_tPvRmT2_T3_T4_T5_mT6_T7_P12ihipStream_tbENKUlT_T0_E_clISt17integral_constantIbLb0EESZ_IbLb1EEEEDaSV_SW_EUlSV_E_NS1_11comp_targetILNS1_3genE4ELNS1_11target_archE910ELNS1_3gpuE8ELNS1_3repE0EEENS1_30default_config_static_selectorELNS0_4arch9wavefront6targetE0EEEvT1_: ; @_ZN7rocprim17ROCPRIM_400000_NS6detail17trampoline_kernelINS0_14default_configENS1_27scan_by_key_config_selectorIllEEZZNS1_16scan_by_key_implILNS1_25lookback_scan_determinismE0ELb0ES3_N6thrust23THRUST_200600_302600_NS16reverse_iteratorIPKlEESD_NSA_IPlEElN6hipcub16HIPCUB_304000_NS3MaxENSH_8EqualityElEE10hipError_tPvRmT2_T3_T4_T5_mT6_T7_P12ihipStream_tbENKUlT_T0_E_clISt17integral_constantIbLb0EESZ_IbLb1EEEEDaSV_SW_EUlSV_E_NS1_11comp_targetILNS1_3genE4ELNS1_11target_archE910ELNS1_3gpuE8ELNS1_3repE0EEENS1_30default_config_static_selectorELNS0_4arch9wavefront6targetE0EEEvT1_
; %bb.0:
	.section	.rodata,"a",@progbits
	.p2align	6, 0x0
	.amdhsa_kernel _ZN7rocprim17ROCPRIM_400000_NS6detail17trampoline_kernelINS0_14default_configENS1_27scan_by_key_config_selectorIllEEZZNS1_16scan_by_key_implILNS1_25lookback_scan_determinismE0ELb0ES3_N6thrust23THRUST_200600_302600_NS16reverse_iteratorIPKlEESD_NSA_IPlEElN6hipcub16HIPCUB_304000_NS3MaxENSH_8EqualityElEE10hipError_tPvRmT2_T3_T4_T5_mT6_T7_P12ihipStream_tbENKUlT_T0_E_clISt17integral_constantIbLb0EESZ_IbLb1EEEEDaSV_SW_EUlSV_E_NS1_11comp_targetILNS1_3genE4ELNS1_11target_archE910ELNS1_3gpuE8ELNS1_3repE0EEENS1_30default_config_static_selectorELNS0_4arch9wavefront6targetE0EEEvT1_
		.amdhsa_group_segment_fixed_size 0
		.amdhsa_private_segment_fixed_size 0
		.amdhsa_kernarg_size 136
		.amdhsa_user_sgpr_count 6
		.amdhsa_user_sgpr_private_segment_buffer 1
		.amdhsa_user_sgpr_dispatch_ptr 0
		.amdhsa_user_sgpr_queue_ptr 0
		.amdhsa_user_sgpr_kernarg_segment_ptr 1
		.amdhsa_user_sgpr_dispatch_id 0
		.amdhsa_user_sgpr_flat_scratch_init 0
		.amdhsa_user_sgpr_private_segment_size 0
		.amdhsa_wavefront_size32 1
		.amdhsa_uses_dynamic_stack 0
		.amdhsa_system_sgpr_private_segment_wavefront_offset 0
		.amdhsa_system_sgpr_workgroup_id_x 1
		.amdhsa_system_sgpr_workgroup_id_y 0
		.amdhsa_system_sgpr_workgroup_id_z 0
		.amdhsa_system_sgpr_workgroup_info 0
		.amdhsa_system_vgpr_workitem_id 0
		.amdhsa_next_free_vgpr 1
		.amdhsa_next_free_sgpr 1
		.amdhsa_reserve_vcc 0
		.amdhsa_reserve_flat_scratch 0
		.amdhsa_float_round_mode_32 0
		.amdhsa_float_round_mode_16_64 0
		.amdhsa_float_denorm_mode_32 3
		.amdhsa_float_denorm_mode_16_64 3
		.amdhsa_dx10_clamp 1
		.amdhsa_ieee_mode 1
		.amdhsa_fp16_overflow 0
		.amdhsa_workgroup_processor_mode 1
		.amdhsa_memory_ordered 1
		.amdhsa_forward_progress 1
		.amdhsa_shared_vgpr_count 0
		.amdhsa_exception_fp_ieee_invalid_op 0
		.amdhsa_exception_fp_denorm_src 0
		.amdhsa_exception_fp_ieee_div_zero 0
		.amdhsa_exception_fp_ieee_overflow 0
		.amdhsa_exception_fp_ieee_underflow 0
		.amdhsa_exception_fp_ieee_inexact 0
		.amdhsa_exception_int_div_zero 0
	.end_amdhsa_kernel
	.section	.text._ZN7rocprim17ROCPRIM_400000_NS6detail17trampoline_kernelINS0_14default_configENS1_27scan_by_key_config_selectorIllEEZZNS1_16scan_by_key_implILNS1_25lookback_scan_determinismE0ELb0ES3_N6thrust23THRUST_200600_302600_NS16reverse_iteratorIPKlEESD_NSA_IPlEElN6hipcub16HIPCUB_304000_NS3MaxENSH_8EqualityElEE10hipError_tPvRmT2_T3_T4_T5_mT6_T7_P12ihipStream_tbENKUlT_T0_E_clISt17integral_constantIbLb0EESZ_IbLb1EEEEDaSV_SW_EUlSV_E_NS1_11comp_targetILNS1_3genE4ELNS1_11target_archE910ELNS1_3gpuE8ELNS1_3repE0EEENS1_30default_config_static_selectorELNS0_4arch9wavefront6targetE0EEEvT1_,"axG",@progbits,_ZN7rocprim17ROCPRIM_400000_NS6detail17trampoline_kernelINS0_14default_configENS1_27scan_by_key_config_selectorIllEEZZNS1_16scan_by_key_implILNS1_25lookback_scan_determinismE0ELb0ES3_N6thrust23THRUST_200600_302600_NS16reverse_iteratorIPKlEESD_NSA_IPlEElN6hipcub16HIPCUB_304000_NS3MaxENSH_8EqualityElEE10hipError_tPvRmT2_T3_T4_T5_mT6_T7_P12ihipStream_tbENKUlT_T0_E_clISt17integral_constantIbLb0EESZ_IbLb1EEEEDaSV_SW_EUlSV_E_NS1_11comp_targetILNS1_3genE4ELNS1_11target_archE910ELNS1_3gpuE8ELNS1_3repE0EEENS1_30default_config_static_selectorELNS0_4arch9wavefront6targetE0EEEvT1_,comdat
.Lfunc_end170:
	.size	_ZN7rocprim17ROCPRIM_400000_NS6detail17trampoline_kernelINS0_14default_configENS1_27scan_by_key_config_selectorIllEEZZNS1_16scan_by_key_implILNS1_25lookback_scan_determinismE0ELb0ES3_N6thrust23THRUST_200600_302600_NS16reverse_iteratorIPKlEESD_NSA_IPlEElN6hipcub16HIPCUB_304000_NS3MaxENSH_8EqualityElEE10hipError_tPvRmT2_T3_T4_T5_mT6_T7_P12ihipStream_tbENKUlT_T0_E_clISt17integral_constantIbLb0EESZ_IbLb1EEEEDaSV_SW_EUlSV_E_NS1_11comp_targetILNS1_3genE4ELNS1_11target_archE910ELNS1_3gpuE8ELNS1_3repE0EEENS1_30default_config_static_selectorELNS0_4arch9wavefront6targetE0EEEvT1_, .Lfunc_end170-_ZN7rocprim17ROCPRIM_400000_NS6detail17trampoline_kernelINS0_14default_configENS1_27scan_by_key_config_selectorIllEEZZNS1_16scan_by_key_implILNS1_25lookback_scan_determinismE0ELb0ES3_N6thrust23THRUST_200600_302600_NS16reverse_iteratorIPKlEESD_NSA_IPlEElN6hipcub16HIPCUB_304000_NS3MaxENSH_8EqualityElEE10hipError_tPvRmT2_T3_T4_T5_mT6_T7_P12ihipStream_tbENKUlT_T0_E_clISt17integral_constantIbLb0EESZ_IbLb1EEEEDaSV_SW_EUlSV_E_NS1_11comp_targetILNS1_3genE4ELNS1_11target_archE910ELNS1_3gpuE8ELNS1_3repE0EEENS1_30default_config_static_selectorELNS0_4arch9wavefront6targetE0EEEvT1_
                                        ; -- End function
	.set _ZN7rocprim17ROCPRIM_400000_NS6detail17trampoline_kernelINS0_14default_configENS1_27scan_by_key_config_selectorIllEEZZNS1_16scan_by_key_implILNS1_25lookback_scan_determinismE0ELb0ES3_N6thrust23THRUST_200600_302600_NS16reverse_iteratorIPKlEESD_NSA_IPlEElN6hipcub16HIPCUB_304000_NS3MaxENSH_8EqualityElEE10hipError_tPvRmT2_T3_T4_T5_mT6_T7_P12ihipStream_tbENKUlT_T0_E_clISt17integral_constantIbLb0EESZ_IbLb1EEEEDaSV_SW_EUlSV_E_NS1_11comp_targetILNS1_3genE4ELNS1_11target_archE910ELNS1_3gpuE8ELNS1_3repE0EEENS1_30default_config_static_selectorELNS0_4arch9wavefront6targetE0EEEvT1_.num_vgpr, 0
	.set _ZN7rocprim17ROCPRIM_400000_NS6detail17trampoline_kernelINS0_14default_configENS1_27scan_by_key_config_selectorIllEEZZNS1_16scan_by_key_implILNS1_25lookback_scan_determinismE0ELb0ES3_N6thrust23THRUST_200600_302600_NS16reverse_iteratorIPKlEESD_NSA_IPlEElN6hipcub16HIPCUB_304000_NS3MaxENSH_8EqualityElEE10hipError_tPvRmT2_T3_T4_T5_mT6_T7_P12ihipStream_tbENKUlT_T0_E_clISt17integral_constantIbLb0EESZ_IbLb1EEEEDaSV_SW_EUlSV_E_NS1_11comp_targetILNS1_3genE4ELNS1_11target_archE910ELNS1_3gpuE8ELNS1_3repE0EEENS1_30default_config_static_selectorELNS0_4arch9wavefront6targetE0EEEvT1_.num_agpr, 0
	.set _ZN7rocprim17ROCPRIM_400000_NS6detail17trampoline_kernelINS0_14default_configENS1_27scan_by_key_config_selectorIllEEZZNS1_16scan_by_key_implILNS1_25lookback_scan_determinismE0ELb0ES3_N6thrust23THRUST_200600_302600_NS16reverse_iteratorIPKlEESD_NSA_IPlEElN6hipcub16HIPCUB_304000_NS3MaxENSH_8EqualityElEE10hipError_tPvRmT2_T3_T4_T5_mT6_T7_P12ihipStream_tbENKUlT_T0_E_clISt17integral_constantIbLb0EESZ_IbLb1EEEEDaSV_SW_EUlSV_E_NS1_11comp_targetILNS1_3genE4ELNS1_11target_archE910ELNS1_3gpuE8ELNS1_3repE0EEENS1_30default_config_static_selectorELNS0_4arch9wavefront6targetE0EEEvT1_.numbered_sgpr, 0
	.set _ZN7rocprim17ROCPRIM_400000_NS6detail17trampoline_kernelINS0_14default_configENS1_27scan_by_key_config_selectorIllEEZZNS1_16scan_by_key_implILNS1_25lookback_scan_determinismE0ELb0ES3_N6thrust23THRUST_200600_302600_NS16reverse_iteratorIPKlEESD_NSA_IPlEElN6hipcub16HIPCUB_304000_NS3MaxENSH_8EqualityElEE10hipError_tPvRmT2_T3_T4_T5_mT6_T7_P12ihipStream_tbENKUlT_T0_E_clISt17integral_constantIbLb0EESZ_IbLb1EEEEDaSV_SW_EUlSV_E_NS1_11comp_targetILNS1_3genE4ELNS1_11target_archE910ELNS1_3gpuE8ELNS1_3repE0EEENS1_30default_config_static_selectorELNS0_4arch9wavefront6targetE0EEEvT1_.num_named_barrier, 0
	.set _ZN7rocprim17ROCPRIM_400000_NS6detail17trampoline_kernelINS0_14default_configENS1_27scan_by_key_config_selectorIllEEZZNS1_16scan_by_key_implILNS1_25lookback_scan_determinismE0ELb0ES3_N6thrust23THRUST_200600_302600_NS16reverse_iteratorIPKlEESD_NSA_IPlEElN6hipcub16HIPCUB_304000_NS3MaxENSH_8EqualityElEE10hipError_tPvRmT2_T3_T4_T5_mT6_T7_P12ihipStream_tbENKUlT_T0_E_clISt17integral_constantIbLb0EESZ_IbLb1EEEEDaSV_SW_EUlSV_E_NS1_11comp_targetILNS1_3genE4ELNS1_11target_archE910ELNS1_3gpuE8ELNS1_3repE0EEENS1_30default_config_static_selectorELNS0_4arch9wavefront6targetE0EEEvT1_.private_seg_size, 0
	.set _ZN7rocprim17ROCPRIM_400000_NS6detail17trampoline_kernelINS0_14default_configENS1_27scan_by_key_config_selectorIllEEZZNS1_16scan_by_key_implILNS1_25lookback_scan_determinismE0ELb0ES3_N6thrust23THRUST_200600_302600_NS16reverse_iteratorIPKlEESD_NSA_IPlEElN6hipcub16HIPCUB_304000_NS3MaxENSH_8EqualityElEE10hipError_tPvRmT2_T3_T4_T5_mT6_T7_P12ihipStream_tbENKUlT_T0_E_clISt17integral_constantIbLb0EESZ_IbLb1EEEEDaSV_SW_EUlSV_E_NS1_11comp_targetILNS1_3genE4ELNS1_11target_archE910ELNS1_3gpuE8ELNS1_3repE0EEENS1_30default_config_static_selectorELNS0_4arch9wavefront6targetE0EEEvT1_.uses_vcc, 0
	.set _ZN7rocprim17ROCPRIM_400000_NS6detail17trampoline_kernelINS0_14default_configENS1_27scan_by_key_config_selectorIllEEZZNS1_16scan_by_key_implILNS1_25lookback_scan_determinismE0ELb0ES3_N6thrust23THRUST_200600_302600_NS16reverse_iteratorIPKlEESD_NSA_IPlEElN6hipcub16HIPCUB_304000_NS3MaxENSH_8EqualityElEE10hipError_tPvRmT2_T3_T4_T5_mT6_T7_P12ihipStream_tbENKUlT_T0_E_clISt17integral_constantIbLb0EESZ_IbLb1EEEEDaSV_SW_EUlSV_E_NS1_11comp_targetILNS1_3genE4ELNS1_11target_archE910ELNS1_3gpuE8ELNS1_3repE0EEENS1_30default_config_static_selectorELNS0_4arch9wavefront6targetE0EEEvT1_.uses_flat_scratch, 0
	.set _ZN7rocprim17ROCPRIM_400000_NS6detail17trampoline_kernelINS0_14default_configENS1_27scan_by_key_config_selectorIllEEZZNS1_16scan_by_key_implILNS1_25lookback_scan_determinismE0ELb0ES3_N6thrust23THRUST_200600_302600_NS16reverse_iteratorIPKlEESD_NSA_IPlEElN6hipcub16HIPCUB_304000_NS3MaxENSH_8EqualityElEE10hipError_tPvRmT2_T3_T4_T5_mT6_T7_P12ihipStream_tbENKUlT_T0_E_clISt17integral_constantIbLb0EESZ_IbLb1EEEEDaSV_SW_EUlSV_E_NS1_11comp_targetILNS1_3genE4ELNS1_11target_archE910ELNS1_3gpuE8ELNS1_3repE0EEENS1_30default_config_static_selectorELNS0_4arch9wavefront6targetE0EEEvT1_.has_dyn_sized_stack, 0
	.set _ZN7rocprim17ROCPRIM_400000_NS6detail17trampoline_kernelINS0_14default_configENS1_27scan_by_key_config_selectorIllEEZZNS1_16scan_by_key_implILNS1_25lookback_scan_determinismE0ELb0ES3_N6thrust23THRUST_200600_302600_NS16reverse_iteratorIPKlEESD_NSA_IPlEElN6hipcub16HIPCUB_304000_NS3MaxENSH_8EqualityElEE10hipError_tPvRmT2_T3_T4_T5_mT6_T7_P12ihipStream_tbENKUlT_T0_E_clISt17integral_constantIbLb0EESZ_IbLb1EEEEDaSV_SW_EUlSV_E_NS1_11comp_targetILNS1_3genE4ELNS1_11target_archE910ELNS1_3gpuE8ELNS1_3repE0EEENS1_30default_config_static_selectorELNS0_4arch9wavefront6targetE0EEEvT1_.has_recursion, 0
	.set _ZN7rocprim17ROCPRIM_400000_NS6detail17trampoline_kernelINS0_14default_configENS1_27scan_by_key_config_selectorIllEEZZNS1_16scan_by_key_implILNS1_25lookback_scan_determinismE0ELb0ES3_N6thrust23THRUST_200600_302600_NS16reverse_iteratorIPKlEESD_NSA_IPlEElN6hipcub16HIPCUB_304000_NS3MaxENSH_8EqualityElEE10hipError_tPvRmT2_T3_T4_T5_mT6_T7_P12ihipStream_tbENKUlT_T0_E_clISt17integral_constantIbLb0EESZ_IbLb1EEEEDaSV_SW_EUlSV_E_NS1_11comp_targetILNS1_3genE4ELNS1_11target_archE910ELNS1_3gpuE8ELNS1_3repE0EEENS1_30default_config_static_selectorELNS0_4arch9wavefront6targetE0EEEvT1_.has_indirect_call, 0
	.section	.AMDGPU.csdata,"",@progbits
; Kernel info:
; codeLenInByte = 0
; TotalNumSgprs: 0
; NumVgprs: 0
; ScratchSize: 0
; MemoryBound: 0
; FloatMode: 240
; IeeeMode: 1
; LDSByteSize: 0 bytes/workgroup (compile time only)
; SGPRBlocks: 0
; VGPRBlocks: 0
; NumSGPRsForWavesPerEU: 1
; NumVGPRsForWavesPerEU: 1
; Occupancy: 16
; WaveLimiterHint : 0
; COMPUTE_PGM_RSRC2:SCRATCH_EN: 0
; COMPUTE_PGM_RSRC2:USER_SGPR: 6
; COMPUTE_PGM_RSRC2:TRAP_HANDLER: 0
; COMPUTE_PGM_RSRC2:TGID_X_EN: 1
; COMPUTE_PGM_RSRC2:TGID_Y_EN: 0
; COMPUTE_PGM_RSRC2:TGID_Z_EN: 0
; COMPUTE_PGM_RSRC2:TIDIG_COMP_CNT: 0
	.section	.text._ZN7rocprim17ROCPRIM_400000_NS6detail17trampoline_kernelINS0_14default_configENS1_27scan_by_key_config_selectorIllEEZZNS1_16scan_by_key_implILNS1_25lookback_scan_determinismE0ELb0ES3_N6thrust23THRUST_200600_302600_NS16reverse_iteratorIPKlEESD_NSA_IPlEElN6hipcub16HIPCUB_304000_NS3MaxENSH_8EqualityElEE10hipError_tPvRmT2_T3_T4_T5_mT6_T7_P12ihipStream_tbENKUlT_T0_E_clISt17integral_constantIbLb0EESZ_IbLb1EEEEDaSV_SW_EUlSV_E_NS1_11comp_targetILNS1_3genE3ELNS1_11target_archE908ELNS1_3gpuE7ELNS1_3repE0EEENS1_30default_config_static_selectorELNS0_4arch9wavefront6targetE0EEEvT1_,"axG",@progbits,_ZN7rocprim17ROCPRIM_400000_NS6detail17trampoline_kernelINS0_14default_configENS1_27scan_by_key_config_selectorIllEEZZNS1_16scan_by_key_implILNS1_25lookback_scan_determinismE0ELb0ES3_N6thrust23THRUST_200600_302600_NS16reverse_iteratorIPKlEESD_NSA_IPlEElN6hipcub16HIPCUB_304000_NS3MaxENSH_8EqualityElEE10hipError_tPvRmT2_T3_T4_T5_mT6_T7_P12ihipStream_tbENKUlT_T0_E_clISt17integral_constantIbLb0EESZ_IbLb1EEEEDaSV_SW_EUlSV_E_NS1_11comp_targetILNS1_3genE3ELNS1_11target_archE908ELNS1_3gpuE7ELNS1_3repE0EEENS1_30default_config_static_selectorELNS0_4arch9wavefront6targetE0EEEvT1_,comdat
	.protected	_ZN7rocprim17ROCPRIM_400000_NS6detail17trampoline_kernelINS0_14default_configENS1_27scan_by_key_config_selectorIllEEZZNS1_16scan_by_key_implILNS1_25lookback_scan_determinismE0ELb0ES3_N6thrust23THRUST_200600_302600_NS16reverse_iteratorIPKlEESD_NSA_IPlEElN6hipcub16HIPCUB_304000_NS3MaxENSH_8EqualityElEE10hipError_tPvRmT2_T3_T4_T5_mT6_T7_P12ihipStream_tbENKUlT_T0_E_clISt17integral_constantIbLb0EESZ_IbLb1EEEEDaSV_SW_EUlSV_E_NS1_11comp_targetILNS1_3genE3ELNS1_11target_archE908ELNS1_3gpuE7ELNS1_3repE0EEENS1_30default_config_static_selectorELNS0_4arch9wavefront6targetE0EEEvT1_ ; -- Begin function _ZN7rocprim17ROCPRIM_400000_NS6detail17trampoline_kernelINS0_14default_configENS1_27scan_by_key_config_selectorIllEEZZNS1_16scan_by_key_implILNS1_25lookback_scan_determinismE0ELb0ES3_N6thrust23THRUST_200600_302600_NS16reverse_iteratorIPKlEESD_NSA_IPlEElN6hipcub16HIPCUB_304000_NS3MaxENSH_8EqualityElEE10hipError_tPvRmT2_T3_T4_T5_mT6_T7_P12ihipStream_tbENKUlT_T0_E_clISt17integral_constantIbLb0EESZ_IbLb1EEEEDaSV_SW_EUlSV_E_NS1_11comp_targetILNS1_3genE3ELNS1_11target_archE908ELNS1_3gpuE7ELNS1_3repE0EEENS1_30default_config_static_selectorELNS0_4arch9wavefront6targetE0EEEvT1_
	.globl	_ZN7rocprim17ROCPRIM_400000_NS6detail17trampoline_kernelINS0_14default_configENS1_27scan_by_key_config_selectorIllEEZZNS1_16scan_by_key_implILNS1_25lookback_scan_determinismE0ELb0ES3_N6thrust23THRUST_200600_302600_NS16reverse_iteratorIPKlEESD_NSA_IPlEElN6hipcub16HIPCUB_304000_NS3MaxENSH_8EqualityElEE10hipError_tPvRmT2_T3_T4_T5_mT6_T7_P12ihipStream_tbENKUlT_T0_E_clISt17integral_constantIbLb0EESZ_IbLb1EEEEDaSV_SW_EUlSV_E_NS1_11comp_targetILNS1_3genE3ELNS1_11target_archE908ELNS1_3gpuE7ELNS1_3repE0EEENS1_30default_config_static_selectorELNS0_4arch9wavefront6targetE0EEEvT1_
	.p2align	8
	.type	_ZN7rocprim17ROCPRIM_400000_NS6detail17trampoline_kernelINS0_14default_configENS1_27scan_by_key_config_selectorIllEEZZNS1_16scan_by_key_implILNS1_25lookback_scan_determinismE0ELb0ES3_N6thrust23THRUST_200600_302600_NS16reverse_iteratorIPKlEESD_NSA_IPlEElN6hipcub16HIPCUB_304000_NS3MaxENSH_8EqualityElEE10hipError_tPvRmT2_T3_T4_T5_mT6_T7_P12ihipStream_tbENKUlT_T0_E_clISt17integral_constantIbLb0EESZ_IbLb1EEEEDaSV_SW_EUlSV_E_NS1_11comp_targetILNS1_3genE3ELNS1_11target_archE908ELNS1_3gpuE7ELNS1_3repE0EEENS1_30default_config_static_selectorELNS0_4arch9wavefront6targetE0EEEvT1_,@function
_ZN7rocprim17ROCPRIM_400000_NS6detail17trampoline_kernelINS0_14default_configENS1_27scan_by_key_config_selectorIllEEZZNS1_16scan_by_key_implILNS1_25lookback_scan_determinismE0ELb0ES3_N6thrust23THRUST_200600_302600_NS16reverse_iteratorIPKlEESD_NSA_IPlEElN6hipcub16HIPCUB_304000_NS3MaxENSH_8EqualityElEE10hipError_tPvRmT2_T3_T4_T5_mT6_T7_P12ihipStream_tbENKUlT_T0_E_clISt17integral_constantIbLb0EESZ_IbLb1EEEEDaSV_SW_EUlSV_E_NS1_11comp_targetILNS1_3genE3ELNS1_11target_archE908ELNS1_3gpuE7ELNS1_3repE0EEENS1_30default_config_static_selectorELNS0_4arch9wavefront6targetE0EEEvT1_: ; @_ZN7rocprim17ROCPRIM_400000_NS6detail17trampoline_kernelINS0_14default_configENS1_27scan_by_key_config_selectorIllEEZZNS1_16scan_by_key_implILNS1_25lookback_scan_determinismE0ELb0ES3_N6thrust23THRUST_200600_302600_NS16reverse_iteratorIPKlEESD_NSA_IPlEElN6hipcub16HIPCUB_304000_NS3MaxENSH_8EqualityElEE10hipError_tPvRmT2_T3_T4_T5_mT6_T7_P12ihipStream_tbENKUlT_T0_E_clISt17integral_constantIbLb0EESZ_IbLb1EEEEDaSV_SW_EUlSV_E_NS1_11comp_targetILNS1_3genE3ELNS1_11target_archE908ELNS1_3gpuE7ELNS1_3repE0EEENS1_30default_config_static_selectorELNS0_4arch9wavefront6targetE0EEEvT1_
; %bb.0:
	.section	.rodata,"a",@progbits
	.p2align	6, 0x0
	.amdhsa_kernel _ZN7rocprim17ROCPRIM_400000_NS6detail17trampoline_kernelINS0_14default_configENS1_27scan_by_key_config_selectorIllEEZZNS1_16scan_by_key_implILNS1_25lookback_scan_determinismE0ELb0ES3_N6thrust23THRUST_200600_302600_NS16reverse_iteratorIPKlEESD_NSA_IPlEElN6hipcub16HIPCUB_304000_NS3MaxENSH_8EqualityElEE10hipError_tPvRmT2_T3_T4_T5_mT6_T7_P12ihipStream_tbENKUlT_T0_E_clISt17integral_constantIbLb0EESZ_IbLb1EEEEDaSV_SW_EUlSV_E_NS1_11comp_targetILNS1_3genE3ELNS1_11target_archE908ELNS1_3gpuE7ELNS1_3repE0EEENS1_30default_config_static_selectorELNS0_4arch9wavefront6targetE0EEEvT1_
		.amdhsa_group_segment_fixed_size 0
		.amdhsa_private_segment_fixed_size 0
		.amdhsa_kernarg_size 136
		.amdhsa_user_sgpr_count 6
		.amdhsa_user_sgpr_private_segment_buffer 1
		.amdhsa_user_sgpr_dispatch_ptr 0
		.amdhsa_user_sgpr_queue_ptr 0
		.amdhsa_user_sgpr_kernarg_segment_ptr 1
		.amdhsa_user_sgpr_dispatch_id 0
		.amdhsa_user_sgpr_flat_scratch_init 0
		.amdhsa_user_sgpr_private_segment_size 0
		.amdhsa_wavefront_size32 1
		.amdhsa_uses_dynamic_stack 0
		.amdhsa_system_sgpr_private_segment_wavefront_offset 0
		.amdhsa_system_sgpr_workgroup_id_x 1
		.amdhsa_system_sgpr_workgroup_id_y 0
		.amdhsa_system_sgpr_workgroup_id_z 0
		.amdhsa_system_sgpr_workgroup_info 0
		.amdhsa_system_vgpr_workitem_id 0
		.amdhsa_next_free_vgpr 1
		.amdhsa_next_free_sgpr 1
		.amdhsa_reserve_vcc 0
		.amdhsa_reserve_flat_scratch 0
		.amdhsa_float_round_mode_32 0
		.amdhsa_float_round_mode_16_64 0
		.amdhsa_float_denorm_mode_32 3
		.amdhsa_float_denorm_mode_16_64 3
		.amdhsa_dx10_clamp 1
		.amdhsa_ieee_mode 1
		.amdhsa_fp16_overflow 0
		.amdhsa_workgroup_processor_mode 1
		.amdhsa_memory_ordered 1
		.amdhsa_forward_progress 1
		.amdhsa_shared_vgpr_count 0
		.amdhsa_exception_fp_ieee_invalid_op 0
		.amdhsa_exception_fp_denorm_src 0
		.amdhsa_exception_fp_ieee_div_zero 0
		.amdhsa_exception_fp_ieee_overflow 0
		.amdhsa_exception_fp_ieee_underflow 0
		.amdhsa_exception_fp_ieee_inexact 0
		.amdhsa_exception_int_div_zero 0
	.end_amdhsa_kernel
	.section	.text._ZN7rocprim17ROCPRIM_400000_NS6detail17trampoline_kernelINS0_14default_configENS1_27scan_by_key_config_selectorIllEEZZNS1_16scan_by_key_implILNS1_25lookback_scan_determinismE0ELb0ES3_N6thrust23THRUST_200600_302600_NS16reverse_iteratorIPKlEESD_NSA_IPlEElN6hipcub16HIPCUB_304000_NS3MaxENSH_8EqualityElEE10hipError_tPvRmT2_T3_T4_T5_mT6_T7_P12ihipStream_tbENKUlT_T0_E_clISt17integral_constantIbLb0EESZ_IbLb1EEEEDaSV_SW_EUlSV_E_NS1_11comp_targetILNS1_3genE3ELNS1_11target_archE908ELNS1_3gpuE7ELNS1_3repE0EEENS1_30default_config_static_selectorELNS0_4arch9wavefront6targetE0EEEvT1_,"axG",@progbits,_ZN7rocprim17ROCPRIM_400000_NS6detail17trampoline_kernelINS0_14default_configENS1_27scan_by_key_config_selectorIllEEZZNS1_16scan_by_key_implILNS1_25lookback_scan_determinismE0ELb0ES3_N6thrust23THRUST_200600_302600_NS16reverse_iteratorIPKlEESD_NSA_IPlEElN6hipcub16HIPCUB_304000_NS3MaxENSH_8EqualityElEE10hipError_tPvRmT2_T3_T4_T5_mT6_T7_P12ihipStream_tbENKUlT_T0_E_clISt17integral_constantIbLb0EESZ_IbLb1EEEEDaSV_SW_EUlSV_E_NS1_11comp_targetILNS1_3genE3ELNS1_11target_archE908ELNS1_3gpuE7ELNS1_3repE0EEENS1_30default_config_static_selectorELNS0_4arch9wavefront6targetE0EEEvT1_,comdat
.Lfunc_end171:
	.size	_ZN7rocprim17ROCPRIM_400000_NS6detail17trampoline_kernelINS0_14default_configENS1_27scan_by_key_config_selectorIllEEZZNS1_16scan_by_key_implILNS1_25lookback_scan_determinismE0ELb0ES3_N6thrust23THRUST_200600_302600_NS16reverse_iteratorIPKlEESD_NSA_IPlEElN6hipcub16HIPCUB_304000_NS3MaxENSH_8EqualityElEE10hipError_tPvRmT2_T3_T4_T5_mT6_T7_P12ihipStream_tbENKUlT_T0_E_clISt17integral_constantIbLb0EESZ_IbLb1EEEEDaSV_SW_EUlSV_E_NS1_11comp_targetILNS1_3genE3ELNS1_11target_archE908ELNS1_3gpuE7ELNS1_3repE0EEENS1_30default_config_static_selectorELNS0_4arch9wavefront6targetE0EEEvT1_, .Lfunc_end171-_ZN7rocprim17ROCPRIM_400000_NS6detail17trampoline_kernelINS0_14default_configENS1_27scan_by_key_config_selectorIllEEZZNS1_16scan_by_key_implILNS1_25lookback_scan_determinismE0ELb0ES3_N6thrust23THRUST_200600_302600_NS16reverse_iteratorIPKlEESD_NSA_IPlEElN6hipcub16HIPCUB_304000_NS3MaxENSH_8EqualityElEE10hipError_tPvRmT2_T3_T4_T5_mT6_T7_P12ihipStream_tbENKUlT_T0_E_clISt17integral_constantIbLb0EESZ_IbLb1EEEEDaSV_SW_EUlSV_E_NS1_11comp_targetILNS1_3genE3ELNS1_11target_archE908ELNS1_3gpuE7ELNS1_3repE0EEENS1_30default_config_static_selectorELNS0_4arch9wavefront6targetE0EEEvT1_
                                        ; -- End function
	.set _ZN7rocprim17ROCPRIM_400000_NS6detail17trampoline_kernelINS0_14default_configENS1_27scan_by_key_config_selectorIllEEZZNS1_16scan_by_key_implILNS1_25lookback_scan_determinismE0ELb0ES3_N6thrust23THRUST_200600_302600_NS16reverse_iteratorIPKlEESD_NSA_IPlEElN6hipcub16HIPCUB_304000_NS3MaxENSH_8EqualityElEE10hipError_tPvRmT2_T3_T4_T5_mT6_T7_P12ihipStream_tbENKUlT_T0_E_clISt17integral_constantIbLb0EESZ_IbLb1EEEEDaSV_SW_EUlSV_E_NS1_11comp_targetILNS1_3genE3ELNS1_11target_archE908ELNS1_3gpuE7ELNS1_3repE0EEENS1_30default_config_static_selectorELNS0_4arch9wavefront6targetE0EEEvT1_.num_vgpr, 0
	.set _ZN7rocprim17ROCPRIM_400000_NS6detail17trampoline_kernelINS0_14default_configENS1_27scan_by_key_config_selectorIllEEZZNS1_16scan_by_key_implILNS1_25lookback_scan_determinismE0ELb0ES3_N6thrust23THRUST_200600_302600_NS16reverse_iteratorIPKlEESD_NSA_IPlEElN6hipcub16HIPCUB_304000_NS3MaxENSH_8EqualityElEE10hipError_tPvRmT2_T3_T4_T5_mT6_T7_P12ihipStream_tbENKUlT_T0_E_clISt17integral_constantIbLb0EESZ_IbLb1EEEEDaSV_SW_EUlSV_E_NS1_11comp_targetILNS1_3genE3ELNS1_11target_archE908ELNS1_3gpuE7ELNS1_3repE0EEENS1_30default_config_static_selectorELNS0_4arch9wavefront6targetE0EEEvT1_.num_agpr, 0
	.set _ZN7rocprim17ROCPRIM_400000_NS6detail17trampoline_kernelINS0_14default_configENS1_27scan_by_key_config_selectorIllEEZZNS1_16scan_by_key_implILNS1_25lookback_scan_determinismE0ELb0ES3_N6thrust23THRUST_200600_302600_NS16reverse_iteratorIPKlEESD_NSA_IPlEElN6hipcub16HIPCUB_304000_NS3MaxENSH_8EqualityElEE10hipError_tPvRmT2_T3_T4_T5_mT6_T7_P12ihipStream_tbENKUlT_T0_E_clISt17integral_constantIbLb0EESZ_IbLb1EEEEDaSV_SW_EUlSV_E_NS1_11comp_targetILNS1_3genE3ELNS1_11target_archE908ELNS1_3gpuE7ELNS1_3repE0EEENS1_30default_config_static_selectorELNS0_4arch9wavefront6targetE0EEEvT1_.numbered_sgpr, 0
	.set _ZN7rocprim17ROCPRIM_400000_NS6detail17trampoline_kernelINS0_14default_configENS1_27scan_by_key_config_selectorIllEEZZNS1_16scan_by_key_implILNS1_25lookback_scan_determinismE0ELb0ES3_N6thrust23THRUST_200600_302600_NS16reverse_iteratorIPKlEESD_NSA_IPlEElN6hipcub16HIPCUB_304000_NS3MaxENSH_8EqualityElEE10hipError_tPvRmT2_T3_T4_T5_mT6_T7_P12ihipStream_tbENKUlT_T0_E_clISt17integral_constantIbLb0EESZ_IbLb1EEEEDaSV_SW_EUlSV_E_NS1_11comp_targetILNS1_3genE3ELNS1_11target_archE908ELNS1_3gpuE7ELNS1_3repE0EEENS1_30default_config_static_selectorELNS0_4arch9wavefront6targetE0EEEvT1_.num_named_barrier, 0
	.set _ZN7rocprim17ROCPRIM_400000_NS6detail17trampoline_kernelINS0_14default_configENS1_27scan_by_key_config_selectorIllEEZZNS1_16scan_by_key_implILNS1_25lookback_scan_determinismE0ELb0ES3_N6thrust23THRUST_200600_302600_NS16reverse_iteratorIPKlEESD_NSA_IPlEElN6hipcub16HIPCUB_304000_NS3MaxENSH_8EqualityElEE10hipError_tPvRmT2_T3_T4_T5_mT6_T7_P12ihipStream_tbENKUlT_T0_E_clISt17integral_constantIbLb0EESZ_IbLb1EEEEDaSV_SW_EUlSV_E_NS1_11comp_targetILNS1_3genE3ELNS1_11target_archE908ELNS1_3gpuE7ELNS1_3repE0EEENS1_30default_config_static_selectorELNS0_4arch9wavefront6targetE0EEEvT1_.private_seg_size, 0
	.set _ZN7rocprim17ROCPRIM_400000_NS6detail17trampoline_kernelINS0_14default_configENS1_27scan_by_key_config_selectorIllEEZZNS1_16scan_by_key_implILNS1_25lookback_scan_determinismE0ELb0ES3_N6thrust23THRUST_200600_302600_NS16reverse_iteratorIPKlEESD_NSA_IPlEElN6hipcub16HIPCUB_304000_NS3MaxENSH_8EqualityElEE10hipError_tPvRmT2_T3_T4_T5_mT6_T7_P12ihipStream_tbENKUlT_T0_E_clISt17integral_constantIbLb0EESZ_IbLb1EEEEDaSV_SW_EUlSV_E_NS1_11comp_targetILNS1_3genE3ELNS1_11target_archE908ELNS1_3gpuE7ELNS1_3repE0EEENS1_30default_config_static_selectorELNS0_4arch9wavefront6targetE0EEEvT1_.uses_vcc, 0
	.set _ZN7rocprim17ROCPRIM_400000_NS6detail17trampoline_kernelINS0_14default_configENS1_27scan_by_key_config_selectorIllEEZZNS1_16scan_by_key_implILNS1_25lookback_scan_determinismE0ELb0ES3_N6thrust23THRUST_200600_302600_NS16reverse_iteratorIPKlEESD_NSA_IPlEElN6hipcub16HIPCUB_304000_NS3MaxENSH_8EqualityElEE10hipError_tPvRmT2_T3_T4_T5_mT6_T7_P12ihipStream_tbENKUlT_T0_E_clISt17integral_constantIbLb0EESZ_IbLb1EEEEDaSV_SW_EUlSV_E_NS1_11comp_targetILNS1_3genE3ELNS1_11target_archE908ELNS1_3gpuE7ELNS1_3repE0EEENS1_30default_config_static_selectorELNS0_4arch9wavefront6targetE0EEEvT1_.uses_flat_scratch, 0
	.set _ZN7rocprim17ROCPRIM_400000_NS6detail17trampoline_kernelINS0_14default_configENS1_27scan_by_key_config_selectorIllEEZZNS1_16scan_by_key_implILNS1_25lookback_scan_determinismE0ELb0ES3_N6thrust23THRUST_200600_302600_NS16reverse_iteratorIPKlEESD_NSA_IPlEElN6hipcub16HIPCUB_304000_NS3MaxENSH_8EqualityElEE10hipError_tPvRmT2_T3_T4_T5_mT6_T7_P12ihipStream_tbENKUlT_T0_E_clISt17integral_constantIbLb0EESZ_IbLb1EEEEDaSV_SW_EUlSV_E_NS1_11comp_targetILNS1_3genE3ELNS1_11target_archE908ELNS1_3gpuE7ELNS1_3repE0EEENS1_30default_config_static_selectorELNS0_4arch9wavefront6targetE0EEEvT1_.has_dyn_sized_stack, 0
	.set _ZN7rocprim17ROCPRIM_400000_NS6detail17trampoline_kernelINS0_14default_configENS1_27scan_by_key_config_selectorIllEEZZNS1_16scan_by_key_implILNS1_25lookback_scan_determinismE0ELb0ES3_N6thrust23THRUST_200600_302600_NS16reverse_iteratorIPKlEESD_NSA_IPlEElN6hipcub16HIPCUB_304000_NS3MaxENSH_8EqualityElEE10hipError_tPvRmT2_T3_T4_T5_mT6_T7_P12ihipStream_tbENKUlT_T0_E_clISt17integral_constantIbLb0EESZ_IbLb1EEEEDaSV_SW_EUlSV_E_NS1_11comp_targetILNS1_3genE3ELNS1_11target_archE908ELNS1_3gpuE7ELNS1_3repE0EEENS1_30default_config_static_selectorELNS0_4arch9wavefront6targetE0EEEvT1_.has_recursion, 0
	.set _ZN7rocprim17ROCPRIM_400000_NS6detail17trampoline_kernelINS0_14default_configENS1_27scan_by_key_config_selectorIllEEZZNS1_16scan_by_key_implILNS1_25lookback_scan_determinismE0ELb0ES3_N6thrust23THRUST_200600_302600_NS16reverse_iteratorIPKlEESD_NSA_IPlEElN6hipcub16HIPCUB_304000_NS3MaxENSH_8EqualityElEE10hipError_tPvRmT2_T3_T4_T5_mT6_T7_P12ihipStream_tbENKUlT_T0_E_clISt17integral_constantIbLb0EESZ_IbLb1EEEEDaSV_SW_EUlSV_E_NS1_11comp_targetILNS1_3genE3ELNS1_11target_archE908ELNS1_3gpuE7ELNS1_3repE0EEENS1_30default_config_static_selectorELNS0_4arch9wavefront6targetE0EEEvT1_.has_indirect_call, 0
	.section	.AMDGPU.csdata,"",@progbits
; Kernel info:
; codeLenInByte = 0
; TotalNumSgprs: 0
; NumVgprs: 0
; ScratchSize: 0
; MemoryBound: 0
; FloatMode: 240
; IeeeMode: 1
; LDSByteSize: 0 bytes/workgroup (compile time only)
; SGPRBlocks: 0
; VGPRBlocks: 0
; NumSGPRsForWavesPerEU: 1
; NumVGPRsForWavesPerEU: 1
; Occupancy: 16
; WaveLimiterHint : 0
; COMPUTE_PGM_RSRC2:SCRATCH_EN: 0
; COMPUTE_PGM_RSRC2:USER_SGPR: 6
; COMPUTE_PGM_RSRC2:TRAP_HANDLER: 0
; COMPUTE_PGM_RSRC2:TGID_X_EN: 1
; COMPUTE_PGM_RSRC2:TGID_Y_EN: 0
; COMPUTE_PGM_RSRC2:TGID_Z_EN: 0
; COMPUTE_PGM_RSRC2:TIDIG_COMP_CNT: 0
	.section	.text._ZN7rocprim17ROCPRIM_400000_NS6detail17trampoline_kernelINS0_14default_configENS1_27scan_by_key_config_selectorIllEEZZNS1_16scan_by_key_implILNS1_25lookback_scan_determinismE0ELb0ES3_N6thrust23THRUST_200600_302600_NS16reverse_iteratorIPKlEESD_NSA_IPlEElN6hipcub16HIPCUB_304000_NS3MaxENSH_8EqualityElEE10hipError_tPvRmT2_T3_T4_T5_mT6_T7_P12ihipStream_tbENKUlT_T0_E_clISt17integral_constantIbLb0EESZ_IbLb1EEEEDaSV_SW_EUlSV_E_NS1_11comp_targetILNS1_3genE2ELNS1_11target_archE906ELNS1_3gpuE6ELNS1_3repE0EEENS1_30default_config_static_selectorELNS0_4arch9wavefront6targetE0EEEvT1_,"axG",@progbits,_ZN7rocprim17ROCPRIM_400000_NS6detail17trampoline_kernelINS0_14default_configENS1_27scan_by_key_config_selectorIllEEZZNS1_16scan_by_key_implILNS1_25lookback_scan_determinismE0ELb0ES3_N6thrust23THRUST_200600_302600_NS16reverse_iteratorIPKlEESD_NSA_IPlEElN6hipcub16HIPCUB_304000_NS3MaxENSH_8EqualityElEE10hipError_tPvRmT2_T3_T4_T5_mT6_T7_P12ihipStream_tbENKUlT_T0_E_clISt17integral_constantIbLb0EESZ_IbLb1EEEEDaSV_SW_EUlSV_E_NS1_11comp_targetILNS1_3genE2ELNS1_11target_archE906ELNS1_3gpuE6ELNS1_3repE0EEENS1_30default_config_static_selectorELNS0_4arch9wavefront6targetE0EEEvT1_,comdat
	.protected	_ZN7rocprim17ROCPRIM_400000_NS6detail17trampoline_kernelINS0_14default_configENS1_27scan_by_key_config_selectorIllEEZZNS1_16scan_by_key_implILNS1_25lookback_scan_determinismE0ELb0ES3_N6thrust23THRUST_200600_302600_NS16reverse_iteratorIPKlEESD_NSA_IPlEElN6hipcub16HIPCUB_304000_NS3MaxENSH_8EqualityElEE10hipError_tPvRmT2_T3_T4_T5_mT6_T7_P12ihipStream_tbENKUlT_T0_E_clISt17integral_constantIbLb0EESZ_IbLb1EEEEDaSV_SW_EUlSV_E_NS1_11comp_targetILNS1_3genE2ELNS1_11target_archE906ELNS1_3gpuE6ELNS1_3repE0EEENS1_30default_config_static_selectorELNS0_4arch9wavefront6targetE0EEEvT1_ ; -- Begin function _ZN7rocprim17ROCPRIM_400000_NS6detail17trampoline_kernelINS0_14default_configENS1_27scan_by_key_config_selectorIllEEZZNS1_16scan_by_key_implILNS1_25lookback_scan_determinismE0ELb0ES3_N6thrust23THRUST_200600_302600_NS16reverse_iteratorIPKlEESD_NSA_IPlEElN6hipcub16HIPCUB_304000_NS3MaxENSH_8EqualityElEE10hipError_tPvRmT2_T3_T4_T5_mT6_T7_P12ihipStream_tbENKUlT_T0_E_clISt17integral_constantIbLb0EESZ_IbLb1EEEEDaSV_SW_EUlSV_E_NS1_11comp_targetILNS1_3genE2ELNS1_11target_archE906ELNS1_3gpuE6ELNS1_3repE0EEENS1_30default_config_static_selectorELNS0_4arch9wavefront6targetE0EEEvT1_
	.globl	_ZN7rocprim17ROCPRIM_400000_NS6detail17trampoline_kernelINS0_14default_configENS1_27scan_by_key_config_selectorIllEEZZNS1_16scan_by_key_implILNS1_25lookback_scan_determinismE0ELb0ES3_N6thrust23THRUST_200600_302600_NS16reverse_iteratorIPKlEESD_NSA_IPlEElN6hipcub16HIPCUB_304000_NS3MaxENSH_8EqualityElEE10hipError_tPvRmT2_T3_T4_T5_mT6_T7_P12ihipStream_tbENKUlT_T0_E_clISt17integral_constantIbLb0EESZ_IbLb1EEEEDaSV_SW_EUlSV_E_NS1_11comp_targetILNS1_3genE2ELNS1_11target_archE906ELNS1_3gpuE6ELNS1_3repE0EEENS1_30default_config_static_selectorELNS0_4arch9wavefront6targetE0EEEvT1_
	.p2align	8
	.type	_ZN7rocprim17ROCPRIM_400000_NS6detail17trampoline_kernelINS0_14default_configENS1_27scan_by_key_config_selectorIllEEZZNS1_16scan_by_key_implILNS1_25lookback_scan_determinismE0ELb0ES3_N6thrust23THRUST_200600_302600_NS16reverse_iteratorIPKlEESD_NSA_IPlEElN6hipcub16HIPCUB_304000_NS3MaxENSH_8EqualityElEE10hipError_tPvRmT2_T3_T4_T5_mT6_T7_P12ihipStream_tbENKUlT_T0_E_clISt17integral_constantIbLb0EESZ_IbLb1EEEEDaSV_SW_EUlSV_E_NS1_11comp_targetILNS1_3genE2ELNS1_11target_archE906ELNS1_3gpuE6ELNS1_3repE0EEENS1_30default_config_static_selectorELNS0_4arch9wavefront6targetE0EEEvT1_,@function
_ZN7rocprim17ROCPRIM_400000_NS6detail17trampoline_kernelINS0_14default_configENS1_27scan_by_key_config_selectorIllEEZZNS1_16scan_by_key_implILNS1_25lookback_scan_determinismE0ELb0ES3_N6thrust23THRUST_200600_302600_NS16reverse_iteratorIPKlEESD_NSA_IPlEElN6hipcub16HIPCUB_304000_NS3MaxENSH_8EqualityElEE10hipError_tPvRmT2_T3_T4_T5_mT6_T7_P12ihipStream_tbENKUlT_T0_E_clISt17integral_constantIbLb0EESZ_IbLb1EEEEDaSV_SW_EUlSV_E_NS1_11comp_targetILNS1_3genE2ELNS1_11target_archE906ELNS1_3gpuE6ELNS1_3repE0EEENS1_30default_config_static_selectorELNS0_4arch9wavefront6targetE0EEEvT1_: ; @_ZN7rocprim17ROCPRIM_400000_NS6detail17trampoline_kernelINS0_14default_configENS1_27scan_by_key_config_selectorIllEEZZNS1_16scan_by_key_implILNS1_25lookback_scan_determinismE0ELb0ES3_N6thrust23THRUST_200600_302600_NS16reverse_iteratorIPKlEESD_NSA_IPlEElN6hipcub16HIPCUB_304000_NS3MaxENSH_8EqualityElEE10hipError_tPvRmT2_T3_T4_T5_mT6_T7_P12ihipStream_tbENKUlT_T0_E_clISt17integral_constantIbLb0EESZ_IbLb1EEEEDaSV_SW_EUlSV_E_NS1_11comp_targetILNS1_3genE2ELNS1_11target_archE906ELNS1_3gpuE6ELNS1_3repE0EEENS1_30default_config_static_selectorELNS0_4arch9wavefront6targetE0EEEvT1_
; %bb.0:
	.section	.rodata,"a",@progbits
	.p2align	6, 0x0
	.amdhsa_kernel _ZN7rocprim17ROCPRIM_400000_NS6detail17trampoline_kernelINS0_14default_configENS1_27scan_by_key_config_selectorIllEEZZNS1_16scan_by_key_implILNS1_25lookback_scan_determinismE0ELb0ES3_N6thrust23THRUST_200600_302600_NS16reverse_iteratorIPKlEESD_NSA_IPlEElN6hipcub16HIPCUB_304000_NS3MaxENSH_8EqualityElEE10hipError_tPvRmT2_T3_T4_T5_mT6_T7_P12ihipStream_tbENKUlT_T0_E_clISt17integral_constantIbLb0EESZ_IbLb1EEEEDaSV_SW_EUlSV_E_NS1_11comp_targetILNS1_3genE2ELNS1_11target_archE906ELNS1_3gpuE6ELNS1_3repE0EEENS1_30default_config_static_selectorELNS0_4arch9wavefront6targetE0EEEvT1_
		.amdhsa_group_segment_fixed_size 0
		.amdhsa_private_segment_fixed_size 0
		.amdhsa_kernarg_size 136
		.amdhsa_user_sgpr_count 6
		.amdhsa_user_sgpr_private_segment_buffer 1
		.amdhsa_user_sgpr_dispatch_ptr 0
		.amdhsa_user_sgpr_queue_ptr 0
		.amdhsa_user_sgpr_kernarg_segment_ptr 1
		.amdhsa_user_sgpr_dispatch_id 0
		.amdhsa_user_sgpr_flat_scratch_init 0
		.amdhsa_user_sgpr_private_segment_size 0
		.amdhsa_wavefront_size32 1
		.amdhsa_uses_dynamic_stack 0
		.amdhsa_system_sgpr_private_segment_wavefront_offset 0
		.amdhsa_system_sgpr_workgroup_id_x 1
		.amdhsa_system_sgpr_workgroup_id_y 0
		.amdhsa_system_sgpr_workgroup_id_z 0
		.amdhsa_system_sgpr_workgroup_info 0
		.amdhsa_system_vgpr_workitem_id 0
		.amdhsa_next_free_vgpr 1
		.amdhsa_next_free_sgpr 1
		.amdhsa_reserve_vcc 0
		.amdhsa_reserve_flat_scratch 0
		.amdhsa_float_round_mode_32 0
		.amdhsa_float_round_mode_16_64 0
		.amdhsa_float_denorm_mode_32 3
		.amdhsa_float_denorm_mode_16_64 3
		.amdhsa_dx10_clamp 1
		.amdhsa_ieee_mode 1
		.amdhsa_fp16_overflow 0
		.amdhsa_workgroup_processor_mode 1
		.amdhsa_memory_ordered 1
		.amdhsa_forward_progress 1
		.amdhsa_shared_vgpr_count 0
		.amdhsa_exception_fp_ieee_invalid_op 0
		.amdhsa_exception_fp_denorm_src 0
		.amdhsa_exception_fp_ieee_div_zero 0
		.amdhsa_exception_fp_ieee_overflow 0
		.amdhsa_exception_fp_ieee_underflow 0
		.amdhsa_exception_fp_ieee_inexact 0
		.amdhsa_exception_int_div_zero 0
	.end_amdhsa_kernel
	.section	.text._ZN7rocprim17ROCPRIM_400000_NS6detail17trampoline_kernelINS0_14default_configENS1_27scan_by_key_config_selectorIllEEZZNS1_16scan_by_key_implILNS1_25lookback_scan_determinismE0ELb0ES3_N6thrust23THRUST_200600_302600_NS16reverse_iteratorIPKlEESD_NSA_IPlEElN6hipcub16HIPCUB_304000_NS3MaxENSH_8EqualityElEE10hipError_tPvRmT2_T3_T4_T5_mT6_T7_P12ihipStream_tbENKUlT_T0_E_clISt17integral_constantIbLb0EESZ_IbLb1EEEEDaSV_SW_EUlSV_E_NS1_11comp_targetILNS1_3genE2ELNS1_11target_archE906ELNS1_3gpuE6ELNS1_3repE0EEENS1_30default_config_static_selectorELNS0_4arch9wavefront6targetE0EEEvT1_,"axG",@progbits,_ZN7rocprim17ROCPRIM_400000_NS6detail17trampoline_kernelINS0_14default_configENS1_27scan_by_key_config_selectorIllEEZZNS1_16scan_by_key_implILNS1_25lookback_scan_determinismE0ELb0ES3_N6thrust23THRUST_200600_302600_NS16reverse_iteratorIPKlEESD_NSA_IPlEElN6hipcub16HIPCUB_304000_NS3MaxENSH_8EqualityElEE10hipError_tPvRmT2_T3_T4_T5_mT6_T7_P12ihipStream_tbENKUlT_T0_E_clISt17integral_constantIbLb0EESZ_IbLb1EEEEDaSV_SW_EUlSV_E_NS1_11comp_targetILNS1_3genE2ELNS1_11target_archE906ELNS1_3gpuE6ELNS1_3repE0EEENS1_30default_config_static_selectorELNS0_4arch9wavefront6targetE0EEEvT1_,comdat
.Lfunc_end172:
	.size	_ZN7rocprim17ROCPRIM_400000_NS6detail17trampoline_kernelINS0_14default_configENS1_27scan_by_key_config_selectorIllEEZZNS1_16scan_by_key_implILNS1_25lookback_scan_determinismE0ELb0ES3_N6thrust23THRUST_200600_302600_NS16reverse_iteratorIPKlEESD_NSA_IPlEElN6hipcub16HIPCUB_304000_NS3MaxENSH_8EqualityElEE10hipError_tPvRmT2_T3_T4_T5_mT6_T7_P12ihipStream_tbENKUlT_T0_E_clISt17integral_constantIbLb0EESZ_IbLb1EEEEDaSV_SW_EUlSV_E_NS1_11comp_targetILNS1_3genE2ELNS1_11target_archE906ELNS1_3gpuE6ELNS1_3repE0EEENS1_30default_config_static_selectorELNS0_4arch9wavefront6targetE0EEEvT1_, .Lfunc_end172-_ZN7rocprim17ROCPRIM_400000_NS6detail17trampoline_kernelINS0_14default_configENS1_27scan_by_key_config_selectorIllEEZZNS1_16scan_by_key_implILNS1_25lookback_scan_determinismE0ELb0ES3_N6thrust23THRUST_200600_302600_NS16reverse_iteratorIPKlEESD_NSA_IPlEElN6hipcub16HIPCUB_304000_NS3MaxENSH_8EqualityElEE10hipError_tPvRmT2_T3_T4_T5_mT6_T7_P12ihipStream_tbENKUlT_T0_E_clISt17integral_constantIbLb0EESZ_IbLb1EEEEDaSV_SW_EUlSV_E_NS1_11comp_targetILNS1_3genE2ELNS1_11target_archE906ELNS1_3gpuE6ELNS1_3repE0EEENS1_30default_config_static_selectorELNS0_4arch9wavefront6targetE0EEEvT1_
                                        ; -- End function
	.set _ZN7rocprim17ROCPRIM_400000_NS6detail17trampoline_kernelINS0_14default_configENS1_27scan_by_key_config_selectorIllEEZZNS1_16scan_by_key_implILNS1_25lookback_scan_determinismE0ELb0ES3_N6thrust23THRUST_200600_302600_NS16reverse_iteratorIPKlEESD_NSA_IPlEElN6hipcub16HIPCUB_304000_NS3MaxENSH_8EqualityElEE10hipError_tPvRmT2_T3_T4_T5_mT6_T7_P12ihipStream_tbENKUlT_T0_E_clISt17integral_constantIbLb0EESZ_IbLb1EEEEDaSV_SW_EUlSV_E_NS1_11comp_targetILNS1_3genE2ELNS1_11target_archE906ELNS1_3gpuE6ELNS1_3repE0EEENS1_30default_config_static_selectorELNS0_4arch9wavefront6targetE0EEEvT1_.num_vgpr, 0
	.set _ZN7rocprim17ROCPRIM_400000_NS6detail17trampoline_kernelINS0_14default_configENS1_27scan_by_key_config_selectorIllEEZZNS1_16scan_by_key_implILNS1_25lookback_scan_determinismE0ELb0ES3_N6thrust23THRUST_200600_302600_NS16reverse_iteratorIPKlEESD_NSA_IPlEElN6hipcub16HIPCUB_304000_NS3MaxENSH_8EqualityElEE10hipError_tPvRmT2_T3_T4_T5_mT6_T7_P12ihipStream_tbENKUlT_T0_E_clISt17integral_constantIbLb0EESZ_IbLb1EEEEDaSV_SW_EUlSV_E_NS1_11comp_targetILNS1_3genE2ELNS1_11target_archE906ELNS1_3gpuE6ELNS1_3repE0EEENS1_30default_config_static_selectorELNS0_4arch9wavefront6targetE0EEEvT1_.num_agpr, 0
	.set _ZN7rocprim17ROCPRIM_400000_NS6detail17trampoline_kernelINS0_14default_configENS1_27scan_by_key_config_selectorIllEEZZNS1_16scan_by_key_implILNS1_25lookback_scan_determinismE0ELb0ES3_N6thrust23THRUST_200600_302600_NS16reverse_iteratorIPKlEESD_NSA_IPlEElN6hipcub16HIPCUB_304000_NS3MaxENSH_8EqualityElEE10hipError_tPvRmT2_T3_T4_T5_mT6_T7_P12ihipStream_tbENKUlT_T0_E_clISt17integral_constantIbLb0EESZ_IbLb1EEEEDaSV_SW_EUlSV_E_NS1_11comp_targetILNS1_3genE2ELNS1_11target_archE906ELNS1_3gpuE6ELNS1_3repE0EEENS1_30default_config_static_selectorELNS0_4arch9wavefront6targetE0EEEvT1_.numbered_sgpr, 0
	.set _ZN7rocprim17ROCPRIM_400000_NS6detail17trampoline_kernelINS0_14default_configENS1_27scan_by_key_config_selectorIllEEZZNS1_16scan_by_key_implILNS1_25lookback_scan_determinismE0ELb0ES3_N6thrust23THRUST_200600_302600_NS16reverse_iteratorIPKlEESD_NSA_IPlEElN6hipcub16HIPCUB_304000_NS3MaxENSH_8EqualityElEE10hipError_tPvRmT2_T3_T4_T5_mT6_T7_P12ihipStream_tbENKUlT_T0_E_clISt17integral_constantIbLb0EESZ_IbLb1EEEEDaSV_SW_EUlSV_E_NS1_11comp_targetILNS1_3genE2ELNS1_11target_archE906ELNS1_3gpuE6ELNS1_3repE0EEENS1_30default_config_static_selectorELNS0_4arch9wavefront6targetE0EEEvT1_.num_named_barrier, 0
	.set _ZN7rocprim17ROCPRIM_400000_NS6detail17trampoline_kernelINS0_14default_configENS1_27scan_by_key_config_selectorIllEEZZNS1_16scan_by_key_implILNS1_25lookback_scan_determinismE0ELb0ES3_N6thrust23THRUST_200600_302600_NS16reverse_iteratorIPKlEESD_NSA_IPlEElN6hipcub16HIPCUB_304000_NS3MaxENSH_8EqualityElEE10hipError_tPvRmT2_T3_T4_T5_mT6_T7_P12ihipStream_tbENKUlT_T0_E_clISt17integral_constantIbLb0EESZ_IbLb1EEEEDaSV_SW_EUlSV_E_NS1_11comp_targetILNS1_3genE2ELNS1_11target_archE906ELNS1_3gpuE6ELNS1_3repE0EEENS1_30default_config_static_selectorELNS0_4arch9wavefront6targetE0EEEvT1_.private_seg_size, 0
	.set _ZN7rocprim17ROCPRIM_400000_NS6detail17trampoline_kernelINS0_14default_configENS1_27scan_by_key_config_selectorIllEEZZNS1_16scan_by_key_implILNS1_25lookback_scan_determinismE0ELb0ES3_N6thrust23THRUST_200600_302600_NS16reverse_iteratorIPKlEESD_NSA_IPlEElN6hipcub16HIPCUB_304000_NS3MaxENSH_8EqualityElEE10hipError_tPvRmT2_T3_T4_T5_mT6_T7_P12ihipStream_tbENKUlT_T0_E_clISt17integral_constantIbLb0EESZ_IbLb1EEEEDaSV_SW_EUlSV_E_NS1_11comp_targetILNS1_3genE2ELNS1_11target_archE906ELNS1_3gpuE6ELNS1_3repE0EEENS1_30default_config_static_selectorELNS0_4arch9wavefront6targetE0EEEvT1_.uses_vcc, 0
	.set _ZN7rocprim17ROCPRIM_400000_NS6detail17trampoline_kernelINS0_14default_configENS1_27scan_by_key_config_selectorIllEEZZNS1_16scan_by_key_implILNS1_25lookback_scan_determinismE0ELb0ES3_N6thrust23THRUST_200600_302600_NS16reverse_iteratorIPKlEESD_NSA_IPlEElN6hipcub16HIPCUB_304000_NS3MaxENSH_8EqualityElEE10hipError_tPvRmT2_T3_T4_T5_mT6_T7_P12ihipStream_tbENKUlT_T0_E_clISt17integral_constantIbLb0EESZ_IbLb1EEEEDaSV_SW_EUlSV_E_NS1_11comp_targetILNS1_3genE2ELNS1_11target_archE906ELNS1_3gpuE6ELNS1_3repE0EEENS1_30default_config_static_selectorELNS0_4arch9wavefront6targetE0EEEvT1_.uses_flat_scratch, 0
	.set _ZN7rocprim17ROCPRIM_400000_NS6detail17trampoline_kernelINS0_14default_configENS1_27scan_by_key_config_selectorIllEEZZNS1_16scan_by_key_implILNS1_25lookback_scan_determinismE0ELb0ES3_N6thrust23THRUST_200600_302600_NS16reverse_iteratorIPKlEESD_NSA_IPlEElN6hipcub16HIPCUB_304000_NS3MaxENSH_8EqualityElEE10hipError_tPvRmT2_T3_T4_T5_mT6_T7_P12ihipStream_tbENKUlT_T0_E_clISt17integral_constantIbLb0EESZ_IbLb1EEEEDaSV_SW_EUlSV_E_NS1_11comp_targetILNS1_3genE2ELNS1_11target_archE906ELNS1_3gpuE6ELNS1_3repE0EEENS1_30default_config_static_selectorELNS0_4arch9wavefront6targetE0EEEvT1_.has_dyn_sized_stack, 0
	.set _ZN7rocprim17ROCPRIM_400000_NS6detail17trampoline_kernelINS0_14default_configENS1_27scan_by_key_config_selectorIllEEZZNS1_16scan_by_key_implILNS1_25lookback_scan_determinismE0ELb0ES3_N6thrust23THRUST_200600_302600_NS16reverse_iteratorIPKlEESD_NSA_IPlEElN6hipcub16HIPCUB_304000_NS3MaxENSH_8EqualityElEE10hipError_tPvRmT2_T3_T4_T5_mT6_T7_P12ihipStream_tbENKUlT_T0_E_clISt17integral_constantIbLb0EESZ_IbLb1EEEEDaSV_SW_EUlSV_E_NS1_11comp_targetILNS1_3genE2ELNS1_11target_archE906ELNS1_3gpuE6ELNS1_3repE0EEENS1_30default_config_static_selectorELNS0_4arch9wavefront6targetE0EEEvT1_.has_recursion, 0
	.set _ZN7rocprim17ROCPRIM_400000_NS6detail17trampoline_kernelINS0_14default_configENS1_27scan_by_key_config_selectorIllEEZZNS1_16scan_by_key_implILNS1_25lookback_scan_determinismE0ELb0ES3_N6thrust23THRUST_200600_302600_NS16reverse_iteratorIPKlEESD_NSA_IPlEElN6hipcub16HIPCUB_304000_NS3MaxENSH_8EqualityElEE10hipError_tPvRmT2_T3_T4_T5_mT6_T7_P12ihipStream_tbENKUlT_T0_E_clISt17integral_constantIbLb0EESZ_IbLb1EEEEDaSV_SW_EUlSV_E_NS1_11comp_targetILNS1_3genE2ELNS1_11target_archE906ELNS1_3gpuE6ELNS1_3repE0EEENS1_30default_config_static_selectorELNS0_4arch9wavefront6targetE0EEEvT1_.has_indirect_call, 0
	.section	.AMDGPU.csdata,"",@progbits
; Kernel info:
; codeLenInByte = 0
; TotalNumSgprs: 0
; NumVgprs: 0
; ScratchSize: 0
; MemoryBound: 0
; FloatMode: 240
; IeeeMode: 1
; LDSByteSize: 0 bytes/workgroup (compile time only)
; SGPRBlocks: 0
; VGPRBlocks: 0
; NumSGPRsForWavesPerEU: 1
; NumVGPRsForWavesPerEU: 1
; Occupancy: 16
; WaveLimiterHint : 0
; COMPUTE_PGM_RSRC2:SCRATCH_EN: 0
; COMPUTE_PGM_RSRC2:USER_SGPR: 6
; COMPUTE_PGM_RSRC2:TRAP_HANDLER: 0
; COMPUTE_PGM_RSRC2:TGID_X_EN: 1
; COMPUTE_PGM_RSRC2:TGID_Y_EN: 0
; COMPUTE_PGM_RSRC2:TGID_Z_EN: 0
; COMPUTE_PGM_RSRC2:TIDIG_COMP_CNT: 0
	.section	.text._ZN7rocprim17ROCPRIM_400000_NS6detail17trampoline_kernelINS0_14default_configENS1_27scan_by_key_config_selectorIllEEZZNS1_16scan_by_key_implILNS1_25lookback_scan_determinismE0ELb0ES3_N6thrust23THRUST_200600_302600_NS16reverse_iteratorIPKlEESD_NSA_IPlEElN6hipcub16HIPCUB_304000_NS3MaxENSH_8EqualityElEE10hipError_tPvRmT2_T3_T4_T5_mT6_T7_P12ihipStream_tbENKUlT_T0_E_clISt17integral_constantIbLb0EESZ_IbLb1EEEEDaSV_SW_EUlSV_E_NS1_11comp_targetILNS1_3genE10ELNS1_11target_archE1200ELNS1_3gpuE4ELNS1_3repE0EEENS1_30default_config_static_selectorELNS0_4arch9wavefront6targetE0EEEvT1_,"axG",@progbits,_ZN7rocprim17ROCPRIM_400000_NS6detail17trampoline_kernelINS0_14default_configENS1_27scan_by_key_config_selectorIllEEZZNS1_16scan_by_key_implILNS1_25lookback_scan_determinismE0ELb0ES3_N6thrust23THRUST_200600_302600_NS16reverse_iteratorIPKlEESD_NSA_IPlEElN6hipcub16HIPCUB_304000_NS3MaxENSH_8EqualityElEE10hipError_tPvRmT2_T3_T4_T5_mT6_T7_P12ihipStream_tbENKUlT_T0_E_clISt17integral_constantIbLb0EESZ_IbLb1EEEEDaSV_SW_EUlSV_E_NS1_11comp_targetILNS1_3genE10ELNS1_11target_archE1200ELNS1_3gpuE4ELNS1_3repE0EEENS1_30default_config_static_selectorELNS0_4arch9wavefront6targetE0EEEvT1_,comdat
	.protected	_ZN7rocprim17ROCPRIM_400000_NS6detail17trampoline_kernelINS0_14default_configENS1_27scan_by_key_config_selectorIllEEZZNS1_16scan_by_key_implILNS1_25lookback_scan_determinismE0ELb0ES3_N6thrust23THRUST_200600_302600_NS16reverse_iteratorIPKlEESD_NSA_IPlEElN6hipcub16HIPCUB_304000_NS3MaxENSH_8EqualityElEE10hipError_tPvRmT2_T3_T4_T5_mT6_T7_P12ihipStream_tbENKUlT_T0_E_clISt17integral_constantIbLb0EESZ_IbLb1EEEEDaSV_SW_EUlSV_E_NS1_11comp_targetILNS1_3genE10ELNS1_11target_archE1200ELNS1_3gpuE4ELNS1_3repE0EEENS1_30default_config_static_selectorELNS0_4arch9wavefront6targetE0EEEvT1_ ; -- Begin function _ZN7rocprim17ROCPRIM_400000_NS6detail17trampoline_kernelINS0_14default_configENS1_27scan_by_key_config_selectorIllEEZZNS1_16scan_by_key_implILNS1_25lookback_scan_determinismE0ELb0ES3_N6thrust23THRUST_200600_302600_NS16reverse_iteratorIPKlEESD_NSA_IPlEElN6hipcub16HIPCUB_304000_NS3MaxENSH_8EqualityElEE10hipError_tPvRmT2_T3_T4_T5_mT6_T7_P12ihipStream_tbENKUlT_T0_E_clISt17integral_constantIbLb0EESZ_IbLb1EEEEDaSV_SW_EUlSV_E_NS1_11comp_targetILNS1_3genE10ELNS1_11target_archE1200ELNS1_3gpuE4ELNS1_3repE0EEENS1_30default_config_static_selectorELNS0_4arch9wavefront6targetE0EEEvT1_
	.globl	_ZN7rocprim17ROCPRIM_400000_NS6detail17trampoline_kernelINS0_14default_configENS1_27scan_by_key_config_selectorIllEEZZNS1_16scan_by_key_implILNS1_25lookback_scan_determinismE0ELb0ES3_N6thrust23THRUST_200600_302600_NS16reverse_iteratorIPKlEESD_NSA_IPlEElN6hipcub16HIPCUB_304000_NS3MaxENSH_8EqualityElEE10hipError_tPvRmT2_T3_T4_T5_mT6_T7_P12ihipStream_tbENKUlT_T0_E_clISt17integral_constantIbLb0EESZ_IbLb1EEEEDaSV_SW_EUlSV_E_NS1_11comp_targetILNS1_3genE10ELNS1_11target_archE1200ELNS1_3gpuE4ELNS1_3repE0EEENS1_30default_config_static_selectorELNS0_4arch9wavefront6targetE0EEEvT1_
	.p2align	8
	.type	_ZN7rocprim17ROCPRIM_400000_NS6detail17trampoline_kernelINS0_14default_configENS1_27scan_by_key_config_selectorIllEEZZNS1_16scan_by_key_implILNS1_25lookback_scan_determinismE0ELb0ES3_N6thrust23THRUST_200600_302600_NS16reverse_iteratorIPKlEESD_NSA_IPlEElN6hipcub16HIPCUB_304000_NS3MaxENSH_8EqualityElEE10hipError_tPvRmT2_T3_T4_T5_mT6_T7_P12ihipStream_tbENKUlT_T0_E_clISt17integral_constantIbLb0EESZ_IbLb1EEEEDaSV_SW_EUlSV_E_NS1_11comp_targetILNS1_3genE10ELNS1_11target_archE1200ELNS1_3gpuE4ELNS1_3repE0EEENS1_30default_config_static_selectorELNS0_4arch9wavefront6targetE0EEEvT1_,@function
_ZN7rocprim17ROCPRIM_400000_NS6detail17trampoline_kernelINS0_14default_configENS1_27scan_by_key_config_selectorIllEEZZNS1_16scan_by_key_implILNS1_25lookback_scan_determinismE0ELb0ES3_N6thrust23THRUST_200600_302600_NS16reverse_iteratorIPKlEESD_NSA_IPlEElN6hipcub16HIPCUB_304000_NS3MaxENSH_8EqualityElEE10hipError_tPvRmT2_T3_T4_T5_mT6_T7_P12ihipStream_tbENKUlT_T0_E_clISt17integral_constantIbLb0EESZ_IbLb1EEEEDaSV_SW_EUlSV_E_NS1_11comp_targetILNS1_3genE10ELNS1_11target_archE1200ELNS1_3gpuE4ELNS1_3repE0EEENS1_30default_config_static_selectorELNS0_4arch9wavefront6targetE0EEEvT1_: ; @_ZN7rocprim17ROCPRIM_400000_NS6detail17trampoline_kernelINS0_14default_configENS1_27scan_by_key_config_selectorIllEEZZNS1_16scan_by_key_implILNS1_25lookback_scan_determinismE0ELb0ES3_N6thrust23THRUST_200600_302600_NS16reverse_iteratorIPKlEESD_NSA_IPlEElN6hipcub16HIPCUB_304000_NS3MaxENSH_8EqualityElEE10hipError_tPvRmT2_T3_T4_T5_mT6_T7_P12ihipStream_tbENKUlT_T0_E_clISt17integral_constantIbLb0EESZ_IbLb1EEEEDaSV_SW_EUlSV_E_NS1_11comp_targetILNS1_3genE10ELNS1_11target_archE1200ELNS1_3gpuE4ELNS1_3repE0EEENS1_30default_config_static_selectorELNS0_4arch9wavefront6targetE0EEEvT1_
; %bb.0:
	.section	.rodata,"a",@progbits
	.p2align	6, 0x0
	.amdhsa_kernel _ZN7rocprim17ROCPRIM_400000_NS6detail17trampoline_kernelINS0_14default_configENS1_27scan_by_key_config_selectorIllEEZZNS1_16scan_by_key_implILNS1_25lookback_scan_determinismE0ELb0ES3_N6thrust23THRUST_200600_302600_NS16reverse_iteratorIPKlEESD_NSA_IPlEElN6hipcub16HIPCUB_304000_NS3MaxENSH_8EqualityElEE10hipError_tPvRmT2_T3_T4_T5_mT6_T7_P12ihipStream_tbENKUlT_T0_E_clISt17integral_constantIbLb0EESZ_IbLb1EEEEDaSV_SW_EUlSV_E_NS1_11comp_targetILNS1_3genE10ELNS1_11target_archE1200ELNS1_3gpuE4ELNS1_3repE0EEENS1_30default_config_static_selectorELNS0_4arch9wavefront6targetE0EEEvT1_
		.amdhsa_group_segment_fixed_size 0
		.amdhsa_private_segment_fixed_size 0
		.amdhsa_kernarg_size 136
		.amdhsa_user_sgpr_count 6
		.amdhsa_user_sgpr_private_segment_buffer 1
		.amdhsa_user_sgpr_dispatch_ptr 0
		.amdhsa_user_sgpr_queue_ptr 0
		.amdhsa_user_sgpr_kernarg_segment_ptr 1
		.amdhsa_user_sgpr_dispatch_id 0
		.amdhsa_user_sgpr_flat_scratch_init 0
		.amdhsa_user_sgpr_private_segment_size 0
		.amdhsa_wavefront_size32 1
		.amdhsa_uses_dynamic_stack 0
		.amdhsa_system_sgpr_private_segment_wavefront_offset 0
		.amdhsa_system_sgpr_workgroup_id_x 1
		.amdhsa_system_sgpr_workgroup_id_y 0
		.amdhsa_system_sgpr_workgroup_id_z 0
		.amdhsa_system_sgpr_workgroup_info 0
		.amdhsa_system_vgpr_workitem_id 0
		.amdhsa_next_free_vgpr 1
		.amdhsa_next_free_sgpr 1
		.amdhsa_reserve_vcc 0
		.amdhsa_reserve_flat_scratch 0
		.amdhsa_float_round_mode_32 0
		.amdhsa_float_round_mode_16_64 0
		.amdhsa_float_denorm_mode_32 3
		.amdhsa_float_denorm_mode_16_64 3
		.amdhsa_dx10_clamp 1
		.amdhsa_ieee_mode 1
		.amdhsa_fp16_overflow 0
		.amdhsa_workgroup_processor_mode 1
		.amdhsa_memory_ordered 1
		.amdhsa_forward_progress 1
		.amdhsa_shared_vgpr_count 0
		.amdhsa_exception_fp_ieee_invalid_op 0
		.amdhsa_exception_fp_denorm_src 0
		.amdhsa_exception_fp_ieee_div_zero 0
		.amdhsa_exception_fp_ieee_overflow 0
		.amdhsa_exception_fp_ieee_underflow 0
		.amdhsa_exception_fp_ieee_inexact 0
		.amdhsa_exception_int_div_zero 0
	.end_amdhsa_kernel
	.section	.text._ZN7rocprim17ROCPRIM_400000_NS6detail17trampoline_kernelINS0_14default_configENS1_27scan_by_key_config_selectorIllEEZZNS1_16scan_by_key_implILNS1_25lookback_scan_determinismE0ELb0ES3_N6thrust23THRUST_200600_302600_NS16reverse_iteratorIPKlEESD_NSA_IPlEElN6hipcub16HIPCUB_304000_NS3MaxENSH_8EqualityElEE10hipError_tPvRmT2_T3_T4_T5_mT6_T7_P12ihipStream_tbENKUlT_T0_E_clISt17integral_constantIbLb0EESZ_IbLb1EEEEDaSV_SW_EUlSV_E_NS1_11comp_targetILNS1_3genE10ELNS1_11target_archE1200ELNS1_3gpuE4ELNS1_3repE0EEENS1_30default_config_static_selectorELNS0_4arch9wavefront6targetE0EEEvT1_,"axG",@progbits,_ZN7rocprim17ROCPRIM_400000_NS6detail17trampoline_kernelINS0_14default_configENS1_27scan_by_key_config_selectorIllEEZZNS1_16scan_by_key_implILNS1_25lookback_scan_determinismE0ELb0ES3_N6thrust23THRUST_200600_302600_NS16reverse_iteratorIPKlEESD_NSA_IPlEElN6hipcub16HIPCUB_304000_NS3MaxENSH_8EqualityElEE10hipError_tPvRmT2_T3_T4_T5_mT6_T7_P12ihipStream_tbENKUlT_T0_E_clISt17integral_constantIbLb0EESZ_IbLb1EEEEDaSV_SW_EUlSV_E_NS1_11comp_targetILNS1_3genE10ELNS1_11target_archE1200ELNS1_3gpuE4ELNS1_3repE0EEENS1_30default_config_static_selectorELNS0_4arch9wavefront6targetE0EEEvT1_,comdat
.Lfunc_end173:
	.size	_ZN7rocprim17ROCPRIM_400000_NS6detail17trampoline_kernelINS0_14default_configENS1_27scan_by_key_config_selectorIllEEZZNS1_16scan_by_key_implILNS1_25lookback_scan_determinismE0ELb0ES3_N6thrust23THRUST_200600_302600_NS16reverse_iteratorIPKlEESD_NSA_IPlEElN6hipcub16HIPCUB_304000_NS3MaxENSH_8EqualityElEE10hipError_tPvRmT2_T3_T4_T5_mT6_T7_P12ihipStream_tbENKUlT_T0_E_clISt17integral_constantIbLb0EESZ_IbLb1EEEEDaSV_SW_EUlSV_E_NS1_11comp_targetILNS1_3genE10ELNS1_11target_archE1200ELNS1_3gpuE4ELNS1_3repE0EEENS1_30default_config_static_selectorELNS0_4arch9wavefront6targetE0EEEvT1_, .Lfunc_end173-_ZN7rocprim17ROCPRIM_400000_NS6detail17trampoline_kernelINS0_14default_configENS1_27scan_by_key_config_selectorIllEEZZNS1_16scan_by_key_implILNS1_25lookback_scan_determinismE0ELb0ES3_N6thrust23THRUST_200600_302600_NS16reverse_iteratorIPKlEESD_NSA_IPlEElN6hipcub16HIPCUB_304000_NS3MaxENSH_8EqualityElEE10hipError_tPvRmT2_T3_T4_T5_mT6_T7_P12ihipStream_tbENKUlT_T0_E_clISt17integral_constantIbLb0EESZ_IbLb1EEEEDaSV_SW_EUlSV_E_NS1_11comp_targetILNS1_3genE10ELNS1_11target_archE1200ELNS1_3gpuE4ELNS1_3repE0EEENS1_30default_config_static_selectorELNS0_4arch9wavefront6targetE0EEEvT1_
                                        ; -- End function
	.set _ZN7rocprim17ROCPRIM_400000_NS6detail17trampoline_kernelINS0_14default_configENS1_27scan_by_key_config_selectorIllEEZZNS1_16scan_by_key_implILNS1_25lookback_scan_determinismE0ELb0ES3_N6thrust23THRUST_200600_302600_NS16reverse_iteratorIPKlEESD_NSA_IPlEElN6hipcub16HIPCUB_304000_NS3MaxENSH_8EqualityElEE10hipError_tPvRmT2_T3_T4_T5_mT6_T7_P12ihipStream_tbENKUlT_T0_E_clISt17integral_constantIbLb0EESZ_IbLb1EEEEDaSV_SW_EUlSV_E_NS1_11comp_targetILNS1_3genE10ELNS1_11target_archE1200ELNS1_3gpuE4ELNS1_3repE0EEENS1_30default_config_static_selectorELNS0_4arch9wavefront6targetE0EEEvT1_.num_vgpr, 0
	.set _ZN7rocprim17ROCPRIM_400000_NS6detail17trampoline_kernelINS0_14default_configENS1_27scan_by_key_config_selectorIllEEZZNS1_16scan_by_key_implILNS1_25lookback_scan_determinismE0ELb0ES3_N6thrust23THRUST_200600_302600_NS16reverse_iteratorIPKlEESD_NSA_IPlEElN6hipcub16HIPCUB_304000_NS3MaxENSH_8EqualityElEE10hipError_tPvRmT2_T3_T4_T5_mT6_T7_P12ihipStream_tbENKUlT_T0_E_clISt17integral_constantIbLb0EESZ_IbLb1EEEEDaSV_SW_EUlSV_E_NS1_11comp_targetILNS1_3genE10ELNS1_11target_archE1200ELNS1_3gpuE4ELNS1_3repE0EEENS1_30default_config_static_selectorELNS0_4arch9wavefront6targetE0EEEvT1_.num_agpr, 0
	.set _ZN7rocprim17ROCPRIM_400000_NS6detail17trampoline_kernelINS0_14default_configENS1_27scan_by_key_config_selectorIllEEZZNS1_16scan_by_key_implILNS1_25lookback_scan_determinismE0ELb0ES3_N6thrust23THRUST_200600_302600_NS16reverse_iteratorIPKlEESD_NSA_IPlEElN6hipcub16HIPCUB_304000_NS3MaxENSH_8EqualityElEE10hipError_tPvRmT2_T3_T4_T5_mT6_T7_P12ihipStream_tbENKUlT_T0_E_clISt17integral_constantIbLb0EESZ_IbLb1EEEEDaSV_SW_EUlSV_E_NS1_11comp_targetILNS1_3genE10ELNS1_11target_archE1200ELNS1_3gpuE4ELNS1_3repE0EEENS1_30default_config_static_selectorELNS0_4arch9wavefront6targetE0EEEvT1_.numbered_sgpr, 0
	.set _ZN7rocprim17ROCPRIM_400000_NS6detail17trampoline_kernelINS0_14default_configENS1_27scan_by_key_config_selectorIllEEZZNS1_16scan_by_key_implILNS1_25lookback_scan_determinismE0ELb0ES3_N6thrust23THRUST_200600_302600_NS16reverse_iteratorIPKlEESD_NSA_IPlEElN6hipcub16HIPCUB_304000_NS3MaxENSH_8EqualityElEE10hipError_tPvRmT2_T3_T4_T5_mT6_T7_P12ihipStream_tbENKUlT_T0_E_clISt17integral_constantIbLb0EESZ_IbLb1EEEEDaSV_SW_EUlSV_E_NS1_11comp_targetILNS1_3genE10ELNS1_11target_archE1200ELNS1_3gpuE4ELNS1_3repE0EEENS1_30default_config_static_selectorELNS0_4arch9wavefront6targetE0EEEvT1_.num_named_barrier, 0
	.set _ZN7rocprim17ROCPRIM_400000_NS6detail17trampoline_kernelINS0_14default_configENS1_27scan_by_key_config_selectorIllEEZZNS1_16scan_by_key_implILNS1_25lookback_scan_determinismE0ELb0ES3_N6thrust23THRUST_200600_302600_NS16reverse_iteratorIPKlEESD_NSA_IPlEElN6hipcub16HIPCUB_304000_NS3MaxENSH_8EqualityElEE10hipError_tPvRmT2_T3_T4_T5_mT6_T7_P12ihipStream_tbENKUlT_T0_E_clISt17integral_constantIbLb0EESZ_IbLb1EEEEDaSV_SW_EUlSV_E_NS1_11comp_targetILNS1_3genE10ELNS1_11target_archE1200ELNS1_3gpuE4ELNS1_3repE0EEENS1_30default_config_static_selectorELNS0_4arch9wavefront6targetE0EEEvT1_.private_seg_size, 0
	.set _ZN7rocprim17ROCPRIM_400000_NS6detail17trampoline_kernelINS0_14default_configENS1_27scan_by_key_config_selectorIllEEZZNS1_16scan_by_key_implILNS1_25lookback_scan_determinismE0ELb0ES3_N6thrust23THRUST_200600_302600_NS16reverse_iteratorIPKlEESD_NSA_IPlEElN6hipcub16HIPCUB_304000_NS3MaxENSH_8EqualityElEE10hipError_tPvRmT2_T3_T4_T5_mT6_T7_P12ihipStream_tbENKUlT_T0_E_clISt17integral_constantIbLb0EESZ_IbLb1EEEEDaSV_SW_EUlSV_E_NS1_11comp_targetILNS1_3genE10ELNS1_11target_archE1200ELNS1_3gpuE4ELNS1_3repE0EEENS1_30default_config_static_selectorELNS0_4arch9wavefront6targetE0EEEvT1_.uses_vcc, 0
	.set _ZN7rocprim17ROCPRIM_400000_NS6detail17trampoline_kernelINS0_14default_configENS1_27scan_by_key_config_selectorIllEEZZNS1_16scan_by_key_implILNS1_25lookback_scan_determinismE0ELb0ES3_N6thrust23THRUST_200600_302600_NS16reverse_iteratorIPKlEESD_NSA_IPlEElN6hipcub16HIPCUB_304000_NS3MaxENSH_8EqualityElEE10hipError_tPvRmT2_T3_T4_T5_mT6_T7_P12ihipStream_tbENKUlT_T0_E_clISt17integral_constantIbLb0EESZ_IbLb1EEEEDaSV_SW_EUlSV_E_NS1_11comp_targetILNS1_3genE10ELNS1_11target_archE1200ELNS1_3gpuE4ELNS1_3repE0EEENS1_30default_config_static_selectorELNS0_4arch9wavefront6targetE0EEEvT1_.uses_flat_scratch, 0
	.set _ZN7rocprim17ROCPRIM_400000_NS6detail17trampoline_kernelINS0_14default_configENS1_27scan_by_key_config_selectorIllEEZZNS1_16scan_by_key_implILNS1_25lookback_scan_determinismE0ELb0ES3_N6thrust23THRUST_200600_302600_NS16reverse_iteratorIPKlEESD_NSA_IPlEElN6hipcub16HIPCUB_304000_NS3MaxENSH_8EqualityElEE10hipError_tPvRmT2_T3_T4_T5_mT6_T7_P12ihipStream_tbENKUlT_T0_E_clISt17integral_constantIbLb0EESZ_IbLb1EEEEDaSV_SW_EUlSV_E_NS1_11comp_targetILNS1_3genE10ELNS1_11target_archE1200ELNS1_3gpuE4ELNS1_3repE0EEENS1_30default_config_static_selectorELNS0_4arch9wavefront6targetE0EEEvT1_.has_dyn_sized_stack, 0
	.set _ZN7rocprim17ROCPRIM_400000_NS6detail17trampoline_kernelINS0_14default_configENS1_27scan_by_key_config_selectorIllEEZZNS1_16scan_by_key_implILNS1_25lookback_scan_determinismE0ELb0ES3_N6thrust23THRUST_200600_302600_NS16reverse_iteratorIPKlEESD_NSA_IPlEElN6hipcub16HIPCUB_304000_NS3MaxENSH_8EqualityElEE10hipError_tPvRmT2_T3_T4_T5_mT6_T7_P12ihipStream_tbENKUlT_T0_E_clISt17integral_constantIbLb0EESZ_IbLb1EEEEDaSV_SW_EUlSV_E_NS1_11comp_targetILNS1_3genE10ELNS1_11target_archE1200ELNS1_3gpuE4ELNS1_3repE0EEENS1_30default_config_static_selectorELNS0_4arch9wavefront6targetE0EEEvT1_.has_recursion, 0
	.set _ZN7rocprim17ROCPRIM_400000_NS6detail17trampoline_kernelINS0_14default_configENS1_27scan_by_key_config_selectorIllEEZZNS1_16scan_by_key_implILNS1_25lookback_scan_determinismE0ELb0ES3_N6thrust23THRUST_200600_302600_NS16reverse_iteratorIPKlEESD_NSA_IPlEElN6hipcub16HIPCUB_304000_NS3MaxENSH_8EqualityElEE10hipError_tPvRmT2_T3_T4_T5_mT6_T7_P12ihipStream_tbENKUlT_T0_E_clISt17integral_constantIbLb0EESZ_IbLb1EEEEDaSV_SW_EUlSV_E_NS1_11comp_targetILNS1_3genE10ELNS1_11target_archE1200ELNS1_3gpuE4ELNS1_3repE0EEENS1_30default_config_static_selectorELNS0_4arch9wavefront6targetE0EEEvT1_.has_indirect_call, 0
	.section	.AMDGPU.csdata,"",@progbits
; Kernel info:
; codeLenInByte = 0
; TotalNumSgprs: 0
; NumVgprs: 0
; ScratchSize: 0
; MemoryBound: 0
; FloatMode: 240
; IeeeMode: 1
; LDSByteSize: 0 bytes/workgroup (compile time only)
; SGPRBlocks: 0
; VGPRBlocks: 0
; NumSGPRsForWavesPerEU: 1
; NumVGPRsForWavesPerEU: 1
; Occupancy: 16
; WaveLimiterHint : 0
; COMPUTE_PGM_RSRC2:SCRATCH_EN: 0
; COMPUTE_PGM_RSRC2:USER_SGPR: 6
; COMPUTE_PGM_RSRC2:TRAP_HANDLER: 0
; COMPUTE_PGM_RSRC2:TGID_X_EN: 1
; COMPUTE_PGM_RSRC2:TGID_Y_EN: 0
; COMPUTE_PGM_RSRC2:TGID_Z_EN: 0
; COMPUTE_PGM_RSRC2:TIDIG_COMP_CNT: 0
	.section	.text._ZN7rocprim17ROCPRIM_400000_NS6detail17trampoline_kernelINS0_14default_configENS1_27scan_by_key_config_selectorIllEEZZNS1_16scan_by_key_implILNS1_25lookback_scan_determinismE0ELb0ES3_N6thrust23THRUST_200600_302600_NS16reverse_iteratorIPKlEESD_NSA_IPlEElN6hipcub16HIPCUB_304000_NS3MaxENSH_8EqualityElEE10hipError_tPvRmT2_T3_T4_T5_mT6_T7_P12ihipStream_tbENKUlT_T0_E_clISt17integral_constantIbLb0EESZ_IbLb1EEEEDaSV_SW_EUlSV_E_NS1_11comp_targetILNS1_3genE9ELNS1_11target_archE1100ELNS1_3gpuE3ELNS1_3repE0EEENS1_30default_config_static_selectorELNS0_4arch9wavefront6targetE0EEEvT1_,"axG",@progbits,_ZN7rocprim17ROCPRIM_400000_NS6detail17trampoline_kernelINS0_14default_configENS1_27scan_by_key_config_selectorIllEEZZNS1_16scan_by_key_implILNS1_25lookback_scan_determinismE0ELb0ES3_N6thrust23THRUST_200600_302600_NS16reverse_iteratorIPKlEESD_NSA_IPlEElN6hipcub16HIPCUB_304000_NS3MaxENSH_8EqualityElEE10hipError_tPvRmT2_T3_T4_T5_mT6_T7_P12ihipStream_tbENKUlT_T0_E_clISt17integral_constantIbLb0EESZ_IbLb1EEEEDaSV_SW_EUlSV_E_NS1_11comp_targetILNS1_3genE9ELNS1_11target_archE1100ELNS1_3gpuE3ELNS1_3repE0EEENS1_30default_config_static_selectorELNS0_4arch9wavefront6targetE0EEEvT1_,comdat
	.protected	_ZN7rocprim17ROCPRIM_400000_NS6detail17trampoline_kernelINS0_14default_configENS1_27scan_by_key_config_selectorIllEEZZNS1_16scan_by_key_implILNS1_25lookback_scan_determinismE0ELb0ES3_N6thrust23THRUST_200600_302600_NS16reverse_iteratorIPKlEESD_NSA_IPlEElN6hipcub16HIPCUB_304000_NS3MaxENSH_8EqualityElEE10hipError_tPvRmT2_T3_T4_T5_mT6_T7_P12ihipStream_tbENKUlT_T0_E_clISt17integral_constantIbLb0EESZ_IbLb1EEEEDaSV_SW_EUlSV_E_NS1_11comp_targetILNS1_3genE9ELNS1_11target_archE1100ELNS1_3gpuE3ELNS1_3repE0EEENS1_30default_config_static_selectorELNS0_4arch9wavefront6targetE0EEEvT1_ ; -- Begin function _ZN7rocprim17ROCPRIM_400000_NS6detail17trampoline_kernelINS0_14default_configENS1_27scan_by_key_config_selectorIllEEZZNS1_16scan_by_key_implILNS1_25lookback_scan_determinismE0ELb0ES3_N6thrust23THRUST_200600_302600_NS16reverse_iteratorIPKlEESD_NSA_IPlEElN6hipcub16HIPCUB_304000_NS3MaxENSH_8EqualityElEE10hipError_tPvRmT2_T3_T4_T5_mT6_T7_P12ihipStream_tbENKUlT_T0_E_clISt17integral_constantIbLb0EESZ_IbLb1EEEEDaSV_SW_EUlSV_E_NS1_11comp_targetILNS1_3genE9ELNS1_11target_archE1100ELNS1_3gpuE3ELNS1_3repE0EEENS1_30default_config_static_selectorELNS0_4arch9wavefront6targetE0EEEvT1_
	.globl	_ZN7rocprim17ROCPRIM_400000_NS6detail17trampoline_kernelINS0_14default_configENS1_27scan_by_key_config_selectorIllEEZZNS1_16scan_by_key_implILNS1_25lookback_scan_determinismE0ELb0ES3_N6thrust23THRUST_200600_302600_NS16reverse_iteratorIPKlEESD_NSA_IPlEElN6hipcub16HIPCUB_304000_NS3MaxENSH_8EqualityElEE10hipError_tPvRmT2_T3_T4_T5_mT6_T7_P12ihipStream_tbENKUlT_T0_E_clISt17integral_constantIbLb0EESZ_IbLb1EEEEDaSV_SW_EUlSV_E_NS1_11comp_targetILNS1_3genE9ELNS1_11target_archE1100ELNS1_3gpuE3ELNS1_3repE0EEENS1_30default_config_static_selectorELNS0_4arch9wavefront6targetE0EEEvT1_
	.p2align	8
	.type	_ZN7rocprim17ROCPRIM_400000_NS6detail17trampoline_kernelINS0_14default_configENS1_27scan_by_key_config_selectorIllEEZZNS1_16scan_by_key_implILNS1_25lookback_scan_determinismE0ELb0ES3_N6thrust23THRUST_200600_302600_NS16reverse_iteratorIPKlEESD_NSA_IPlEElN6hipcub16HIPCUB_304000_NS3MaxENSH_8EqualityElEE10hipError_tPvRmT2_T3_T4_T5_mT6_T7_P12ihipStream_tbENKUlT_T0_E_clISt17integral_constantIbLb0EESZ_IbLb1EEEEDaSV_SW_EUlSV_E_NS1_11comp_targetILNS1_3genE9ELNS1_11target_archE1100ELNS1_3gpuE3ELNS1_3repE0EEENS1_30default_config_static_selectorELNS0_4arch9wavefront6targetE0EEEvT1_,@function
_ZN7rocprim17ROCPRIM_400000_NS6detail17trampoline_kernelINS0_14default_configENS1_27scan_by_key_config_selectorIllEEZZNS1_16scan_by_key_implILNS1_25lookback_scan_determinismE0ELb0ES3_N6thrust23THRUST_200600_302600_NS16reverse_iteratorIPKlEESD_NSA_IPlEElN6hipcub16HIPCUB_304000_NS3MaxENSH_8EqualityElEE10hipError_tPvRmT2_T3_T4_T5_mT6_T7_P12ihipStream_tbENKUlT_T0_E_clISt17integral_constantIbLb0EESZ_IbLb1EEEEDaSV_SW_EUlSV_E_NS1_11comp_targetILNS1_3genE9ELNS1_11target_archE1100ELNS1_3gpuE3ELNS1_3repE0EEENS1_30default_config_static_selectorELNS0_4arch9wavefront6targetE0EEEvT1_: ; @_ZN7rocprim17ROCPRIM_400000_NS6detail17trampoline_kernelINS0_14default_configENS1_27scan_by_key_config_selectorIllEEZZNS1_16scan_by_key_implILNS1_25lookback_scan_determinismE0ELb0ES3_N6thrust23THRUST_200600_302600_NS16reverse_iteratorIPKlEESD_NSA_IPlEElN6hipcub16HIPCUB_304000_NS3MaxENSH_8EqualityElEE10hipError_tPvRmT2_T3_T4_T5_mT6_T7_P12ihipStream_tbENKUlT_T0_E_clISt17integral_constantIbLb0EESZ_IbLb1EEEEDaSV_SW_EUlSV_E_NS1_11comp_targetILNS1_3genE9ELNS1_11target_archE1100ELNS1_3gpuE3ELNS1_3repE0EEENS1_30default_config_static_selectorELNS0_4arch9wavefront6targetE0EEEvT1_
; %bb.0:
	.section	.rodata,"a",@progbits
	.p2align	6, 0x0
	.amdhsa_kernel _ZN7rocprim17ROCPRIM_400000_NS6detail17trampoline_kernelINS0_14default_configENS1_27scan_by_key_config_selectorIllEEZZNS1_16scan_by_key_implILNS1_25lookback_scan_determinismE0ELb0ES3_N6thrust23THRUST_200600_302600_NS16reverse_iteratorIPKlEESD_NSA_IPlEElN6hipcub16HIPCUB_304000_NS3MaxENSH_8EqualityElEE10hipError_tPvRmT2_T3_T4_T5_mT6_T7_P12ihipStream_tbENKUlT_T0_E_clISt17integral_constantIbLb0EESZ_IbLb1EEEEDaSV_SW_EUlSV_E_NS1_11comp_targetILNS1_3genE9ELNS1_11target_archE1100ELNS1_3gpuE3ELNS1_3repE0EEENS1_30default_config_static_selectorELNS0_4arch9wavefront6targetE0EEEvT1_
		.amdhsa_group_segment_fixed_size 0
		.amdhsa_private_segment_fixed_size 0
		.amdhsa_kernarg_size 136
		.amdhsa_user_sgpr_count 6
		.amdhsa_user_sgpr_private_segment_buffer 1
		.amdhsa_user_sgpr_dispatch_ptr 0
		.amdhsa_user_sgpr_queue_ptr 0
		.amdhsa_user_sgpr_kernarg_segment_ptr 1
		.amdhsa_user_sgpr_dispatch_id 0
		.amdhsa_user_sgpr_flat_scratch_init 0
		.amdhsa_user_sgpr_private_segment_size 0
		.amdhsa_wavefront_size32 1
		.amdhsa_uses_dynamic_stack 0
		.amdhsa_system_sgpr_private_segment_wavefront_offset 0
		.amdhsa_system_sgpr_workgroup_id_x 1
		.amdhsa_system_sgpr_workgroup_id_y 0
		.amdhsa_system_sgpr_workgroup_id_z 0
		.amdhsa_system_sgpr_workgroup_info 0
		.amdhsa_system_vgpr_workitem_id 0
		.amdhsa_next_free_vgpr 1
		.amdhsa_next_free_sgpr 1
		.amdhsa_reserve_vcc 0
		.amdhsa_reserve_flat_scratch 0
		.amdhsa_float_round_mode_32 0
		.amdhsa_float_round_mode_16_64 0
		.amdhsa_float_denorm_mode_32 3
		.amdhsa_float_denorm_mode_16_64 3
		.amdhsa_dx10_clamp 1
		.amdhsa_ieee_mode 1
		.amdhsa_fp16_overflow 0
		.amdhsa_workgroup_processor_mode 1
		.amdhsa_memory_ordered 1
		.amdhsa_forward_progress 1
		.amdhsa_shared_vgpr_count 0
		.amdhsa_exception_fp_ieee_invalid_op 0
		.amdhsa_exception_fp_denorm_src 0
		.amdhsa_exception_fp_ieee_div_zero 0
		.amdhsa_exception_fp_ieee_overflow 0
		.amdhsa_exception_fp_ieee_underflow 0
		.amdhsa_exception_fp_ieee_inexact 0
		.amdhsa_exception_int_div_zero 0
	.end_amdhsa_kernel
	.section	.text._ZN7rocprim17ROCPRIM_400000_NS6detail17trampoline_kernelINS0_14default_configENS1_27scan_by_key_config_selectorIllEEZZNS1_16scan_by_key_implILNS1_25lookback_scan_determinismE0ELb0ES3_N6thrust23THRUST_200600_302600_NS16reverse_iteratorIPKlEESD_NSA_IPlEElN6hipcub16HIPCUB_304000_NS3MaxENSH_8EqualityElEE10hipError_tPvRmT2_T3_T4_T5_mT6_T7_P12ihipStream_tbENKUlT_T0_E_clISt17integral_constantIbLb0EESZ_IbLb1EEEEDaSV_SW_EUlSV_E_NS1_11comp_targetILNS1_3genE9ELNS1_11target_archE1100ELNS1_3gpuE3ELNS1_3repE0EEENS1_30default_config_static_selectorELNS0_4arch9wavefront6targetE0EEEvT1_,"axG",@progbits,_ZN7rocprim17ROCPRIM_400000_NS6detail17trampoline_kernelINS0_14default_configENS1_27scan_by_key_config_selectorIllEEZZNS1_16scan_by_key_implILNS1_25lookback_scan_determinismE0ELb0ES3_N6thrust23THRUST_200600_302600_NS16reverse_iteratorIPKlEESD_NSA_IPlEElN6hipcub16HIPCUB_304000_NS3MaxENSH_8EqualityElEE10hipError_tPvRmT2_T3_T4_T5_mT6_T7_P12ihipStream_tbENKUlT_T0_E_clISt17integral_constantIbLb0EESZ_IbLb1EEEEDaSV_SW_EUlSV_E_NS1_11comp_targetILNS1_3genE9ELNS1_11target_archE1100ELNS1_3gpuE3ELNS1_3repE0EEENS1_30default_config_static_selectorELNS0_4arch9wavefront6targetE0EEEvT1_,comdat
.Lfunc_end174:
	.size	_ZN7rocprim17ROCPRIM_400000_NS6detail17trampoline_kernelINS0_14default_configENS1_27scan_by_key_config_selectorIllEEZZNS1_16scan_by_key_implILNS1_25lookback_scan_determinismE0ELb0ES3_N6thrust23THRUST_200600_302600_NS16reverse_iteratorIPKlEESD_NSA_IPlEElN6hipcub16HIPCUB_304000_NS3MaxENSH_8EqualityElEE10hipError_tPvRmT2_T3_T4_T5_mT6_T7_P12ihipStream_tbENKUlT_T0_E_clISt17integral_constantIbLb0EESZ_IbLb1EEEEDaSV_SW_EUlSV_E_NS1_11comp_targetILNS1_3genE9ELNS1_11target_archE1100ELNS1_3gpuE3ELNS1_3repE0EEENS1_30default_config_static_selectorELNS0_4arch9wavefront6targetE0EEEvT1_, .Lfunc_end174-_ZN7rocprim17ROCPRIM_400000_NS6detail17trampoline_kernelINS0_14default_configENS1_27scan_by_key_config_selectorIllEEZZNS1_16scan_by_key_implILNS1_25lookback_scan_determinismE0ELb0ES3_N6thrust23THRUST_200600_302600_NS16reverse_iteratorIPKlEESD_NSA_IPlEElN6hipcub16HIPCUB_304000_NS3MaxENSH_8EqualityElEE10hipError_tPvRmT2_T3_T4_T5_mT6_T7_P12ihipStream_tbENKUlT_T0_E_clISt17integral_constantIbLb0EESZ_IbLb1EEEEDaSV_SW_EUlSV_E_NS1_11comp_targetILNS1_3genE9ELNS1_11target_archE1100ELNS1_3gpuE3ELNS1_3repE0EEENS1_30default_config_static_selectorELNS0_4arch9wavefront6targetE0EEEvT1_
                                        ; -- End function
	.set _ZN7rocprim17ROCPRIM_400000_NS6detail17trampoline_kernelINS0_14default_configENS1_27scan_by_key_config_selectorIllEEZZNS1_16scan_by_key_implILNS1_25lookback_scan_determinismE0ELb0ES3_N6thrust23THRUST_200600_302600_NS16reverse_iteratorIPKlEESD_NSA_IPlEElN6hipcub16HIPCUB_304000_NS3MaxENSH_8EqualityElEE10hipError_tPvRmT2_T3_T4_T5_mT6_T7_P12ihipStream_tbENKUlT_T0_E_clISt17integral_constantIbLb0EESZ_IbLb1EEEEDaSV_SW_EUlSV_E_NS1_11comp_targetILNS1_3genE9ELNS1_11target_archE1100ELNS1_3gpuE3ELNS1_3repE0EEENS1_30default_config_static_selectorELNS0_4arch9wavefront6targetE0EEEvT1_.num_vgpr, 0
	.set _ZN7rocprim17ROCPRIM_400000_NS6detail17trampoline_kernelINS0_14default_configENS1_27scan_by_key_config_selectorIllEEZZNS1_16scan_by_key_implILNS1_25lookback_scan_determinismE0ELb0ES3_N6thrust23THRUST_200600_302600_NS16reverse_iteratorIPKlEESD_NSA_IPlEElN6hipcub16HIPCUB_304000_NS3MaxENSH_8EqualityElEE10hipError_tPvRmT2_T3_T4_T5_mT6_T7_P12ihipStream_tbENKUlT_T0_E_clISt17integral_constantIbLb0EESZ_IbLb1EEEEDaSV_SW_EUlSV_E_NS1_11comp_targetILNS1_3genE9ELNS1_11target_archE1100ELNS1_3gpuE3ELNS1_3repE0EEENS1_30default_config_static_selectorELNS0_4arch9wavefront6targetE0EEEvT1_.num_agpr, 0
	.set _ZN7rocprim17ROCPRIM_400000_NS6detail17trampoline_kernelINS0_14default_configENS1_27scan_by_key_config_selectorIllEEZZNS1_16scan_by_key_implILNS1_25lookback_scan_determinismE0ELb0ES3_N6thrust23THRUST_200600_302600_NS16reverse_iteratorIPKlEESD_NSA_IPlEElN6hipcub16HIPCUB_304000_NS3MaxENSH_8EqualityElEE10hipError_tPvRmT2_T3_T4_T5_mT6_T7_P12ihipStream_tbENKUlT_T0_E_clISt17integral_constantIbLb0EESZ_IbLb1EEEEDaSV_SW_EUlSV_E_NS1_11comp_targetILNS1_3genE9ELNS1_11target_archE1100ELNS1_3gpuE3ELNS1_3repE0EEENS1_30default_config_static_selectorELNS0_4arch9wavefront6targetE0EEEvT1_.numbered_sgpr, 0
	.set _ZN7rocprim17ROCPRIM_400000_NS6detail17trampoline_kernelINS0_14default_configENS1_27scan_by_key_config_selectorIllEEZZNS1_16scan_by_key_implILNS1_25lookback_scan_determinismE0ELb0ES3_N6thrust23THRUST_200600_302600_NS16reverse_iteratorIPKlEESD_NSA_IPlEElN6hipcub16HIPCUB_304000_NS3MaxENSH_8EqualityElEE10hipError_tPvRmT2_T3_T4_T5_mT6_T7_P12ihipStream_tbENKUlT_T0_E_clISt17integral_constantIbLb0EESZ_IbLb1EEEEDaSV_SW_EUlSV_E_NS1_11comp_targetILNS1_3genE9ELNS1_11target_archE1100ELNS1_3gpuE3ELNS1_3repE0EEENS1_30default_config_static_selectorELNS0_4arch9wavefront6targetE0EEEvT1_.num_named_barrier, 0
	.set _ZN7rocprim17ROCPRIM_400000_NS6detail17trampoline_kernelINS0_14default_configENS1_27scan_by_key_config_selectorIllEEZZNS1_16scan_by_key_implILNS1_25lookback_scan_determinismE0ELb0ES3_N6thrust23THRUST_200600_302600_NS16reverse_iteratorIPKlEESD_NSA_IPlEElN6hipcub16HIPCUB_304000_NS3MaxENSH_8EqualityElEE10hipError_tPvRmT2_T3_T4_T5_mT6_T7_P12ihipStream_tbENKUlT_T0_E_clISt17integral_constantIbLb0EESZ_IbLb1EEEEDaSV_SW_EUlSV_E_NS1_11comp_targetILNS1_3genE9ELNS1_11target_archE1100ELNS1_3gpuE3ELNS1_3repE0EEENS1_30default_config_static_selectorELNS0_4arch9wavefront6targetE0EEEvT1_.private_seg_size, 0
	.set _ZN7rocprim17ROCPRIM_400000_NS6detail17trampoline_kernelINS0_14default_configENS1_27scan_by_key_config_selectorIllEEZZNS1_16scan_by_key_implILNS1_25lookback_scan_determinismE0ELb0ES3_N6thrust23THRUST_200600_302600_NS16reverse_iteratorIPKlEESD_NSA_IPlEElN6hipcub16HIPCUB_304000_NS3MaxENSH_8EqualityElEE10hipError_tPvRmT2_T3_T4_T5_mT6_T7_P12ihipStream_tbENKUlT_T0_E_clISt17integral_constantIbLb0EESZ_IbLb1EEEEDaSV_SW_EUlSV_E_NS1_11comp_targetILNS1_3genE9ELNS1_11target_archE1100ELNS1_3gpuE3ELNS1_3repE0EEENS1_30default_config_static_selectorELNS0_4arch9wavefront6targetE0EEEvT1_.uses_vcc, 0
	.set _ZN7rocprim17ROCPRIM_400000_NS6detail17trampoline_kernelINS0_14default_configENS1_27scan_by_key_config_selectorIllEEZZNS1_16scan_by_key_implILNS1_25lookback_scan_determinismE0ELb0ES3_N6thrust23THRUST_200600_302600_NS16reverse_iteratorIPKlEESD_NSA_IPlEElN6hipcub16HIPCUB_304000_NS3MaxENSH_8EqualityElEE10hipError_tPvRmT2_T3_T4_T5_mT6_T7_P12ihipStream_tbENKUlT_T0_E_clISt17integral_constantIbLb0EESZ_IbLb1EEEEDaSV_SW_EUlSV_E_NS1_11comp_targetILNS1_3genE9ELNS1_11target_archE1100ELNS1_3gpuE3ELNS1_3repE0EEENS1_30default_config_static_selectorELNS0_4arch9wavefront6targetE0EEEvT1_.uses_flat_scratch, 0
	.set _ZN7rocprim17ROCPRIM_400000_NS6detail17trampoline_kernelINS0_14default_configENS1_27scan_by_key_config_selectorIllEEZZNS1_16scan_by_key_implILNS1_25lookback_scan_determinismE0ELb0ES3_N6thrust23THRUST_200600_302600_NS16reverse_iteratorIPKlEESD_NSA_IPlEElN6hipcub16HIPCUB_304000_NS3MaxENSH_8EqualityElEE10hipError_tPvRmT2_T3_T4_T5_mT6_T7_P12ihipStream_tbENKUlT_T0_E_clISt17integral_constantIbLb0EESZ_IbLb1EEEEDaSV_SW_EUlSV_E_NS1_11comp_targetILNS1_3genE9ELNS1_11target_archE1100ELNS1_3gpuE3ELNS1_3repE0EEENS1_30default_config_static_selectorELNS0_4arch9wavefront6targetE0EEEvT1_.has_dyn_sized_stack, 0
	.set _ZN7rocprim17ROCPRIM_400000_NS6detail17trampoline_kernelINS0_14default_configENS1_27scan_by_key_config_selectorIllEEZZNS1_16scan_by_key_implILNS1_25lookback_scan_determinismE0ELb0ES3_N6thrust23THRUST_200600_302600_NS16reverse_iteratorIPKlEESD_NSA_IPlEElN6hipcub16HIPCUB_304000_NS3MaxENSH_8EqualityElEE10hipError_tPvRmT2_T3_T4_T5_mT6_T7_P12ihipStream_tbENKUlT_T0_E_clISt17integral_constantIbLb0EESZ_IbLb1EEEEDaSV_SW_EUlSV_E_NS1_11comp_targetILNS1_3genE9ELNS1_11target_archE1100ELNS1_3gpuE3ELNS1_3repE0EEENS1_30default_config_static_selectorELNS0_4arch9wavefront6targetE0EEEvT1_.has_recursion, 0
	.set _ZN7rocprim17ROCPRIM_400000_NS6detail17trampoline_kernelINS0_14default_configENS1_27scan_by_key_config_selectorIllEEZZNS1_16scan_by_key_implILNS1_25lookback_scan_determinismE0ELb0ES3_N6thrust23THRUST_200600_302600_NS16reverse_iteratorIPKlEESD_NSA_IPlEElN6hipcub16HIPCUB_304000_NS3MaxENSH_8EqualityElEE10hipError_tPvRmT2_T3_T4_T5_mT6_T7_P12ihipStream_tbENKUlT_T0_E_clISt17integral_constantIbLb0EESZ_IbLb1EEEEDaSV_SW_EUlSV_E_NS1_11comp_targetILNS1_3genE9ELNS1_11target_archE1100ELNS1_3gpuE3ELNS1_3repE0EEENS1_30default_config_static_selectorELNS0_4arch9wavefront6targetE0EEEvT1_.has_indirect_call, 0
	.section	.AMDGPU.csdata,"",@progbits
; Kernel info:
; codeLenInByte = 0
; TotalNumSgprs: 0
; NumVgprs: 0
; ScratchSize: 0
; MemoryBound: 0
; FloatMode: 240
; IeeeMode: 1
; LDSByteSize: 0 bytes/workgroup (compile time only)
; SGPRBlocks: 0
; VGPRBlocks: 0
; NumSGPRsForWavesPerEU: 1
; NumVGPRsForWavesPerEU: 1
; Occupancy: 16
; WaveLimiterHint : 0
; COMPUTE_PGM_RSRC2:SCRATCH_EN: 0
; COMPUTE_PGM_RSRC2:USER_SGPR: 6
; COMPUTE_PGM_RSRC2:TRAP_HANDLER: 0
; COMPUTE_PGM_RSRC2:TGID_X_EN: 1
; COMPUTE_PGM_RSRC2:TGID_Y_EN: 0
; COMPUTE_PGM_RSRC2:TGID_Z_EN: 0
; COMPUTE_PGM_RSRC2:TIDIG_COMP_CNT: 0
	.section	.text._ZN7rocprim17ROCPRIM_400000_NS6detail17trampoline_kernelINS0_14default_configENS1_27scan_by_key_config_selectorIllEEZZNS1_16scan_by_key_implILNS1_25lookback_scan_determinismE0ELb0ES3_N6thrust23THRUST_200600_302600_NS16reverse_iteratorIPKlEESD_NSA_IPlEElN6hipcub16HIPCUB_304000_NS3MaxENSH_8EqualityElEE10hipError_tPvRmT2_T3_T4_T5_mT6_T7_P12ihipStream_tbENKUlT_T0_E_clISt17integral_constantIbLb0EESZ_IbLb1EEEEDaSV_SW_EUlSV_E_NS1_11comp_targetILNS1_3genE8ELNS1_11target_archE1030ELNS1_3gpuE2ELNS1_3repE0EEENS1_30default_config_static_selectorELNS0_4arch9wavefront6targetE0EEEvT1_,"axG",@progbits,_ZN7rocprim17ROCPRIM_400000_NS6detail17trampoline_kernelINS0_14default_configENS1_27scan_by_key_config_selectorIllEEZZNS1_16scan_by_key_implILNS1_25lookback_scan_determinismE0ELb0ES3_N6thrust23THRUST_200600_302600_NS16reverse_iteratorIPKlEESD_NSA_IPlEElN6hipcub16HIPCUB_304000_NS3MaxENSH_8EqualityElEE10hipError_tPvRmT2_T3_T4_T5_mT6_T7_P12ihipStream_tbENKUlT_T0_E_clISt17integral_constantIbLb0EESZ_IbLb1EEEEDaSV_SW_EUlSV_E_NS1_11comp_targetILNS1_3genE8ELNS1_11target_archE1030ELNS1_3gpuE2ELNS1_3repE0EEENS1_30default_config_static_selectorELNS0_4arch9wavefront6targetE0EEEvT1_,comdat
	.protected	_ZN7rocprim17ROCPRIM_400000_NS6detail17trampoline_kernelINS0_14default_configENS1_27scan_by_key_config_selectorIllEEZZNS1_16scan_by_key_implILNS1_25lookback_scan_determinismE0ELb0ES3_N6thrust23THRUST_200600_302600_NS16reverse_iteratorIPKlEESD_NSA_IPlEElN6hipcub16HIPCUB_304000_NS3MaxENSH_8EqualityElEE10hipError_tPvRmT2_T3_T4_T5_mT6_T7_P12ihipStream_tbENKUlT_T0_E_clISt17integral_constantIbLb0EESZ_IbLb1EEEEDaSV_SW_EUlSV_E_NS1_11comp_targetILNS1_3genE8ELNS1_11target_archE1030ELNS1_3gpuE2ELNS1_3repE0EEENS1_30default_config_static_selectorELNS0_4arch9wavefront6targetE0EEEvT1_ ; -- Begin function _ZN7rocprim17ROCPRIM_400000_NS6detail17trampoline_kernelINS0_14default_configENS1_27scan_by_key_config_selectorIllEEZZNS1_16scan_by_key_implILNS1_25lookback_scan_determinismE0ELb0ES3_N6thrust23THRUST_200600_302600_NS16reverse_iteratorIPKlEESD_NSA_IPlEElN6hipcub16HIPCUB_304000_NS3MaxENSH_8EqualityElEE10hipError_tPvRmT2_T3_T4_T5_mT6_T7_P12ihipStream_tbENKUlT_T0_E_clISt17integral_constantIbLb0EESZ_IbLb1EEEEDaSV_SW_EUlSV_E_NS1_11comp_targetILNS1_3genE8ELNS1_11target_archE1030ELNS1_3gpuE2ELNS1_3repE0EEENS1_30default_config_static_selectorELNS0_4arch9wavefront6targetE0EEEvT1_
	.globl	_ZN7rocprim17ROCPRIM_400000_NS6detail17trampoline_kernelINS0_14default_configENS1_27scan_by_key_config_selectorIllEEZZNS1_16scan_by_key_implILNS1_25lookback_scan_determinismE0ELb0ES3_N6thrust23THRUST_200600_302600_NS16reverse_iteratorIPKlEESD_NSA_IPlEElN6hipcub16HIPCUB_304000_NS3MaxENSH_8EqualityElEE10hipError_tPvRmT2_T3_T4_T5_mT6_T7_P12ihipStream_tbENKUlT_T0_E_clISt17integral_constantIbLb0EESZ_IbLb1EEEEDaSV_SW_EUlSV_E_NS1_11comp_targetILNS1_3genE8ELNS1_11target_archE1030ELNS1_3gpuE2ELNS1_3repE0EEENS1_30default_config_static_selectorELNS0_4arch9wavefront6targetE0EEEvT1_
	.p2align	8
	.type	_ZN7rocprim17ROCPRIM_400000_NS6detail17trampoline_kernelINS0_14default_configENS1_27scan_by_key_config_selectorIllEEZZNS1_16scan_by_key_implILNS1_25lookback_scan_determinismE0ELb0ES3_N6thrust23THRUST_200600_302600_NS16reverse_iteratorIPKlEESD_NSA_IPlEElN6hipcub16HIPCUB_304000_NS3MaxENSH_8EqualityElEE10hipError_tPvRmT2_T3_T4_T5_mT6_T7_P12ihipStream_tbENKUlT_T0_E_clISt17integral_constantIbLb0EESZ_IbLb1EEEEDaSV_SW_EUlSV_E_NS1_11comp_targetILNS1_3genE8ELNS1_11target_archE1030ELNS1_3gpuE2ELNS1_3repE0EEENS1_30default_config_static_selectorELNS0_4arch9wavefront6targetE0EEEvT1_,@function
_ZN7rocprim17ROCPRIM_400000_NS6detail17trampoline_kernelINS0_14default_configENS1_27scan_by_key_config_selectorIllEEZZNS1_16scan_by_key_implILNS1_25lookback_scan_determinismE0ELb0ES3_N6thrust23THRUST_200600_302600_NS16reverse_iteratorIPKlEESD_NSA_IPlEElN6hipcub16HIPCUB_304000_NS3MaxENSH_8EqualityElEE10hipError_tPvRmT2_T3_T4_T5_mT6_T7_P12ihipStream_tbENKUlT_T0_E_clISt17integral_constantIbLb0EESZ_IbLb1EEEEDaSV_SW_EUlSV_E_NS1_11comp_targetILNS1_3genE8ELNS1_11target_archE1030ELNS1_3gpuE2ELNS1_3repE0EEENS1_30default_config_static_selectorELNS0_4arch9wavefront6targetE0EEEvT1_: ; @_ZN7rocprim17ROCPRIM_400000_NS6detail17trampoline_kernelINS0_14default_configENS1_27scan_by_key_config_selectorIllEEZZNS1_16scan_by_key_implILNS1_25lookback_scan_determinismE0ELb0ES3_N6thrust23THRUST_200600_302600_NS16reverse_iteratorIPKlEESD_NSA_IPlEElN6hipcub16HIPCUB_304000_NS3MaxENSH_8EqualityElEE10hipError_tPvRmT2_T3_T4_T5_mT6_T7_P12ihipStream_tbENKUlT_T0_E_clISt17integral_constantIbLb0EESZ_IbLb1EEEEDaSV_SW_EUlSV_E_NS1_11comp_targetILNS1_3genE8ELNS1_11target_archE1030ELNS1_3gpuE2ELNS1_3repE0EEENS1_30default_config_static_selectorELNS0_4arch9wavefront6targetE0EEEvT1_
; %bb.0:
	s_clause 0x1
	s_load_dwordx8 s[20:27], s[4:5], 0x30
	s_load_dwordx2 s[34:35], s[4:5], 0x50
	v_cmp_ne_u32_e64 s1, 0, v0
	v_cmp_eq_u32_e64 s0, 0, v0
	s_and_saveexec_b32 s2, s0
	s_cbranch_execz .LBB175_4
; %bb.1:
	s_mov_b32 s6, exec_lo
	s_mov_b32 s3, exec_lo
	v_mbcnt_lo_u32_b32 v1, s6, 0
                                        ; implicit-def: $vgpr2
	v_cmpx_eq_u32_e32 0, v1
	s_cbranch_execz .LBB175_3
; %bb.2:
	s_load_dwordx2 s[8:9], s[4:5], 0x80
	s_bcnt1_i32_b32 s6, s6
	v_mov_b32_e32 v2, 0
	v_mov_b32_e32 v3, s6
	s_waitcnt lgkmcnt(0)
	global_atomic_add v2, v2, v3, s[8:9] glc
.LBB175_3:
	s_or_b32 exec_lo, exec_lo, s3
	s_waitcnt vmcnt(0)
	v_readfirstlane_b32 s3, v2
	v_mov_b32_e32 v2, 0
	v_add_nc_u32_e32 v1, s3, v1
	ds_write_b32 v2, v1
.LBB175_4:
	s_or_b32 exec_lo, exec_lo, s2
	v_mov_b32_e32 v1, 0
	s_clause 0x2
	s_load_dwordx8 s[12:19], s[4:5], 0x0
	s_load_dword s6, s[4:5], 0x58
	s_load_dwordx8 s[36:43], s[4:5], 0x60
	s_waitcnt lgkmcnt(0)
	s_barrier
	buffer_gl0_inv
	ds_read_b32 v1, v1
	s_mov_b32 s3, 0
	s_waitcnt lgkmcnt(0)
	s_barrier
	buffer_gl0_inv
	s_barrier
	buffer_gl0_inv
	s_sub_u32 s28, 0, s14
	s_subb_u32 s29, 0, s15
	s_lshl_b64 s[4:5], s[14:15], 3
	s_mul_i32 s2, s35, s6
	s_sub_u32 s8, s12, s4
	s_mul_hi_u32 s7, s34, s6
	v_readfirstlane_b32 s44, v1
	s_subb_u32 s9, s13, s5
	s_sub_u32 s10, s16, s4
	s_subb_u32 s11, s17, s5
	s_add_i32 s7, s7, s2
	s_cmp_eq_u64 s[40:41], 0
	s_mul_i32 s2, s44, 0xd00
	s_cselect_b32 s41, -1, 0
	s_sub_u32 s30, 0, s2
	s_subb_u32 s31, 0, 0
	s_lshl_b64 s[4:5], s[2:3], 3
	s_mul_i32 s2, s34, s6
	s_sub_u32 s45, s8, s4
	s_subb_u32 s46, s9, s5
	s_sub_u32 s15, s10, s4
	s_subb_u32 s40, s11, s5
	s_add_u32 s16, s2, s44
	s_addc_u32 s17, s7, 0
	s_add_u32 s4, s36, -1
	s_addc_u32 s5, s37, -1
	s_mul_i32 s33, s4, 0xfffff300
	v_cmp_ge_u64_e64 s27, s[16:17], s[4:5]
	s_and_b32 vcc_lo, exec_lo, s27
	s_cbranch_vccz .LBB175_45
; %bb.5:
	v_add_co_u32 v1, s2, -8, s45
	v_add_co_ci_u32_e64 v2, null, -1, s46, s2
	s_add_i32 s47, s33, s26
	s_add_u32 s36, s45, -8
	v_cmp_gt_u32_e32 vcc_lo, s47, v0
	flat_load_dwordx2 v[1:2], v[1:2]
	s_addc_u32 s37, s46, -1
	s_waitcnt vmcnt(0) lgkmcnt(0)
	v_mov_b32_e32 v4, v2
	v_mov_b32_e32 v3, v1
	s_and_saveexec_b32 s3, vcc_lo
	s_cbranch_execz .LBB175_7
; %bb.6:
	v_lshlrev_b32_e32 v3, 3, v0
	v_sub_co_u32 v3, s2, s45, v3
	v_sub_co_ci_u32_e64 v4, null, s46, 0, s2
	v_add_co_u32 v3, s2, -8, v3
	v_add_co_ci_u32_e64 v4, null, -1, v4, s2
	flat_load_dwordx2 v[3:4], v[3:4]
.LBB175_7:
	s_or_b32 exec_lo, exec_lo, s3
	v_or_b32_e32 v5, 0x100, v0
	v_cmp_gt_u32_e64 s2, s47, v5
	v_lshlrev_b32_e32 v27, 3, v5
	v_mov_b32_e32 v6, v2
	v_mov_b32_e32 v5, v1
	s_and_saveexec_b32 s4, s2
	s_cbranch_execz .LBB175_9
; %bb.8:
	v_sub_co_u32 v5, s3, s45, v27
	v_sub_co_ci_u32_e64 v6, null, s46, 0, s3
	v_add_co_u32 v5, s3, -8, v5
	v_add_co_ci_u32_e64 v6, null, -1, v6, s3
	flat_load_dwordx2 v[5:6], v[5:6]
.LBB175_9:
	s_or_b32 exec_lo, exec_lo, s4
	v_or_b32_e32 v7, 0x200, v0
	v_cmp_gt_u32_e64 s3, s47, v7
	v_lshlrev_b32_e32 v28, 3, v7
	v_mov_b32_e32 v8, v2
	v_mov_b32_e32 v7, v1
	s_and_saveexec_b32 s5, s3
	s_cbranch_execz .LBB175_11
; %bb.10:
	v_sub_co_u32 v7, s4, s45, v28
	v_sub_co_ci_u32_e64 v8, null, s46, 0, s4
	v_add_co_u32 v7, s4, -8, v7
	v_add_co_ci_u32_e64 v8, null, -1, v8, s4
	flat_load_dwordx2 v[7:8], v[7:8]
.LBB175_11:
	;; [unrolled: 15-line block ×11, first 2 shown]
	s_or_b32 exec_lo, exec_lo, s14
	v_or_b32_e32 v38, 0xc00, v0
	v_cmp_gt_u32_e64 s13, s47, v38
	v_lshlrev_b32_e32 v38, 3, v38
	s_and_saveexec_b32 s48, s13
	s_cbranch_execz .LBB175_31
; %bb.30:
	v_sub_co_u32 v1, s14, s45, v38
	v_sub_co_ci_u32_e64 v2, null, s46, 0, s14
	v_add_co_u32 v1, s14, -8, v1
	v_add_co_ci_u32_e64 v2, null, -1, v2, s14
	flat_load_dwordx2 v[1:2], v[1:2]
.LBB175_31:
	s_or_b32 exec_lo, exec_lo, s48
	s_lshl_b64 s[48:49], s[16:17], 3
	v_lshlrev_b32_e32 v39, 3, v0
	s_add_u32 s14, s42, s48
	s_addc_u32 s48, s43, s49
	s_add_u32 s14, s14, -8
	s_addc_u32 s48, s48, -1
	s_and_b32 s49, s41, exec_lo
	s_cselect_b32 s14, s45, s14
	s_cselect_b32 s48, s46, s48
	s_cmp_eq_u64 s[16:17], 0
	s_waitcnt vmcnt(0) lgkmcnt(0)
	ds_write2st64_b64 v39, v[3:4], v[5:6] offset1:4
	ds_write2st64_b64 v39, v[7:8], v[9:10] offset0:8 offset1:12
	ds_write2st64_b64 v39, v[11:12], v[13:14] offset0:16 offset1:20
	;; [unrolled: 1-line block ×4, first 2 shown]
	s_cselect_b32 s14, s36, s14
	s_cselect_b32 s36, s37, s48
	v_mov_b32_e32 v3, s14
	v_mov_b32_e32 v4, s36
	ds_write2st64_b64 v39, v[23:24], v[25:26] offset0:40 offset1:44
	ds_write_b64 v39, v[1:2] offset:24576
	s_waitcnt lgkmcnt(0)
	s_barrier
	buffer_gl0_inv
	flat_load_dwordx2 v[11:12], v[3:4]
	v_mad_u32_u24 v95, 0x60, v0, v39
	ds_read2_b64 v[67:70], v95 offset1:1
	ds_read2_b64 v[63:66], v95 offset0:2 offset1:3
	ds_read_b64 v[73:74], v95 offset:96
	ds_read2_b64 v[59:62], v95 offset0:4 offset1:5
	ds_read2_b64 v[55:58], v95 offset0:6 offset1:7
	;; [unrolled: 1-line block ×4, first 2 shown]
	v_mad_i32_i24 v1, 0xffffffa0, v0, v95
	s_waitcnt lgkmcnt(4)
	ds_write_b64 v1, v[73:74] offset:26624
	s_waitcnt vmcnt(0) lgkmcnt(0)
	s_barrier
	buffer_gl0_inv
	s_and_saveexec_b32 s14, s1
; %bb.32:
	v_mul_i32_i24_e32 v1, 0xffffffa0, v0
	v_add_nc_u32_e32 v1, v95, v1
	ds_read_b64 v[11:12], v1 offset:26616
; %bb.33:
	s_or_b32 exec_lo, exec_lo, s14
	s_waitcnt lgkmcnt(0)
	s_barrier
	buffer_gl0_inv
                                        ; implicit-def: $vgpr1_vgpr2
	s_and_saveexec_b32 s14, vcc_lo
	s_cbranch_execz .LBB175_46
; %bb.34:
	v_sub_co_u32 v1, s36, s15, v39
	v_sub_co_ci_u32_e64 v2, null, s40, 0, s36
	v_add_co_u32 v1, vcc_lo, -8, v1
	v_add_co_ci_u32_e64 v2, null, -1, v2, vcc_lo
	flat_load_dwordx2 v[1:2], v[1:2]
	s_or_b32 exec_lo, exec_lo, s14
                                        ; implicit-def: $vgpr3_vgpr4
	s_and_saveexec_b32 s14, s2
	s_cbranch_execnz .LBB175_47
.LBB175_35:
	s_or_b32 exec_lo, exec_lo, s14
                                        ; implicit-def: $vgpr5_vgpr6
	s_and_saveexec_b32 s2, s3
	s_cbranch_execz .LBB175_48
.LBB175_36:
	v_sub_co_u32 v5, s3, s15, v28
	v_sub_co_ci_u32_e64 v6, null, s40, 0, s3
	v_add_co_u32 v5, vcc_lo, -8, v5
	v_add_co_ci_u32_e64 v6, null, -1, v6, vcc_lo
	flat_load_dwordx2 v[5:6], v[5:6]
	s_or_b32 exec_lo, exec_lo, s2
                                        ; implicit-def: $vgpr7_vgpr8
	s_and_saveexec_b32 s2, s4
	s_cbranch_execnz .LBB175_49
.LBB175_37:
	s_or_b32 exec_lo, exec_lo, s2
                                        ; implicit-def: $vgpr9_vgpr10
	s_and_saveexec_b32 s2, s5
	s_cbranch_execz .LBB175_50
.LBB175_38:
	v_sub_co_u32 v9, s3, s15, v30
	v_sub_co_ci_u32_e64 v10, null, s40, 0, s3
	v_add_co_u32 v9, vcc_lo, -8, v9
	v_add_co_ci_u32_e64 v10, null, -1, v10, vcc_lo
	flat_load_dwordx2 v[9:10], v[9:10]
	s_or_b32 exec_lo, exec_lo, s2
                                        ; implicit-def: $vgpr13_vgpr14
	s_and_saveexec_b32 s2, s6
	s_cbranch_execnz .LBB175_51
.LBB175_39:
	s_or_b32 exec_lo, exec_lo, s2
                                        ; implicit-def: $vgpr15_vgpr16
	s_and_saveexec_b32 s2, s7
	s_cbranch_execz .LBB175_52
.LBB175_40:
	v_sub_co_u32 v15, s3, s15, v32
	v_sub_co_ci_u32_e64 v16, null, s40, 0, s3
	v_add_co_u32 v15, vcc_lo, -8, v15
	v_add_co_ci_u32_e64 v16, null, -1, v16, vcc_lo
	flat_load_dwordx2 v[15:16], v[15:16]
	s_or_b32 exec_lo, exec_lo, s2
                                        ; implicit-def: $vgpr17_vgpr18
	s_and_saveexec_b32 s2, s8
	s_cbranch_execnz .LBB175_53
.LBB175_41:
	s_or_b32 exec_lo, exec_lo, s2
                                        ; implicit-def: $vgpr19_vgpr20
	s_and_saveexec_b32 s2, s9
	s_cbranch_execz .LBB175_54
.LBB175_42:
	v_sub_co_u32 v19, s3, s15, v34
	v_sub_co_ci_u32_e64 v20, null, s40, 0, s3
	v_add_co_u32 v19, vcc_lo, -8, v19
	v_add_co_ci_u32_e64 v20, null, -1, v20, vcc_lo
	flat_load_dwordx2 v[19:20], v[19:20]
	s_or_b32 exec_lo, exec_lo, s2
                                        ; implicit-def: $vgpr21_vgpr22
	s_and_saveexec_b32 s2, s10
	s_cbranch_execnz .LBB175_55
.LBB175_43:
	s_or_b32 exec_lo, exec_lo, s2
                                        ; implicit-def: $vgpr23_vgpr24
	s_and_saveexec_b32 s2, s11
	s_cbranch_execz .LBB175_56
.LBB175_44:
	v_sub_co_u32 v23, s3, s15, v36
	v_sub_co_ci_u32_e64 v24, null, s40, 0, s3
	v_add_co_u32 v23, vcc_lo, -8, v23
	v_add_co_ci_u32_e64 v24, null, -1, v24, vcc_lo
	flat_load_dwordx2 v[23:24], v[23:24]
	s_or_b32 exec_lo, exec_lo, s2
                                        ; implicit-def: $vgpr25_vgpr26
	s_and_saveexec_b32 s2, s12
	s_cbranch_execz .LBB175_58
	s_branch .LBB175_57
.LBB175_45:
                                        ; implicit-def: $sgpr36
                                        ; implicit-def: $vgpr37_vgpr38
                                        ; implicit-def: $vgpr87
                                        ; implicit-def: $vgpr5_vgpr6
                                        ; implicit-def: $vgpr88
                                        ; implicit-def: $vgpr31_vgpr32
                                        ; implicit-def: $vgpr89
                                        ; implicit-def: $vgpr90
                                        ; implicit-def: $vgpr35_vgpr36
                                        ; implicit-def: $vgpr91
                                        ; implicit-def: $vgpr92
                                        ; implicit-def: $vgpr41_vgpr42
                                        ; implicit-def: $vgpr93
                                        ; implicit-def: $vgpr94
                                        ; implicit-def: $vgpr49_vgpr50
                                        ; implicit-def: $vgpr96
                                        ; implicit-def: $vgpr97
                                        ; implicit-def: $vgpr3_vgpr4
                                        ; implicit-def: $vgpr99
                                        ; implicit-def: $vgpr75
                                        ; implicit-def: $vgpr77
                                        ; implicit-def: $vgpr71_vgpr72
                                        ; implicit-def: $vgpr76
                                        ; implicit-def: $vgpr21_vgpr22
                                        ; implicit-def: $vgpr78
                                        ; implicit-def: $vgpr23_vgpr24
                                        ; implicit-def: $vgpr79
                                        ; implicit-def: $vgpr25_vgpr26
                                        ; implicit-def: $vgpr80
                                        ; implicit-def: $vgpr27_vgpr28
                                        ; implicit-def: $vgpr82
                                        ; implicit-def: $vgpr17_vgpr18
                                        ; implicit-def: $vgpr83
                                        ; implicit-def: $vgpr19_vgpr20
                                        ; implicit-def: $vgpr84
                                        ; implicit-def: $vgpr13_vgpr14
                                        ; implicit-def: $vgpr85
                                        ; implicit-def: $vgpr15_vgpr16
                                        ; implicit-def: $vgpr86
                                        ; implicit-def: $vgpr9_vgpr10
                                        ; implicit-def: $vgpr81
	v_lshlrev_b32_e32 v55, 3, v0
	s_cbranch_execz .LBB175_88
	s_branch .LBB175_85
.LBB175_46:
	s_or_b32 exec_lo, exec_lo, s14
                                        ; implicit-def: $vgpr3_vgpr4
	s_and_saveexec_b32 s14, s2
	s_cbranch_execz .LBB175_35
.LBB175_47:
	v_sub_co_u32 v3, s2, s15, v27
	v_sub_co_ci_u32_e64 v4, null, s40, 0, s2
	v_add_co_u32 v3, vcc_lo, -8, v3
	v_add_co_ci_u32_e64 v4, null, -1, v4, vcc_lo
	flat_load_dwordx2 v[3:4], v[3:4]
	s_or_b32 exec_lo, exec_lo, s14
                                        ; implicit-def: $vgpr5_vgpr6
	s_and_saveexec_b32 s2, s3
	s_cbranch_execnz .LBB175_36
.LBB175_48:
	s_or_b32 exec_lo, exec_lo, s2
                                        ; implicit-def: $vgpr7_vgpr8
	s_and_saveexec_b32 s2, s4
	s_cbranch_execz .LBB175_37
.LBB175_49:
	v_sub_co_u32 v7, s3, s15, v29
	v_sub_co_ci_u32_e64 v8, null, s40, 0, s3
	v_add_co_u32 v7, vcc_lo, -8, v7
	v_add_co_ci_u32_e64 v8, null, -1, v8, vcc_lo
	flat_load_dwordx2 v[7:8], v[7:8]
	s_or_b32 exec_lo, exec_lo, s2
                                        ; implicit-def: $vgpr9_vgpr10
	s_and_saveexec_b32 s2, s5
	s_cbranch_execnz .LBB175_38
.LBB175_50:
	s_or_b32 exec_lo, exec_lo, s2
                                        ; implicit-def: $vgpr13_vgpr14
	s_and_saveexec_b32 s2, s6
	s_cbranch_execz .LBB175_39
.LBB175_51:
	v_sub_co_u32 v13, s3, s15, v31
	v_sub_co_ci_u32_e64 v14, null, s40, 0, s3
	v_add_co_u32 v13, vcc_lo, -8, v13
	v_add_co_ci_u32_e64 v14, null, -1, v14, vcc_lo
	flat_load_dwordx2 v[13:14], v[13:14]
	s_or_b32 exec_lo, exec_lo, s2
                                        ; implicit-def: $vgpr15_vgpr16
	s_and_saveexec_b32 s2, s7
	s_cbranch_execnz .LBB175_40
.LBB175_52:
	s_or_b32 exec_lo, exec_lo, s2
                                        ; implicit-def: $vgpr17_vgpr18
	s_and_saveexec_b32 s2, s8
	s_cbranch_execz .LBB175_41
.LBB175_53:
	v_sub_co_u32 v17, s3, s15, v33
	v_sub_co_ci_u32_e64 v18, null, s40, 0, s3
	v_add_co_u32 v17, vcc_lo, -8, v17
	v_add_co_ci_u32_e64 v18, null, -1, v18, vcc_lo
	flat_load_dwordx2 v[17:18], v[17:18]
	s_or_b32 exec_lo, exec_lo, s2
                                        ; implicit-def: $vgpr19_vgpr20
	s_and_saveexec_b32 s2, s9
	s_cbranch_execnz .LBB175_42
.LBB175_54:
	s_or_b32 exec_lo, exec_lo, s2
                                        ; implicit-def: $vgpr21_vgpr22
	s_and_saveexec_b32 s2, s10
	s_cbranch_execz .LBB175_43
.LBB175_55:
	v_sub_co_u32 v21, s3, s15, v35
	v_sub_co_ci_u32_e64 v22, null, s40, 0, s3
	v_add_co_u32 v21, vcc_lo, -8, v21
	v_add_co_ci_u32_e64 v22, null, -1, v22, vcc_lo
	flat_load_dwordx2 v[21:22], v[21:22]
	s_or_b32 exec_lo, exec_lo, s2
                                        ; implicit-def: $vgpr23_vgpr24
	s_and_saveexec_b32 s2, s11
	s_cbranch_execnz .LBB175_44
.LBB175_56:
	s_or_b32 exec_lo, exec_lo, s2
                                        ; implicit-def: $vgpr25_vgpr26
	s_and_saveexec_b32 s2, s12
	s_cbranch_execz .LBB175_58
.LBB175_57:
	v_sub_co_u32 v25, s3, s15, v37
	v_sub_co_ci_u32_e64 v26, null, s40, 0, s3
	v_add_co_u32 v25, vcc_lo, -8, v25
	v_add_co_ci_u32_e64 v26, null, -1, v26, vcc_lo
	flat_load_dwordx2 v[25:26], v[25:26]
.LBB175_58:
	s_or_b32 exec_lo, exec_lo, s2
	v_mul_u32_u24_e32 v98, 13, v0
                                        ; implicit-def: $vgpr27_vgpr28
	s_and_saveexec_b32 s2, s13
	s_cbranch_execz .LBB175_60
; %bb.59:
	v_sub_co_u32 v27, s3, s15, v38
	v_sub_co_ci_u32_e64 v28, null, s40, 0, s3
	v_add_co_u32 v27, vcc_lo, -8, v27
	v_add_co_ci_u32_e64 v28, null, -1, v28, vcc_lo
	flat_load_dwordx2 v[27:28], v[27:28]
.LBB175_60:
	s_or_b32 exec_lo, exec_lo, s2
	s_waitcnt vmcnt(0) lgkmcnt(0)
	ds_write2st64_b64 v39, v[1:2], v[3:4] offset1:4
	ds_write2st64_b64 v39, v[5:6], v[7:8] offset0:8 offset1:12
	ds_write2st64_b64 v39, v[9:10], v[13:14] offset0:16 offset1:20
	ds_write2st64_b64 v39, v[15:16], v[17:18] offset0:24 offset1:28
	ds_write2st64_b64 v39, v[19:20], v[21:22] offset0:32 offset1:36
	ds_write2st64_b64 v39, v[23:24], v[25:26] offset0:40 offset1:44
	ds_write_b64 v39, v[27:28] offset:24576
	v_mov_b32_e32 v5, 0
	v_mov_b32_e32 v31, 0
	;; [unrolled: 1-line block ×22, first 2 shown]
	v_cmp_gt_u32_e32 vcc_lo, s47, v98
	v_mov_b32_e32 v6, 0
	v_mov_b32_e32 v87, 0
	v_mov_b32_e32 v88, 0
	v_mov_b32_e32 v32, 0
	v_mov_b32_e32 v89, 0
	v_mov_b32_e32 v30, 0
	v_mov_b32_e32 v90, 0
	v_mov_b32_e32 v36, 0
	v_mov_b32_e32 v91, 0
	v_mov_b32_e32 v34, 0
	v_mov_b32_e32 v92, 0
	v_mov_b32_e32 v42, 0
	v_mov_b32_e32 v93, 0
	v_mov_b32_e32 v40, 0
	v_mov_b32_e32 v94, 0
	v_mov_b32_e32 v50, 0
	v_mov_b32_e32 v96, 0
	v_mov_b32_e32 v48, 0
	v_mov_b32_e32 v97, 0
	v_mov_b32_e32 v4, 0
	v_mov_b32_e32 v99, 0
	v_mov_b32_e32 v2, 0
	v_mov_b32_e32 v75, 0
	v_mov_b32_e32 v8, 0
	v_mov_b32_e32 v77, 0
	v_mov_b32_e32 v72, 0
	v_mov_b32_e32 v76, 0
	v_mov_b32_e32 v22, 0
	v_mov_b32_e32 v78, 0
	v_mov_b32_e32 v24, 0
	v_mov_b32_e32 v79, 0
	v_mov_b32_e32 v26, 0
	v_mov_b32_e32 v80, 0
	v_mov_b32_e32 v28, 0
	v_mov_b32_e32 v82, 0
	v_mov_b32_e32 v18, 0
	v_mov_b32_e32 v83, 0
	v_mov_b32_e32 v20, 0
	v_mov_b32_e32 v84, 0
	v_mov_b32_e32 v14, 0
	v_mov_b32_e32 v85, 0
	v_mov_b32_e32 v16, 0
	v_mov_b32_e32 v86, 0
	v_mov_b32_e32 v10, 0
	v_mov_b32_e32 v81, 0
	s_mov_b32 s14, 0
	s_mov_b32 s3, 0
	s_waitcnt lgkmcnt(0)
	s_barrier
	buffer_gl0_inv
                                        ; implicit-def: $sgpr36
                                        ; implicit-def: $vgpr37_vgpr38
	s_and_saveexec_b32 s37, vcc_lo
	s_cbranch_execz .LBB175_84
; %bb.61:
	ds_read_b64 v[1:2], v95
	v_add_nc_u32_e32 v3, 1, v98
	v_mov_b32_e32 v5, 0
	v_mov_b32_e32 v31, 0
	;; [unrolled: 1-line block ×4, first 2 shown]
	v_cmp_gt_u32_e64 s2, s47, v3
	v_mov_b32_e32 v33, 0
	v_mov_b32_e32 v41, 0
	;; [unrolled: 1-line block ×59, first 2 shown]
	v_cmp_ne_u64_e32 vcc_lo, v[11:12], v[67:68]
                                        ; implicit-def: $sgpr36
                                        ; implicit-def: $vgpr37_vgpr38
	s_and_saveexec_b32 s48, s2
	s_cbranch_execz .LBB175_83
; %bb.62:
	ds_read2_b64 v[9:12], v95 offset0:1 offset1:2
	v_add_nc_u32_e32 v3, 2, v98
	v_cmp_ne_u64_e64 s2, v[67:68], v[69:70]
	v_mov_b32_e32 v5, 0
	v_mov_b32_e32 v31, 0
	;; [unrolled: 1-line block ×21, first 2 shown]
	v_cmp_gt_u32_e64 s3, s47, v3
	v_mov_b32_e32 v88, 0
	v_mov_b32_e32 v32, 0
	;; [unrolled: 1-line block ×36, first 2 shown]
	s_mov_b32 s4, 0
                                        ; implicit-def: $sgpr36
                                        ; implicit-def: $vgpr37_vgpr38
	s_and_saveexec_b32 s49, s3
	s_cbranch_execz .LBB175_82
; %bb.63:
	v_add_nc_u32_e32 v3, 3, v98
	v_cmp_ne_u64_e64 s3, v[69:70], v[63:64]
	v_mov_b32_e32 v5, 0
	v_mov_b32_e32 v31, 0
	v_mov_b32_e32 v29, 0
	v_mov_b32_e32 v35, 0
	v_mov_b32_e32 v33, 0
	v_mov_b32_e32 v41, 0
	v_mov_b32_e32 v39, 0
	v_mov_b32_e32 v49, 0
	v_mov_b32_e32 v7, 0
	v_mov_b32_e32 v71, 0
	v_mov_b32_e32 v21, 0
	v_mov_b32_e32 v23, 0
	v_mov_b32_e32 v25, 0
	v_mov_b32_e32 v27, 0
	v_mov_b32_e32 v17, 0
	v_mov_b32_e32 v19, 0
	v_mov_b32_e32 v13, 0
	v_mov_b32_e32 v6, 0
	v_mov_b32_e32 v87, 0
	v_mov_b32_e32 v88, 0
	v_cmp_gt_u32_e64 s4, s47, v3
	v_mov_b32_e32 v32, 0
	v_mov_b32_e32 v89, 0
	;; [unrolled: 1-line block ×31, first 2 shown]
	s_mov_b32 s5, 0
                                        ; implicit-def: $sgpr36
                                        ; implicit-def: $vgpr37_vgpr38
	s_and_saveexec_b32 s50, s4
	s_cbranch_execz .LBB175_81
; %bb.64:
	ds_read2_b64 v[13:16], v95 offset0:3 offset1:4
	v_add_nc_u32_e32 v3, 4, v98
	v_cmp_ne_u64_e64 s4, v[63:64], v[65:66]
	v_mov_b32_e32 v5, 0
	v_mov_b32_e32 v31, 0
	;; [unrolled: 1-line block ×17, first 2 shown]
	v_cmp_gt_u32_e64 s5, s47, v3
	v_mov_b32_e32 v88, 0
	v_mov_b32_e32 v32, 0
	;; [unrolled: 1-line block ×28, first 2 shown]
	s_mov_b32 s6, 0
                                        ; implicit-def: $sgpr36
                                        ; implicit-def: $vgpr37_vgpr38
	s_and_saveexec_b32 s51, s5
	s_cbranch_execz .LBB175_80
; %bb.65:
	v_add_nc_u32_e32 v3, 5, v98
	v_cmp_ne_u64_e64 s5, v[65:66], v[59:60]
	v_mov_b32_e32 v5, 0
	v_mov_b32_e32 v31, 0
	;; [unrolled: 1-line block ×16, first 2 shown]
	v_cmp_gt_u32_e64 s6, s47, v3
	v_mov_b32_e32 v32, 0
	v_mov_b32_e32 v89, 0
	;; [unrolled: 1-line block ×23, first 2 shown]
	s_mov_b32 s7, 0
                                        ; implicit-def: $sgpr36
                                        ; implicit-def: $vgpr37_vgpr38
	s_and_saveexec_b32 s52, s6
	s_cbranch_execz .LBB175_79
; %bb.66:
	ds_read2_b64 v[17:20], v95 offset0:5 offset1:6
	v_add_nc_u32_e32 v3, 6, v98
	v_cmp_ne_u64_e64 s6, v[59:60], v[61:62]
	v_mov_b32_e32 v5, 0
	v_mov_b32_e32 v31, 0
	;; [unrolled: 1-line block ×13, first 2 shown]
	v_cmp_gt_u32_e64 s7, s47, v3
	v_mov_b32_e32 v88, 0
	v_mov_b32_e32 v32, 0
	;; [unrolled: 1-line block ×20, first 2 shown]
	s_mov_b32 s8, 0
                                        ; implicit-def: $sgpr36
                                        ; implicit-def: $vgpr37_vgpr38
	s_and_saveexec_b32 s53, s7
	s_cbranch_execz .LBB175_78
; %bb.67:
	v_cmp_ne_u64_e64 s7, v[61:62], v[55:56]
	v_mov_b32_e32 v5, 0
	v_mov_b32_e32 v31, 0
	;; [unrolled: 1-line block ×9, first 2 shown]
	v_add_nc_u32_e32 v3, 7, v98
	v_mov_b32_e32 v6, 0
	v_mov_b32_e32 v87, 0
	;; [unrolled: 1-line block ×18, first 2 shown]
	s_mov_b32 s9, 0
	s_mov_b32 s54, exec_lo
                                        ; implicit-def: $sgpr36
                                        ; implicit-def: $vgpr37_vgpr38
	v_cmpx_gt_u32_e64 s47, v3
	s_cbranch_execz .LBB175_77
; %bb.68:
	ds_read2_b64 v[25:28], v95 offset0:7 offset1:8
	v_cmp_ne_u64_e64 s8, v[55:56], v[57:58]
	v_mov_b32_e32 v5, 0
	v_mov_b32_e32 v31, 0
	;; [unrolled: 1-line block ×7, first 2 shown]
	v_add_nc_u32_e32 v3, 8, v98
	v_mov_b32_e32 v6, 0
	v_mov_b32_e32 v87, 0
	v_mov_b32_e32 v88, 0
	v_mov_b32_e32 v32, 0
	v_mov_b32_e32 v89, 0
	v_mov_b32_e32 v30, 0
	v_mov_b32_e32 v75, 0
	v_mov_b32_e32 v8, 0
	v_mov_b32_e32 v77, 0
	v_mov_b32_e32 v72, 0
	v_mov_b32_e32 v76, 0
	v_mov_b32_e32 v22, 0
	v_mov_b32_e32 v24, 0
	v_mov_b32_e32 v78, 0
	s_mov_b32 s10, 0
	s_mov_b32 s55, exec_lo
                                        ; implicit-def: $sgpr36
                                        ; implicit-def: $vgpr37_vgpr38
	v_cmpx_gt_u32_e64 s47, v3
	s_cbranch_execz .LBB175_76
; %bb.69:
	v_cmp_ne_u64_e64 s9, v[57:58], v[51:52]
	v_mov_b32_e32 v5, 0
	v_mov_b32_e32 v31, 0
	;; [unrolled: 1-line block ×5, first 2 shown]
	v_add_nc_u32_e32 v3, 9, v98
	v_mov_b32_e32 v6, 0
	v_mov_b32_e32 v87, 0
	;; [unrolled: 1-line block ×9, first 2 shown]
	s_mov_b32 s11, 0
	s_mov_b32 s56, exec_lo
                                        ; implicit-def: $sgpr36
                                        ; implicit-def: $vgpr37_vgpr38
	v_cmpx_gt_u32_e64 s47, v3
	s_cbranch_execz .LBB175_75
; %bb.70:
	ds_read2_b64 v[21:24], v95 offset0:9 offset1:10
	v_cmp_ne_u64_e64 s10, v[51:52], v[53:54]
	v_mov_b32_e32 v5, 0
	v_mov_b32_e32 v7, 0
	;; [unrolled: 1-line block ×3, first 2 shown]
	v_add_nc_u32_e32 v3, 10, v98
	v_mov_b32_e32 v6, 0
	v_mov_b32_e32 v87, 0
	v_mov_b32_e32 v8, 0
	v_mov_b32_e32 v72, 0
	v_mov_b32_e32 v75, 0
	s_mov_b32 s12, 0
	s_mov_b32 s57, exec_lo
                                        ; implicit-def: $sgpr36
                                        ; implicit-def: $vgpr37_vgpr38
	v_cmpx_gt_u32_e64 s47, v3
	s_cbranch_execz .LBB175_74
; %bb.71:
	v_cmp_ne_u64_e64 s11, v[53:54], v[43:44]
	v_mov_b32_e32 v7, 0
	v_add_nc_u32_e32 v3, 11, v98
	v_mov_b32_e32 v8, 0
	v_mov_b32_e32 v75, 0
	s_mov_b32 s13, 0
	s_mov_b32 s58, exec_lo
                                        ; implicit-def: $sgpr36
                                        ; implicit-def: $vgpr37_vgpr38
	v_cmpx_gt_u32_e64 s47, v3
	s_xor_b32 s58, exec_lo, s58
	s_cbranch_execz .LBB175_73
; %bb.72:
	ds_read2_b64 v[35:38], v95 offset0:11 offset1:12
	v_add_nc_u32_e32 v3, 12, v98
	v_cmp_ne_u64_e64 s13, v[43:44], v[45:46]
	v_cmp_ne_u64_e64 s36, v[45:46], v[73:74]
	v_cmp_gt_u32_e64 s12, s47, v3
	v_cndmask_b32_e64 v75, 0, 1, s13
	s_and_b32 s13, s12, exec_lo
	s_waitcnt lgkmcnt(0)
	v_mov_b32_e32 v7, v35
	v_mov_b32_e32 v8, v36
.LBB175_73:
	s_or_b32 exec_lo, exec_lo, s58
	s_waitcnt lgkmcnt(0)
	v_mov_b32_e32 v5, v23
	v_mov_b32_e32 v72, v24
	v_cndmask_b32_e64 v87, 0, 1, s11
	v_mov_b32_e32 v6, v24
	v_mov_b32_e32 v71, v23
	s_and_b32 s12, s13, exec_lo
.LBB175_74:
	s_or_b32 exec_lo, exec_lo, s57
	v_cndmask_b32_e64 v88, 0, 1, s10
	s_waitcnt lgkmcnt(0)
	v_mov_b32_e32 v32, v22
	v_mov_b32_e32 v31, v21
	s_and_b32 s11, s12, exec_lo
	v_mov_b32_e32 v76, v88
.LBB175_75:
	s_or_b32 exec_lo, exec_lo, s56
	v_cndmask_b32_e64 v89, 0, 1, s9
	s_waitcnt lgkmcnt(0)
	v_mov_b32_e32 v30, v28
	v_mov_b32_e32 v23, v27
	;; [unrolled: 1-line block ×6, first 2 shown]
	s_and_b32 s10, s11, exec_lo
.LBB175_76:
	s_or_b32 exec_lo, exec_lo, s55
	v_cndmask_b32_e64 v90, 0, 1, s8
	s_waitcnt lgkmcnt(0)
	v_mov_b32_e32 v36, v26
	v_mov_b32_e32 v35, v25
	s_and_b32 s9, s10, exec_lo
	v_mov_b32_e32 v79, v90
.LBB175_77:
	s_or_b32 exec_lo, exec_lo, s54
	v_cndmask_b32_e64 v91, 0, 1, s7
	s_waitcnt lgkmcnt(0)
	v_mov_b32_e32 v34, v20
	v_mov_b32_e32 v28, v20
	;; [unrolled: 1-line block ×5, first 2 shown]
	s_and_b32 s8, s9, exec_lo
.LBB175_78:
	s_or_b32 exec_lo, exec_lo, s53
	v_cndmask_b32_e64 v92, 0, 1, s6
	s_waitcnt lgkmcnt(0)
	v_mov_b32_e32 v42, v18
	v_mov_b32_e32 v41, v17
	s_and_b32 s7, s8, exec_lo
	v_mov_b32_e32 v82, v92
.LBB175_79:
	s_or_b32 exec_lo, exec_lo, s52
	v_cndmask_b32_e64 v93, 0, 1, s5
	s_waitcnt lgkmcnt(0)
	v_mov_b32_e32 v40, v16
	v_mov_b32_e32 v20, v16
	;; [unrolled: 1-line block ×5, first 2 shown]
	s_and_b32 s6, s7, exec_lo
.LBB175_80:
	s_or_b32 exec_lo, exec_lo, s51
	v_cndmask_b32_e64 v94, 0, 1, s4
	s_waitcnt lgkmcnt(0)
	v_mov_b32_e32 v50, v14
	v_mov_b32_e32 v49, v13
	s_and_b32 s5, s6, exec_lo
	v_mov_b32_e32 v84, v94
.LBB175_81:
	s_or_b32 exec_lo, exec_lo, s50
	v_cndmask_b32_e64 v96, 0, 1, s3
	s_waitcnt lgkmcnt(0)
	v_mov_b32_e32 v48, v12
	v_mov_b32_e32 v16, v12
	;; [unrolled: 1-line block ×5, first 2 shown]
	s_and_b32 s4, s5, exec_lo
.LBB175_82:
	s_or_b32 exec_lo, exec_lo, s49
	v_cndmask_b32_e64 v97, 0, 1, s2
	s_waitcnt lgkmcnt(0)
	v_mov_b32_e32 v3, v9
	v_mov_b32_e32 v4, v10
	s_and_b32 s3, s4, exec_lo
	v_mov_b32_e32 v86, v97
.LBB175_83:
	s_or_b32 exec_lo, exec_lo, s48
	v_cndmask_b32_e64 v99, 0, 1, vcc_lo
	s_and_b32 s3, s3, exec_lo
	v_mov_b32_e32 v81, v99
.LBB175_84:
	s_or_b32 exec_lo, exec_lo, s37
	v_lshlrev_b32_e32 v55, 3, v0
	s_and_b32 vcc_lo, exec_lo, s14
	s_cbranch_vccz .LBB175_88
.LBB175_85:
	v_sub_co_u32 v25, s2, s45, v55
	v_sub_co_ci_u32_e64 v26, null, s46, 0, s2
	s_add_u32 s4, s45, -8
	s_waitcnt lgkmcnt(0)
	v_add_co_u32 v1, vcc_lo, -8, v25
	v_add_co_ci_u32_e64 v2, null, -1, v26, vcc_lo
	v_add_co_u32 v3, vcc_lo, 0xfffff7f8, v25
	v_add_co_ci_u32_e64 v4, null, -1, v26, vcc_lo
	v_add_co_u32 v5, vcc_lo, 0xffffeff8, v25
	;; [unrolled: 2-line block ×12, first 2 shown]
	v_add_co_ci_u32_e64 v26, null, -1, v26, vcc_lo
	s_clause 0xc
	flat_load_dwordx2 v[1:2], v[1:2]
	flat_load_dwordx2 v[3:4], v[3:4]
	;; [unrolled: 1-line block ×13, first 2 shown]
	s_addc_u32 s5, s46, -1
	s_lshl_b64 s[2:3], s[16:17], 3
	v_mad_u32_u24 v37, 0x60, v0, v55
	s_add_u32 s2, s42, s2
	s_addc_u32 s3, s43, s3
	s_add_u32 s2, s2, -8
	s_addc_u32 s3, s3, -1
	s_and_b32 s6, s41, exec_lo
	s_cselect_b32 s2, s45, s2
	s_cselect_b32 s3, s46, s3
	s_cmp_eq_u64 s[16:17], 0
	v_mad_i32_i24 v31, 0xffffffa0, v0, v37
	s_cselect_b32 s2, s4, s2
	s_cselect_b32 s3, s5, s3
	v_mov_b32_e32 v27, s2
	v_mov_b32_e32 v28, s3
	v_sub_co_u32 v29, s2, 0, v0
	v_sub_co_ci_u32_e64 v30, null, 0, 0, s2
	s_mov_b32 s3, -1
	s_waitcnt vmcnt(11) lgkmcnt(11)
	ds_write2st64_b64 v55, v[1:2], v[3:4] offset1:4
	s_waitcnt vmcnt(9) lgkmcnt(10)
	ds_write2st64_b64 v55, v[5:6], v[7:8] offset0:8 offset1:12
	s_waitcnt vmcnt(7) lgkmcnt(9)
	ds_write2st64_b64 v55, v[9:10], v[11:12] offset0:16 offset1:20
	;; [unrolled: 2-line block ×5, first 2 shown]
	s_waitcnt vmcnt(0) lgkmcnt(6)
	ds_write_b64 v55, v[25:26] offset:24576
	s_waitcnt lgkmcnt(0)
	s_barrier
	buffer_gl0_inv
	flat_load_dwordx2 v[25:26], v[27:28]
	ds_read2_b64 v[9:12], v37 offset1:1
	ds_read2_b64 v[1:4], v37 offset0:2 offset1:3
	ds_read_b64 v[27:28], v37 offset:96
	ds_read2_b64 v[5:8], v37 offset0:4 offset1:5
	ds_read2_b64 v[13:16], v37 offset0:6 offset1:7
	;; [unrolled: 1-line block ×4, first 2 shown]
	s_waitcnt lgkmcnt(4)
	ds_write_b64 v31, v[27:28] offset:26624
	s_waitcnt vmcnt(0) lgkmcnt(0)
	s_barrier
	buffer_gl0_inv
	s_and_saveexec_b32 s2, s1
; %bb.86:
	v_mul_i32_i24_e32 v25, 0xffffffa0, v0
	v_add_nc_u32_e32 v25, v37, v25
	ds_read_b64 v[25:26], v25 offset:26616
; %bb.87:
	s_or_b32 exec_lo, exec_lo, s2
	v_lshlrev_b64 v[29:30], 3, v[29:30]
	s_waitcnt lgkmcnt(0)
	s_barrier
	buffer_gl0_inv
	v_cmp_ne_u64_e64 s36, v[23:24], v[27:28]
	v_add_co_u32 v54, vcc_lo, s15, v29
	v_add_co_ci_u32_e64 v57, null, s40, v30, vcc_lo
	v_add_co_u32 v29, vcc_lo, -8, v54
	v_add_co_ci_u32_e64 v30, null, -1, v57, vcc_lo
	v_add_co_u32 v31, vcc_lo, 0xfffff7f8, v54
	v_add_co_ci_u32_e64 v32, null, -1, v57, vcc_lo
	v_add_co_u32 v33, vcc_lo, 0xffffeff8, v54
	;; [unrolled: 2-line block ×12, first 2 shown]
	v_add_co_ci_u32_e64 v57, null, -1, v57, vcc_lo
	s_clause 0xc
	flat_load_dwordx2 v[29:30], v[29:30]
	flat_load_dwordx2 v[31:32], v[31:32]
	flat_load_dwordx2 v[33:34], v[33:34]
	flat_load_dwordx2 v[35:36], v[35:36]
	flat_load_dwordx2 v[38:39], v[38:39]
	flat_load_dwordx2 v[40:41], v[40:41]
	flat_load_dwordx2 v[42:43], v[42:43]
	flat_load_dwordx2 v[44:45], v[44:45]
	flat_load_dwordx2 v[46:47], v[46:47]
	flat_load_dwordx2 v[48:49], v[48:49]
	flat_load_dwordx2 v[50:51], v[50:51]
	flat_load_dwordx2 v[52:53], v[52:53]
	flat_load_dwordx2 v[56:57], v[56:57]
	v_cmp_ne_u64_e32 vcc_lo, v[21:22], v[23:24]
	s_waitcnt vmcnt(11) lgkmcnt(11)
	ds_write2st64_b64 v55, v[29:30], v[31:32] offset1:4
	s_waitcnt vmcnt(9) lgkmcnt(10)
	ds_write2st64_b64 v55, v[33:34], v[35:36] offset0:8 offset1:12
	s_waitcnt vmcnt(7) lgkmcnt(9)
	ds_write2st64_b64 v55, v[38:39], v[40:41] offset0:16 offset1:20
	;; [unrolled: 2-line block ×5, first 2 shown]
	s_waitcnt vmcnt(0) lgkmcnt(6)
	ds_write_b64 v55, v[56:57] offset:24576
	v_cndmask_b32_e64 v75, 0, 1, vcc_lo
	v_cmp_ne_u64_e32 vcc_lo, v[19:20], v[21:22]
	s_waitcnt lgkmcnt(0)
	s_barrier
	buffer_gl0_inv
	v_cndmask_b32_e64 v87, 0, 1, vcc_lo
	v_cmp_ne_u64_e32 vcc_lo, v[17:18], v[19:20]
	v_mov_b32_e32 v77, v87
	v_cndmask_b32_e64 v88, 0, 1, vcc_lo
	v_cmp_ne_u64_e32 vcc_lo, v[15:16], v[17:18]
	v_mov_b32_e32 v76, v88
	;; [unrolled: 3-line block ×5, first 2 shown]
	v_cndmask_b32_e64 v92, 0, 1, vcc_lo
	v_cmp_ne_u64_e32 vcc_lo, v[3:4], v[5:6]
	ds_read2_b64 v[29:32], v37 offset0:8 offset1:9
	ds_read2_b64 v[5:8], v37 offset0:10 offset1:11
	ds_read2_b64 v[39:42], v37 offset0:4 offset1:5
	ds_read2_b64 v[33:36], v37 offset0:6 offset1:7
	v_mov_b32_e32 v82, v92
	v_cndmask_b32_e64 v93, 0, 1, vcc_lo
	v_cmp_ne_u64_e32 vcc_lo, v[1:2], v[3:4]
	v_mov_b32_e32 v83, v93
	v_cndmask_b32_e64 v94, 0, 1, vcc_lo
	v_cmp_ne_u64_e32 vcc_lo, v[11:12], v[1:2]
	ds_read2_b64 v[1:4], v37 offset1:1
	ds_read2_b64 v[47:50], v37 offset0:2 offset1:3
	ds_read_b64 v[37:38], v37 offset:96
	s_waitcnt lgkmcnt(6)
	v_mov_b32_e32 v21, v31
	s_waitcnt lgkmcnt(5)
	v_mov_b32_e32 v72, v6
	v_cndmask_b32_e64 v96, 0, 1, vcc_lo
	v_cmp_ne_u64_e32 vcc_lo, v[9:10], v[11:12]
	v_mov_b32_e32 v23, v29
	s_waitcnt lgkmcnt(3)
	v_mov_b32_e32 v27, v33
	v_mov_b32_e32 v17, v41
	;; [unrolled: 1-line block ×4, first 2 shown]
	v_cndmask_b32_e64 v97, 0, 1, vcc_lo
	v_cmp_ne_u64_e32 vcc_lo, v[25:26], v[9:10]
	v_mov_b32_e32 v25, v35
	v_mov_b32_e32 v85, v96
	;; [unrolled: 1-line block ×5, first 2 shown]
	v_cndmask_b32_e64 v99, 0, 1, vcc_lo
	s_waitcnt lgkmcnt(1)
	v_mov_b32_e32 v13, v49
	v_mov_b32_e32 v15, v47
	;; [unrolled: 1-line block ×12, first 2 shown]
.LBB175_88:
	v_mov_b32_e32 v11, 0
	v_mov_b32_e32 v12, 0
	;; [unrolled: 1-line block ×3, first 2 shown]
	s_and_saveexec_b32 s2, s3
	s_cbranch_execz .LBB175_90
; %bb.89:
	v_mov_b32_e32 v10, v4
	v_mov_b32_e32 v15, v47
	;; [unrolled: 1-line block ×10, first 2 shown]
	s_waitcnt lgkmcnt(0)
	v_mov_b32_e32 v11, v37
	v_cndmask_b32_e64 v57, 0, 1, s36
	v_mov_b32_e32 v81, v99
	v_mov_b32_e32 v9, v3
	;; [unrolled: 1-line block ×22, first 2 shown]
.LBB175_90:
	s_or_b32 exec_lo, exec_lo, s2
	v_and_b32_e32 v63, 1, v82
	v_and_b32_e32 v64, 1, v78
	;; [unrolled: 1-line block ×5, first 2 shown]
	v_or_b32_e32 v58, v83, v84
	v_or_b32_e32 v59, v79, v80
	;; [unrolled: 1-line block ×3, first 2 shown]
	v_cmp_eq_u32_e64 s14, 1, v63
	v_cmp_eq_u32_e64 s16, 1, v64
	v_cmp_eq_u32_e64 s17, 1, v62
	v_cmp_eq_u16_e64 s2, 0, v57
	v_cmp_eq_u32_e64 s15, 1, v61
	v_mbcnt_lo_u32_b32 v56, -1, 0
	s_cmp_lg_u32 s44, 0
	v_cmp_eq_u32_e32 vcc_lo, 1, v65
	s_waitcnt lgkmcnt(0)
	s_barrier
	buffer_gl0_inv
	s_cbranch_scc0 .LBB175_148
; %bb.91:
	v_cmp_gt_i64_e64 s3, v[9:10], v[1:2]
	v_mov_b32_e32 v5, 0
	v_or_b32_e32 v6, v86, v81
	v_and_b32_e32 v30, 15, v56
	v_cmp_ne_u16_sdwa s37, v60, v5 src0_sel:BYTE_0 src1_sel:DWORD
	v_cndmask_b32_e64 v3, v1, v9, s3
	v_cndmask_b32_e64 v4, v2, v10, s3
	v_cmp_eq_u16_sdwa s3, v86, v5 src0_sel:BYTE_0 src1_sel:DWORD
	v_cmp_ne_u16_sdwa s40, v59, v5 src0_sel:BYTE_0 src1_sel:DWORD
	s_or_b32 s17, s37, s17
	v_cmp_ne_u16_sdwa s41, v58, v5 src0_sel:BYTE_0 src1_sel:DWORD
	s_or_b32 s17, s15, s17
	v_cndmask_b32_e64 v4, v10, v4, s3
	v_cndmask_b32_e64 v3, v9, v3, s3
	v_cmp_ne_u16_sdwa s36, v6, v5 src0_sel:BYTE_0 src1_sel:DWORD
	s_or_b32 s16, s40, s16
	s_or_b32 s14, s41, s14
	;; [unrolled: 1-line block ×3, first 2 shown]
	v_cmp_gt_i64_e64 s4, v[15:16], v[3:4]
	s_or_b32 s17, s36, vcc_lo
	s_or_b32 s14, s16, s14
	s_or_b32 s14, s14, s17
	v_cndmask_b32_e64 v3, v3, v15, s4
	v_cndmask_b32_e64 v4, v4, v16, s4
	v_cmp_eq_u16_sdwa s4, v85, v5 src0_sel:BYTE_0 src1_sel:DWORD
	v_cndmask_b32_e64 v29, 0, 1, s14
	v_cndmask_b32_e64 v4, v16, v4, s4
	;; [unrolled: 1-line block ×3, first 2 shown]
	v_mov_b32_dpp v31, v29 row_shr:1 row_mask:0xf bank_mask:0xf
	v_cmp_gt_i64_e64 s5, v[13:14], v[3:4]
	v_cndmask_b32_e64 v3, v3, v13, s5
	v_cndmask_b32_e64 v4, v4, v14, s5
	v_cmp_eq_u16_sdwa s5, v84, v5 src0_sel:BYTE_0 src1_sel:DWORD
	v_cndmask_b32_e64 v4, v14, v4, s5
	v_cndmask_b32_e64 v3, v13, v3, s5
	v_cmp_gt_i64_e64 s6, v[19:20], v[3:4]
	v_cndmask_b32_e64 v3, v3, v19, s6
	v_cndmask_b32_e64 v4, v4, v20, s6
	v_cmp_eq_u16_sdwa s6, v83, v5 src0_sel:BYTE_0 src1_sel:DWORD
	v_cndmask_b32_e64 v4, v20, v4, s6
	v_cndmask_b32_e64 v3, v19, v3, s6
	v_cmp_gt_i64_e64 s7, v[17:18], v[3:4]
	v_cndmask_b32_e64 v3, v3, v17, s7
	v_cndmask_b32_e64 v4, v4, v18, s7
	v_cmp_eq_u16_sdwa s7, v82, v5 src0_sel:BYTE_0 src1_sel:DWORD
	v_cndmask_b32_e64 v4, v18, v4, s7
	v_cndmask_b32_e64 v3, v17, v3, s7
	v_cmp_gt_i64_e64 s8, v[27:28], v[3:4]
	v_cndmask_b32_e64 v3, v3, v27, s8
	v_cndmask_b32_e64 v4, v4, v28, s8
	v_cmp_eq_u16_sdwa s8, v80, v5 src0_sel:BYTE_0 src1_sel:DWORD
	v_cndmask_b32_e64 v4, v28, v4, s8
	v_cndmask_b32_e64 v3, v27, v3, s8
	v_cmp_gt_i64_e64 s9, v[25:26], v[3:4]
	v_cndmask_b32_e64 v3, v3, v25, s9
	v_cndmask_b32_e64 v4, v4, v26, s9
	v_cmp_eq_u16_sdwa s9, v79, v5 src0_sel:BYTE_0 src1_sel:DWORD
	v_cndmask_b32_e64 v4, v26, v4, s9
	v_cndmask_b32_e64 v3, v25, v3, s9
	v_cmp_gt_i64_e64 s10, v[23:24], v[3:4]
	v_cndmask_b32_e64 v3, v3, v23, s10
	v_cndmask_b32_e64 v4, v4, v24, s10
	v_cmp_eq_u16_sdwa s10, v78, v5 src0_sel:BYTE_0 src1_sel:DWORD
	v_cndmask_b32_e64 v4, v24, v4, s10
	v_cndmask_b32_e64 v3, v23, v3, s10
	v_cmp_gt_i64_e64 s11, v[21:22], v[3:4]
	v_cndmask_b32_e64 v3, v3, v21, s11
	v_cndmask_b32_e64 v4, v4, v22, s11
	v_cmp_eq_u16_sdwa s11, v76, v5 src0_sel:BYTE_0 src1_sel:DWORD
	v_cndmask_b32_e64 v4, v22, v4, s11
	v_cndmask_b32_e64 v3, v21, v3, s11
	v_cmp_gt_i64_e64 s12, v[71:72], v[3:4]
	v_cndmask_b32_e64 v3, v3, v71, s12
	v_cndmask_b32_e64 v4, v4, v72, s12
	v_cmp_eq_u16_sdwa s12, v77, v5 src0_sel:BYTE_0 src1_sel:DWORD
	v_cndmask_b32_e64 v4, v72, v4, s12
	v_cndmask_b32_e64 v3, v71, v3, s12
	v_cmp_gt_i64_e64 s13, v[7:8], v[3:4]
	v_cndmask_b32_e64 v3, v3, v7, s13
	v_cndmask_b32_e64 v4, v4, v8, s13
	v_cmp_eq_u16_sdwa s13, v75, v5 src0_sel:BYTE_0 src1_sel:DWORD
	v_cndmask_b32_e64 v4, v8, v4, s13
	v_cndmask_b32_e64 v3, v7, v3, s13
	v_cmp_gt_i64_e64 s15, v[11:12], v[3:4]
	v_cndmask_b32_e64 v3, v3, v11, s15
	v_cndmask_b32_e64 v4, v4, v12, s15
	s_mov_b32 s15, exec_lo
	v_cndmask_b32_e64 v5, v11, v3, s2
	v_cndmask_b32_e64 v6, v12, v4, s2
	v_mov_b32_dpp v3, v5 row_shr:1 row_mask:0xf bank_mask:0xf
	v_mov_b32_dpp v32, v6 row_shr:1 row_mask:0xf bank_mask:0xf
	v_cmpx_ne_u32_e32 0, v30
; %bb.92:
	v_mov_b32_e32 v4, v32
	v_and_or_b32 v29, v31, 1, v29
	v_cmp_gt_i64_e32 vcc_lo, v[5:6], v[3:4]
	s_or_b32 vcc_lo, s14, vcc_lo
	v_cndmask_b32_e32 v6, v32, v6, vcc_lo
	v_cndmask_b32_e32 v5, v3, v5, vcc_lo
; %bb.93:
	s_or_b32 exec_lo, exec_lo, s15
	v_mov_b32_dpp v3, v5 row_shr:2 row_mask:0xf bank_mask:0xf
	v_mov_b32_dpp v32, v6 row_shr:2 row_mask:0xf bank_mask:0xf
	v_mov_b32_dpp v31, v29 row_shr:2 row_mask:0xf bank_mask:0xf
	s_mov_b32 s15, exec_lo
	v_cmpx_lt_u32_e32 1, v30
	s_cbranch_execz .LBB175_95
; %bb.94:
	v_mov_b32_e32 v4, v32
	v_cmp_eq_u16_e64 s14, 0, v29
	v_or_b32_e32 v29, v31, v29
	v_cmp_gt_i64_e32 vcc_lo, v[5:6], v[3:4]
	v_and_b32_e32 v29, 1, v29
	v_cndmask_b32_e32 v4, v32, v6, vcc_lo
	v_cndmask_b32_e32 v3, v3, v5, vcc_lo
	v_cndmask_b32_e64 v6, v6, v4, s14
	v_cndmask_b32_e64 v5, v5, v3, s14
.LBB175_95:
	s_or_b32 exec_lo, exec_lo, s15
	v_mov_b32_dpp v3, v5 row_shr:4 row_mask:0xf bank_mask:0xf
	v_mov_b32_dpp v32, v6 row_shr:4 row_mask:0xf bank_mask:0xf
	v_mov_b32_dpp v31, v29 row_shr:4 row_mask:0xf bank_mask:0xf
	s_mov_b32 s15, exec_lo
	v_cmpx_lt_u32_e32 3, v30
	s_cbranch_execz .LBB175_97
; %bb.96:
	v_mov_b32_e32 v4, v32
	v_cmp_eq_u16_e64 s14, 0, v29
	v_or_b32_e32 v29, v31, v29
	v_cmp_gt_i64_e32 vcc_lo, v[5:6], v[3:4]
	v_and_b32_e32 v29, 1, v29
	v_cndmask_b32_e32 v4, v32, v6, vcc_lo
	v_cndmask_b32_e32 v3, v3, v5, vcc_lo
	v_cndmask_b32_e64 v6, v6, v4, s14
	v_cndmask_b32_e64 v5, v5, v3, s14
.LBB175_97:
	;; [unrolled: 18-line block ×3, first 2 shown]
	s_or_b32 exec_lo, exec_lo, s15
	ds_swizzle_b32 v3, v5 offset:swizzle(BROADCAST,32,15)
	ds_swizzle_b32 v30, v6 offset:swizzle(BROADCAST,32,15)
	;; [unrolled: 1-line block ×3, first 2 shown]
	v_and_b32_e32 v4, 16, v56
	v_mov_b32_e32 v31, v29
	s_mov_b32 s16, exec_lo
	v_cmpx_ne_u32_e32 0, v4
	s_cbranch_execz .LBB175_101
; %bb.100:
	s_waitcnt lgkmcnt(1)
	v_mov_b32_e32 v4, v30
	v_and_b32_e32 v31, 1, v29
	s_waitcnt lgkmcnt(0)
	v_and_b32_e32 v32, 1, v32
	v_cmp_gt_i64_e32 vcc_lo, v[5:6], v[3:4]
	v_cmp_eq_u32_e64 s14, 1, v31
	v_cmp_eq_u32_e64 s15, 1, v32
	v_cndmask_b32_e32 v4, v30, v6, vcc_lo
	v_cndmask_b32_e32 v3, v3, v5, vcc_lo
	v_cmp_eq_u16_e32 vcc_lo, 0, v29
	s_or_b32 s14, s14, s15
	v_cndmask_b32_e64 v29, 0, 1, s14
	v_cndmask_b32_e64 v31, 0, 1, s14
	v_cndmask_b32_e32 v6, v6, v4, vcc_lo
	v_cndmask_b32_e32 v5, v5, v3, vcc_lo
.LBB175_101:
	s_or_b32 exec_lo, exec_lo, s16
	v_lshrrev_b32_e32 v4, 5, v0
	s_waitcnt lgkmcnt(2)
	v_or_b32_e32 v3, 31, v0
	s_mov_b32 s14, exec_lo
	s_waitcnt lgkmcnt(0)
	v_lshlrev_b32_e32 v32, 4, v4
	v_cmpx_eq_u32_e64 v0, v3
	s_cbranch_execz .LBB175_103
; %bb.102:
	ds_write_b64 v32, v[5:6]
	ds_write_b8 v32, v29 offset:8
.LBB175_103:
	s_or_b32 exec_lo, exec_lo, s14
	s_mov_b32 s17, exec_lo
	s_waitcnt lgkmcnt(0)
	s_barrier
	buffer_gl0_inv
	v_cmpx_gt_u32_e32 8, v0
	s_cbranch_execz .LBB175_111
; %bb.104:
	v_lshlrev_b32_e32 v33, 4, v0
	v_and_b32_e32 v34, 7, v56
	s_mov_b32 s15, exec_lo
	ds_read_b64 v[3:4], v33
	ds_read_b32 v37, v33 offset:8
	s_waitcnt lgkmcnt(1)
	v_mov_b32_dpp v29, v3 row_shr:1 row_mask:0xf bank_mask:0xf
	v_mov_b32_dpp v38, v4 row_shr:1 row_mask:0xf bank_mask:0xf
	s_waitcnt lgkmcnt(0)
	v_and_b32_e32 v36, 0xffffff00, v37
	v_mov_b32_dpp v39, v37 row_shr:1 row_mask:0xf bank_mask:0xf
	v_mov_b32_e32 v30, v37
	v_mov_b32_e32 v35, v37
	v_cmpx_ne_u32_e32 0, v34
	s_cbranch_execz .LBB175_106
; %bb.105:
	v_mov_b32_e32 v30, v38
	v_mov_b32_e32 v35, 0
	v_cmp_gt_i64_e32 vcc_lo, v[3:4], v[29:30]
	v_or_b32_e32 v30, v39, v37
	v_cmp_eq_u16_sdwa s14, v37, v35 src0_sel:BYTE_0 src1_sel:DWORD
	v_and_b32_e32 v35, 1, v30
	v_cndmask_b32_e32 v38, v38, v4, vcc_lo
	v_cndmask_b32_e32 v29, v29, v3, vcc_lo
	v_and_b32_e32 v30, 1, v30
	v_or_b32_e32 v37, v35, v36
	v_cndmask_b32_e64 v4, v4, v38, s14
	v_cndmask_b32_e64 v3, v3, v29, s14
.LBB175_106:
	s_or_b32 exec_lo, exec_lo, s15
	v_mov_b32_dpp v29, v3 row_shr:2 row_mask:0xf bank_mask:0xf
	v_mov_b32_dpp v38, v4 row_shr:2 row_mask:0xf bank_mask:0xf
	;; [unrolled: 1-line block ×3, first 2 shown]
	s_mov_b32 s36, exec_lo
	v_cmpx_lt_u32_e32 1, v34
	s_cbranch_execz .LBB175_108
; %bb.107:
	v_and_b32_e32 v37, 1, v35
	v_and_b32_e32 v39, 1, v39
	v_mov_b32_e32 v30, v38
	v_mov_b32_e32 v40, 0
	v_cmp_eq_u32_e32 vcc_lo, 1, v37
	v_cmp_eq_u32_e64 s14, 1, v39
	v_cmp_gt_i64_e64 s15, v[3:4], v[29:30]
	v_cmp_eq_u16_sdwa s16, v35, v40 src0_sel:BYTE_0 src1_sel:DWORD
	s_or_b32 s14, vcc_lo, s14
	v_cndmask_b32_e64 v37, v38, v4, s15
	v_cndmask_b32_e64 v30, 0, 1, s14
	v_cndmask_b32_e64 v29, v29, v3, s15
	v_cndmask_b32_e64 v35, 0, 1, s14
	v_cndmask_b32_e64 v4, v4, v37, s16
	v_cndmask_b32_e64 v3, v3, v29, s16
	v_or_b32_e32 v37, v36, v35
	v_mov_b32_e32 v35, v30
.LBB175_108:
	s_or_b32 exec_lo, exec_lo, s36
	v_mov_b32_dpp v29, v3 row_shr:4 row_mask:0xf bank_mask:0xf
	v_mov_b32_dpp v36, v4 row_shr:4 row_mask:0xf bank_mask:0xf
	;; [unrolled: 1-line block ×3, first 2 shown]
	s_mov_b32 s16, exec_lo
	v_cmpx_lt_u32_e32 3, v34
	s_cbranch_execz .LBB175_110
; %bb.109:
	v_mov_b32_e32 v30, v36
	v_mov_b32_e32 v34, 0
	v_and_b32_e32 v38, 1, v35
	v_cmp_gt_i64_e32 vcc_lo, v[3:4], v[29:30]
	v_and_b32_e32 v30, 1, v37
	v_cmp_eq_u16_sdwa s14, v35, v34 src0_sel:BYTE_0 src1_sel:DWORD
	v_cmp_eq_u32_e64 s15, 1, v38
	v_cndmask_b32_e32 v36, v36, v4, vcc_lo
	v_cndmask_b32_e32 v29, v29, v3, vcc_lo
	v_cmp_eq_u32_e32 vcc_lo, 1, v30
	v_cndmask_b32_e64 v4, v4, v36, s14
	v_cndmask_b32_e64 v3, v3, v29, s14
	s_or_b32 s14, s15, vcc_lo
	v_cndmask_b32_e64 v30, 0, 1, s14
.LBB175_110:
	s_or_b32 exec_lo, exec_lo, s16
	ds_write_b64 v33, v[3:4]
	ds_write_b8 v33, v30 offset:8
.LBB175_111:
	s_or_b32 exec_lo, exec_lo, s17
	v_mov_b32_e32 v3, 0
	v_mov_b32_e32 v4, 0
	v_mov_b32_e32 v37, 0
	s_mov_b32 s15, exec_lo
	v_cmp_gt_u32_e32 vcc_lo, 32, v0
	s_waitcnt lgkmcnt(0)
	s_barrier
	buffer_gl0_inv
	v_cmpx_lt_u32_e32 31, v0
	s_cbranch_execz .LBB175_113
; %bb.112:
	v_add_nc_u32_e32 v3, -16, v32
	v_add_nc_u32_e32 v29, -8, v32
	ds_read_b64 v[3:4], v3
	ds_read_u8 v29, v29
	s_waitcnt lgkmcnt(1)
	v_cmp_gt_i64_e64 s14, v[5:6], v[3:4]
	s_waitcnt lgkmcnt(0)
	v_or_b32_e32 v32, v29, v31
	v_and_b32_e32 v37, 1, v29
	v_cndmask_b32_e64 v30, v3, v5, s14
	v_cndmask_b32_e64 v33, v4, v6, s14
	v_cmp_eq_u32_e64 s14, 0, v31
	v_and_b32_e32 v31, 1, v32
	v_cndmask_b32_e64 v6, v6, v33, s14
	v_cndmask_b32_e64 v5, v5, v30, s14
.LBB175_113:
	s_or_b32 exec_lo, exec_lo, s15
	v_sub_co_u32 v29, s14, v56, 1
	v_cmp_gt_i32_e64 s15, 0, v29
	v_cndmask_b32_e64 v29, v29, v56, s15
	v_lshlrev_b32_e32 v29, 2, v29
	ds_bpermute_b32 v39, v29, v5
	ds_bpermute_b32 v40, v29, v6
	ds_bpermute_b32 v38, v29, v31
	s_and_saveexec_b32 s17, vcc_lo
	s_cbranch_execz .LBB175_153
; %bb.114:
	v_mov_b32_e32 v31, 0
	ds_read_b64 v[5:6], v31 offset:112
	ds_read_u8 v41, v31 offset:120
	s_and_saveexec_b32 s15, s14
	s_cbranch_execz .LBB175_116
; %bb.115:
	s_add_i32 s36, s44, 32
	s_mov_b32 s37, 0
	v_mov_b32_e32 v29, 1
	s_lshl_b64 s[40:41], s[36:37], 4
	v_mov_b32_e32 v30, s36
	s_add_u32 s40, s20, s40
	s_addc_u32 s41, s21, s41
	s_waitcnt lgkmcnt(1)
	global_store_dwordx2 v31, v[5:6], s[40:41]
	s_waitcnt lgkmcnt(0)
	global_store_byte v31, v41, s[40:41] offset:8
	s_waitcnt_vscnt null, 0x0
	buffer_gl1_inv
	buffer_gl0_inv
	global_store_byte v30, v29, s[24:25]
.LBB175_116:
	s_or_b32 exec_lo, exec_lo, s15
	v_xad_u32 v29, v56, -1, s44
	s_mov_b32 s16, 0
	s_mov_b32 s15, exec_lo
	v_add_nc_u32_e32 v30, 32, v29
	global_load_ubyte v42, v30, s[24:25] glc dlc
	s_waitcnt vmcnt(0)
	v_cmpx_eq_u16_e32 0, v42
	s_cbranch_execz .LBB175_120
; %bb.117:
	v_add_co_u32 v32, s36, s24, v30
	v_add_co_ci_u32_e64 v33, null, s25, 0, s36
.LBB175_118:                            ; =>This Inner Loop Header: Depth=1
	global_load_ubyte v42, v[32:33], off glc dlc
	s_waitcnt vmcnt(0)
	v_cmp_ne_u16_e32 vcc_lo, 0, v42
	s_or_b32 s16, vcc_lo, s16
	s_andn2_b32 exec_lo, exec_lo, s16
	s_cbranch_execnz .LBB175_118
; %bb.119:
	s_or_b32 exec_lo, exec_lo, s16
.LBB175_120:
	s_or_b32 exec_lo, exec_lo, s15
	v_cmp_eq_u16_e32 vcc_lo, 1, v42
	v_mov_b32_e32 v33, s20
	v_mov_b32_e32 v32, s21
	v_lshlrev_b64 v[30:31], 4, v[30:31]
	s_waitcnt lgkmcnt(0)
	s_waitcnt_vscnt null, 0x0
	buffer_gl1_inv
	buffer_gl0_inv
	v_lshlrev_b32_e64 v44, v56, -1
	v_cndmask_b32_e32 v33, s22, v33, vcc_lo
	v_cndmask_b32_e32 v32, s23, v32, vcc_lo
	s_mov_b32 s16, exec_lo
	v_add_co_u32 v30, vcc_lo, v33, v30
	v_add_co_ci_u32_e64 v31, null, v32, v31, vcc_lo
	v_cmp_ne_u32_e32 vcc_lo, 31, v56
	s_clause 0x1
	global_load_ubyte v35, v[30:31], off offset:8
	global_load_dwordx2 v[33:34], v[30:31], off
	v_add_co_ci_u32_e64 v30, null, 0, v56, vcc_lo
	v_cmp_eq_u16_e32 vcc_lo, 2, v42
	v_lshlrev_b32_e32 v43, 2, v30
	v_and_or_b32 v32, vcc_lo, v44, 0x80000000
	v_ffbl_b32_e32 v32, v32
	s_waitcnt vmcnt(1)
	v_and_b32_e32 v31, 1, v35
	s_waitcnt vmcnt(0)
	ds_bpermute_b32 v30, v43, v33
	ds_bpermute_b32 v36, v43, v34
	ds_bpermute_b32 v45, v43, v31
	v_cmpx_lt_u32_e64 v56, v32
	s_cbranch_execz .LBB175_122
; %bb.121:
	s_waitcnt lgkmcnt(1)
	v_mov_b32_e32 v31, v36
	v_mov_b32_e32 v46, 0
	v_cmp_gt_i64_e32 vcc_lo, v[33:34], v[30:31]
	s_waitcnt lgkmcnt(0)
	v_and_b32_e32 v31, 1, v45
	v_cmp_eq_u16_sdwa s15, v35, v46 src0_sel:BYTE_0 src1_sel:DWORD
	v_or_b32_e32 v35, v31, v35
	v_cndmask_b32_e32 v36, v36, v34, vcc_lo
	v_cndmask_b32_e32 v30, v30, v33, vcc_lo
	v_and_b32_e32 v31, 0xff, v35
	v_cndmask_b32_e64 v34, v34, v36, s15
	v_cndmask_b32_e64 v33, v33, v30, s15
.LBB175_122:
	s_or_b32 exec_lo, exec_lo, s16
	v_cmp_gt_u32_e32 vcc_lo, 30, v56
	v_add_nc_u32_e32 v46, 2, v56
	s_mov_b32 s36, exec_lo
	s_waitcnt lgkmcnt(2)
	v_cndmask_b32_e64 v30, 0, 2, vcc_lo
	s_waitcnt lgkmcnt(0)
	v_add_lshl_u32 v45, v30, v56, 2
	ds_bpermute_b32 v30, v45, v33
	ds_bpermute_b32 v36, v45, v34
	ds_bpermute_b32 v47, v45, v31
	v_cmpx_le_u32_e64 v46, v32
	s_cbranch_execz .LBB175_124
; %bb.123:
	s_waitcnt lgkmcnt(1)
	v_mov_b32_e32 v31, v36
	v_and_b32_e32 v48, 1, v35
	s_waitcnt lgkmcnt(0)
	v_and_b32_e32 v47, 1, v47
	v_cmp_gt_i64_e32 vcc_lo, v[33:34], v[30:31]
	v_mov_b32_e32 v31, 0
	v_cmp_eq_u32_e64 s15, 1, v48
	v_cmp_eq_u32_e64 s16, 1, v47
	v_cndmask_b32_e32 v36, v36, v34, vcc_lo
	v_cndmask_b32_e32 v30, v30, v33, vcc_lo
	v_cmp_eq_u16_sdwa vcc_lo, v35, v31 src0_sel:BYTE_0 src1_sel:DWORD
	s_or_b32 s15, s15, s16
	v_cndmask_b32_e64 v35, 0, 1, s15
	v_cndmask_b32_e64 v31, 0, 1, s15
	v_cndmask_b32_e32 v34, v34, v36, vcc_lo
	v_cndmask_b32_e32 v33, v33, v30, vcc_lo
.LBB175_124:
	s_or_b32 exec_lo, exec_lo, s36
	v_cmp_gt_u32_e32 vcc_lo, 28, v56
	v_add_nc_u32_e32 v48, 4, v56
	s_mov_b32 s36, exec_lo
	s_waitcnt lgkmcnt(2)
	v_cndmask_b32_e64 v30, 0, 4, vcc_lo
	s_waitcnt lgkmcnt(0)
	v_add_lshl_u32 v47, v30, v56, 2
	ds_bpermute_b32 v30, v47, v33
	ds_bpermute_b32 v36, v47, v34
	ds_bpermute_b32 v49, v47, v31
	v_cmpx_le_u32_e64 v48, v32
	s_cbranch_execz .LBB175_126
; %bb.125:
	s_waitcnt lgkmcnt(1)
	v_mov_b32_e32 v31, v36
	v_and_b32_e32 v50, 1, v35
	s_waitcnt lgkmcnt(0)
	v_and_b32_e32 v49, 1, v49
	v_cmp_gt_i64_e32 vcc_lo, v[33:34], v[30:31]
	v_mov_b32_e32 v31, 0
	v_cmp_eq_u32_e64 s15, 1, v50
	v_cmp_eq_u32_e64 s16, 1, v49
	v_cndmask_b32_e32 v36, v36, v34, vcc_lo
	v_cndmask_b32_e32 v30, v30, v33, vcc_lo
	v_cmp_eq_u16_sdwa vcc_lo, v35, v31 src0_sel:BYTE_0 src1_sel:DWORD
	s_or_b32 s15, s15, s16
	v_cndmask_b32_e64 v35, 0, 1, s15
	v_cndmask_b32_e64 v31, 0, 1, s15
	v_cndmask_b32_e32 v34, v34, v36, vcc_lo
	v_cndmask_b32_e32 v33, v33, v30, vcc_lo
.LBB175_126:
	;; [unrolled: 32-line block ×3, first 2 shown]
	s_or_b32 exec_lo, exec_lo, s36
	s_waitcnt lgkmcnt(0)
	v_lshl_or_b32 v51, v56, 2, 64
	v_add_nc_u32_e32 v53, 16, v56
	s_mov_b32 s36, exec_lo
	ds_bpermute_b32 v30, v51, v33
	ds_bpermute_b32 v36, v51, v34
	;; [unrolled: 1-line block ×3, first 2 shown]
	v_cmpx_le_u32_e64 v53, v32
	s_cbranch_execz .LBB175_130
; %bb.129:
	s_waitcnt lgkmcnt(1)
	v_mov_b32_e32 v31, v36
	v_mov_b32_e32 v32, 0
	v_and_b32_e32 v54, 1, v35
	v_cmp_gt_i64_e32 vcc_lo, v[33:34], v[30:31]
	s_waitcnt lgkmcnt(0)
	v_and_b32_e32 v31, 1, v52
	v_cmp_eq_u16_sdwa s15, v35, v32 src0_sel:BYTE_0 src1_sel:DWORD
	v_cmp_eq_u32_e64 s16, 1, v54
	v_cndmask_b32_e32 v36, v36, v34, vcc_lo
	v_cndmask_b32_e32 v30, v30, v33, vcc_lo
	v_cmp_eq_u32_e32 vcc_lo, 1, v31
	v_cndmask_b32_e64 v34, v34, v36, s15
	v_cndmask_b32_e64 v33, v33, v30, s15
	s_or_b32 s15, s16, vcc_lo
	v_cndmask_b32_e64 v35, 0, 1, s15
.LBB175_130:
	s_or_b32 exec_lo, exec_lo, s36
	s_waitcnt lgkmcnt(2)
	v_mov_b32_e32 v30, 0
	v_mov_b32_e32 v54, 2
	s_branch .LBB175_133
.LBB175_131:                            ;   in Loop: Header=BB175_133 Depth=1
	s_or_b32 exec_lo, exec_lo, s37
	s_waitcnt lgkmcnt(2)
	v_and_b32_e32 v35, 1, v52
	v_cmp_gt_i64_e32 vcc_lo, v[31:32], v[33:34]
	v_subrev_nc_u32_e32 v29, 32, v29
	v_cmp_eq_u32_e64 s15, 1, v35
	v_cndmask_b32_e32 v33, v33, v31, vcc_lo
	v_cndmask_b32_e32 v34, v34, v32, vcc_lo
	v_cmp_eq_u16_sdwa vcc_lo, v52, v30 src0_sel:BYTE_0 src1_sel:DWORD
	s_or_b32 s15, s15, s36
	v_cndmask_b32_e64 v35, 0, 1, s15
	s_mov_b32 s15, 0
	v_cndmask_b32_e32 v34, v32, v34, vcc_lo
	v_cndmask_b32_e32 v33, v31, v33, vcc_lo
.LBB175_132:                            ;   in Loop: Header=BB175_133 Depth=1
	s_and_b32 vcc_lo, exec_lo, s15
	s_cbranch_vccnz .LBB175_149
.LBB175_133:                            ; =>This Loop Header: Depth=1
                                        ;     Child Loop BB175_136 Depth 2
	v_cmp_ne_u16_sdwa s15, v42, v54 src0_sel:BYTE_0 src1_sel:DWORD
	v_mov_b32_e32 v31, v33
	s_waitcnt lgkmcnt(0)
	v_mov_b32_e32 v52, v35
	v_mov_b32_e32 v32, v34
                                        ; implicit-def: $vgpr35
                                        ; implicit-def: $vgpr33_vgpr34
                                        ; implicit-def: $vgpr42
	s_cmp_lg_u32 s15, exec_lo
	s_mov_b32 s15, -1
	s_cbranch_scc1 .LBB175_132
; %bb.134:                              ;   in Loop: Header=BB175_133 Depth=1
	global_load_ubyte v42, v29, s[24:25] glc dlc
	s_mov_b32 s15, exec_lo
	s_waitcnt vmcnt(0)
	v_cmpx_eq_u16_e32 0, v42
	s_cbranch_execz .LBB175_138
; %bb.135:                              ;   in Loop: Header=BB175_133 Depth=1
	v_add_co_u32 v33, s16, s24, v29
	v_add_co_ci_u32_e64 v34, null, s25, 0, s16
	s_mov_b32 s16, 0
.LBB175_136:                            ;   Parent Loop BB175_133 Depth=1
                                        ; =>  This Inner Loop Header: Depth=2
	global_load_ubyte v42, v[33:34], off glc dlc
	s_waitcnt vmcnt(0)
	v_cmp_ne_u16_e32 vcc_lo, 0, v42
	s_or_b32 s16, vcc_lo, s16
	s_andn2_b32 exec_lo, exec_lo, s16
	s_cbranch_execnz .LBB175_136
; %bb.137:                              ;   in Loop: Header=BB175_133 Depth=1
	s_or_b32 exec_lo, exec_lo, s16
.LBB175_138:                            ;   in Loop: Header=BB175_133 Depth=1
	s_or_b32 exec_lo, exec_lo, s15
	v_cmp_eq_u16_e32 vcc_lo, 1, v42
	v_mov_b32_e32 v36, s20
	v_mov_b32_e32 v35, s21
	v_lshlrev_b64 v[33:34], 4, v[29:30]
	buffer_gl1_inv
	buffer_gl0_inv
	s_mov_b32 s16, exec_lo
	v_cndmask_b32_e32 v36, s22, v36, vcc_lo
	v_cndmask_b32_e32 v35, s23, v35, vcc_lo
	v_add_co_u32 v33, vcc_lo, v36, v33
	v_add_co_ci_u32_e64 v34, null, v35, v34, vcc_lo
	v_cmp_eq_u16_e32 vcc_lo, 2, v42
	s_clause 0x1
	global_load_ubyte v66, v[33:34], off offset:8
	global_load_dwordx2 v[33:34], v[33:34], off
	v_and_or_b32 v67, vcc_lo, v44, 0x80000000
	v_ffbl_b32_e32 v67, v67
	s_waitcnt vmcnt(1)
	v_and_b32_e32 v36, 1, v66
	s_waitcnt vmcnt(0)
	ds_bpermute_b32 v35, v43, v33
	ds_bpermute_b32 v68, v43, v34
	;; [unrolled: 1-line block ×3, first 2 shown]
	v_cmpx_lt_u32_e64 v56, v67
	s_cbranch_execz .LBB175_140
; %bb.139:                              ;   in Loop: Header=BB175_133 Depth=1
	s_waitcnt lgkmcnt(1)
	v_mov_b32_e32 v36, v68
	v_cmp_eq_u16_sdwa s15, v66, v30 src0_sel:BYTE_0 src1_sel:DWORD
	v_cmp_gt_i64_e32 vcc_lo, v[33:34], v[35:36]
	s_waitcnt lgkmcnt(0)
	v_and_b32_e32 v36, 1, v69
	v_or_b32_e32 v66, v36, v66
	v_cndmask_b32_e32 v68, v68, v34, vcc_lo
	v_cndmask_b32_e32 v35, v35, v33, vcc_lo
	v_and_b32_e32 v36, 0xff, v66
	v_cndmask_b32_e64 v34, v34, v68, s15
	v_cndmask_b32_e64 v33, v33, v35, s15
.LBB175_140:                            ;   in Loop: Header=BB175_133 Depth=1
	s_or_b32 exec_lo, exec_lo, s16
	s_waitcnt lgkmcnt(2)
	ds_bpermute_b32 v35, v45, v33
	s_waitcnt lgkmcnt(2)
	ds_bpermute_b32 v68, v45, v34
	;; [unrolled: 2-line block ×3, first 2 shown]
	v_and_b32_e32 v70, 1, v66
	s_mov_b32 s16, exec_lo
	v_cmp_eq_u32_e64 s36, 1, v70
	v_cmpx_le_u32_e64 v46, v67
	s_cbranch_execz .LBB175_142
; %bb.141:                              ;   in Loop: Header=BB175_133 Depth=1
	s_waitcnt lgkmcnt(1)
	v_mov_b32_e32 v36, v68
	s_waitcnt lgkmcnt(0)
	v_and_b32_e32 v69, 1, v69
	v_cmp_gt_i64_e32 vcc_lo, v[33:34], v[35:36]
	v_cmp_eq_u32_e64 s15, 1, v69
	s_or_b32 s15, s36, s15
	v_cndmask_b32_e32 v36, v68, v34, vcc_lo
	v_cndmask_b32_e32 v35, v35, v33, vcc_lo
	v_cmp_eq_u16_sdwa vcc_lo, v66, v30 src0_sel:BYTE_0 src1_sel:DWORD
	v_cndmask_b32_e64 v66, 0, 1, s15
	s_andn2_b32 s36, s36, exec_lo
	v_cndmask_b32_e32 v34, v34, v36, vcc_lo
	v_cndmask_b32_e64 v36, 0, 1, s15
	v_cndmask_b32_e32 v33, v33, v35, vcc_lo
	s_and_b32 s15, s15, exec_lo
	s_or_b32 s36, s36, s15
.LBB175_142:                            ;   in Loop: Header=BB175_133 Depth=1
	s_or_b32 exec_lo, exec_lo, s16
	s_waitcnt lgkmcnt(2)
	ds_bpermute_b32 v35, v47, v33
	s_waitcnt lgkmcnt(2)
	ds_bpermute_b32 v68, v47, v34
	;; [unrolled: 2-line block ×3, first 2 shown]
	s_mov_b32 s37, exec_lo
	v_cmpx_le_u32_e64 v48, v67
	s_cbranch_execz .LBB175_144
; %bb.143:                              ;   in Loop: Header=BB175_133 Depth=1
	s_waitcnt lgkmcnt(1)
	v_mov_b32_e32 v36, v68
	v_and_b32_e32 v70, 1, v66
	s_waitcnt lgkmcnt(0)
	v_and_b32_e32 v69, 1, v69
	v_cmp_gt_i64_e32 vcc_lo, v[33:34], v[35:36]
	v_cmp_eq_u32_e64 s15, 1, v70
	v_cmp_eq_u32_e64 s16, 1, v69
	v_cndmask_b32_e32 v36, v68, v34, vcc_lo
	v_cndmask_b32_e32 v35, v35, v33, vcc_lo
	v_cmp_eq_u16_sdwa vcc_lo, v66, v30 src0_sel:BYTE_0 src1_sel:DWORD
	s_or_b32 s15, s15, s16
	s_andn2_b32 s16, s36, exec_lo
	v_cndmask_b32_e64 v66, 0, 1, s15
	v_cndmask_b32_e32 v34, v34, v36, vcc_lo
	v_cndmask_b32_e64 v36, 0, 1, s15
	v_cndmask_b32_e32 v33, v33, v35, vcc_lo
	s_and_b32 s15, s15, exec_lo
	s_or_b32 s36, s16, s15
.LBB175_144:                            ;   in Loop: Header=BB175_133 Depth=1
	s_or_b32 exec_lo, exec_lo, s37
	s_waitcnt lgkmcnt(2)
	ds_bpermute_b32 v35, v49, v33
	s_waitcnt lgkmcnt(2)
	ds_bpermute_b32 v68, v49, v34
	;; [unrolled: 2-line block ×3, first 2 shown]
	s_mov_b32 s37, exec_lo
	v_cmpx_le_u32_e64 v50, v67
	s_cbranch_execz .LBB175_146
; %bb.145:                              ;   in Loop: Header=BB175_133 Depth=1
	s_waitcnt lgkmcnt(1)
	v_mov_b32_e32 v36, v68
	v_and_b32_e32 v70, 1, v66
	s_waitcnt lgkmcnt(0)
	v_and_b32_e32 v69, 1, v69
	v_cmp_gt_i64_e32 vcc_lo, v[33:34], v[35:36]
	v_cmp_eq_u32_e64 s15, 1, v70
	v_cmp_eq_u32_e64 s16, 1, v69
	v_cndmask_b32_e32 v36, v68, v34, vcc_lo
	v_cndmask_b32_e32 v35, v35, v33, vcc_lo
	v_cmp_eq_u16_sdwa vcc_lo, v66, v30 src0_sel:BYTE_0 src1_sel:DWORD
	s_or_b32 s15, s15, s16
	s_andn2_b32 s16, s36, exec_lo
	v_cndmask_b32_e64 v66, 0, 1, s15
	v_cndmask_b32_e32 v34, v34, v36, vcc_lo
	v_cndmask_b32_e64 v36, 0, 1, s15
	v_cndmask_b32_e32 v33, v33, v35, vcc_lo
	s_and_b32 s15, s15, exec_lo
	s_or_b32 s36, s16, s15
.LBB175_146:                            ;   in Loop: Header=BB175_133 Depth=1
	s_or_b32 exec_lo, exec_lo, s37
	s_waitcnt lgkmcnt(2)
	ds_bpermute_b32 v35, v51, v33
	s_waitcnt lgkmcnt(2)
	ds_bpermute_b32 v68, v51, v34
	;; [unrolled: 2-line block ×3, first 2 shown]
	s_mov_b32 s37, exec_lo
	v_cmpx_le_u32_e64 v53, v67
	s_cbranch_execz .LBB175_131
; %bb.147:                              ;   in Loop: Header=BB175_133 Depth=1
	s_waitcnt lgkmcnt(1)
	v_mov_b32_e32 v36, v68
	v_and_b32_e32 v67, 1, v66
	s_waitcnt lgkmcnt(0)
	v_and_b32_e32 v69, 1, v69
	v_cmp_gt_i64_e32 vcc_lo, v[33:34], v[35:36]
	v_cmp_eq_u32_e64 s15, 1, v67
	v_cmp_eq_u32_e64 s16, 1, v69
	v_cndmask_b32_e32 v36, v68, v34, vcc_lo
	v_cndmask_b32_e32 v35, v35, v33, vcc_lo
	v_cmp_eq_u16_sdwa vcc_lo, v66, v30 src0_sel:BYTE_0 src1_sel:DWORD
	s_or_b32 s15, s15, s16
	s_andn2_b32 s16, s36, exec_lo
	s_and_b32 s15, s15, exec_lo
	v_cndmask_b32_e32 v34, v34, v36, vcc_lo
	v_cndmask_b32_e32 v33, v33, v35, vcc_lo
	s_or_b32 s36, s16, s15
	s_branch .LBB175_131
.LBB175_148:
                                        ; implicit-def: $vgpr51_vgpr52
                                        ; implicit-def: $vgpr49_vgpr50
                                        ; implicit-def: $vgpr45_vgpr46
                                        ; implicit-def: $vgpr41_vgpr42
                                        ; implicit-def: $vgpr37_vgpr38
                                        ; implicit-def: $vgpr33_vgpr34
                                        ; implicit-def: $vgpr29_vgpr30
                                        ; implicit-def: $vgpr47_vgpr48
                                        ; implicit-def: $vgpr43_vgpr44
                                        ; implicit-def: $vgpr39_vgpr40
                                        ; implicit-def: $vgpr35_vgpr36
                                        ; implicit-def: $vgpr31_vgpr32
                                        ; implicit-def: $vgpr53_vgpr54
	s_cbranch_execnz .LBB175_154
	s_branch .LBB175_183
.LBB175_149:
	s_and_saveexec_b32 s15, s14
	s_cbranch_execz .LBB175_151
; %bb.150:
	v_cmp_gt_i64_e32 vcc_lo, v[5:6], v[31:32]
	v_mov_b32_e32 v29, 0
	v_or_b32_e32 v33, v41, v52
	s_mov_b32 s21, 0
	s_add_i32 s20, s44, 32
	s_lshl_b64 s[36:37], s[20:21], 4
	v_cndmask_b32_e32 v30, v31, v5, vcc_lo
	v_cndmask_b32_e32 v34, v32, v6, vcc_lo
	v_cmp_eq_u32_sdwa vcc_lo, v41, v29 src0_sel:BYTE_0 src1_sel:DWORD
	v_and_b32_e32 v33, 1, v33
	s_add_u32 s36, s22, s36
	s_addc_u32 s37, s23, s37
	v_cndmask_b32_e32 v6, v6, v34, vcc_lo
	v_cndmask_b32_e32 v5, v5, v30, vcc_lo
	v_mov_b32_e32 v30, 2
	v_mov_b32_e32 v34, s20
	global_store_dwordx2 v29, v[5:6], s[36:37]
	global_store_byte v29, v33, s[36:37] offset:8
	s_waitcnt lgkmcnt(0)
	s_waitcnt_vscnt null, 0x0
	buffer_gl1_inv
	buffer_gl0_inv
	global_store_byte v34, v30, s[24:25]
.LBB175_151:
	s_or_b32 exec_lo, exec_lo, s15
	s_and_b32 exec_lo, exec_lo, s0
	s_cbranch_execz .LBB175_153
; %bb.152:
	v_mov_b32_e32 v5, 0
	ds_write_b64 v5, v[31:32] offset:112
	ds_write_b8 v5, v52 offset:120
.LBB175_153:
	s_or_b32 exec_lo, exec_lo, s17
	s_waitcnt lgkmcnt(2)
	v_cndmask_b32_e64 v3, v39, v3, s14
	s_waitcnt lgkmcnt(1)
	v_cndmask_b32_e64 v4, v40, v4, s14
	v_mov_b32_e32 v29, 0
	s_waitcnt lgkmcnt(0)
	v_cndmask_b32_e64 v30, v38, v37, s14
	s_waitcnt_vscnt null, 0x0
	s_barrier
	v_cmp_gt_i64_e32 vcc_lo, v[1:2], v[3:4]
	buffer_gl0_inv
	ds_read_b64 v[5:6], v29 offset:112
	v_and_b32_e32 v31, 1, v81
	v_cmp_eq_u16_sdwa s14, v81, v29 src0_sel:BYTE_0 src1_sel:DWORD
	v_and_b32_e32 v30, 1, v30
	v_cndmask_b32_e32 v3, v3, v1, vcc_lo
	v_cndmask_b32_e32 v4, v4, v2, vcc_lo
	v_cmp_eq_u32_e32 vcc_lo, 1, v31
	v_cndmask_b32_e64 v3, v1, v3, s14
	v_cndmask_b32_e64 v4, v2, v4, s14
	v_cmp_eq_u32_e64 s14, 1, v30
	v_cndmask_b32_e64 v3, v3, v1, s0
	v_cndmask_b32_e64 v4, v4, v2, s0
	s_or_b32 s14, vcc_lo, s14
	v_cndmask_b32_e64 v30, 0, 1, s14
	s_waitcnt lgkmcnt(0)
	v_cmp_gt_i64_e32 vcc_lo, v[3:4], v[5:6]
	v_cndmask_b32_e64 v30, v30, v81, s0
	v_cndmask_b32_e32 v5, v5, v3, vcc_lo
	v_cndmask_b32_e32 v6, v6, v4, vcc_lo
	v_cmp_eq_u16_sdwa vcc_lo, v30, v29 src0_sel:BYTE_0 src1_sel:DWORD
	v_cndmask_b32_e32 v53, v3, v5, vcc_lo
	v_cndmask_b32_e32 v54, v4, v6, vcc_lo
	v_cmp_gt_i64_e32 vcc_lo, v[9:10], v[53:54]
	v_cndmask_b32_e32 v3, v53, v9, vcc_lo
	v_cndmask_b32_e32 v4, v54, v10, vcc_lo
	v_cndmask_b32_e64 v29, v9, v3, s3
	v_cndmask_b32_e64 v30, v10, v4, s3
	v_cmp_gt_i64_e32 vcc_lo, v[15:16], v[29:30]
	v_cndmask_b32_e32 v3, v29, v15, vcc_lo
	v_cndmask_b32_e32 v4, v30, v16, vcc_lo
	v_cndmask_b32_e64 v31, v15, v3, s4
	v_cndmask_b32_e64 v32, v16, v4, s4
	;; [unrolled: 5-line block ×12, first 2 shown]
	s_branch .LBB175_183
.LBB175_154:
	s_cmp_lg_u64 s[34:35], 0
	s_cselect_b32 s2, -1, 0
	s_cmp_lg_u64 s[38:39], 0
	s_cselect_b32 s3, -1, 0
	s_and_b32 s2, s2, s3
	s_and_b32 s3, s0, s2
	s_and_saveexec_b32 s2, s3
	s_cbranch_execz .LBB175_156
; %bb.155:
	v_mov_b32_e32 v5, 0
	s_clause 0x1
	global_load_dwordx2 v[3:4], v5, s[38:39]
	global_load_ubyte v6, v5, s[38:39] offset:8
	s_waitcnt vmcnt(1)
	v_cmp_gt_i64_e32 vcc_lo, v[1:2], v[3:4]
	v_cndmask_b32_e32 v3, v3, v1, vcc_lo
	v_cndmask_b32_e32 v4, v4, v2, vcc_lo
	v_cmp_eq_u16_sdwa vcc_lo, v81, v5 src0_sel:BYTE_0 src1_sel:DWORD
	s_waitcnt vmcnt(0)
	v_or_b32_e32 v5, v81, v6
	v_cndmask_b32_e32 v2, v2, v4, vcc_lo
	v_cndmask_b32_e32 v1, v1, v3, vcc_lo
	v_and_b32_e32 v81, 1, v5
.LBB175_156:
	s_or_b32 exec_lo, exec_lo, s2
	v_cmp_gt_i64_e32 vcc_lo, v[9:10], v[1:2]
	v_mov_b32_e32 v3, 0
	v_cmp_eq_u32_e64 s14, 1, v64
	v_cmp_eq_u32_e64 s15, 1, v62
	;; [unrolled: 1-line block ×4, first 2 shown]
	v_cndmask_b32_e32 v4, v1, v9, vcc_lo
	v_cndmask_b32_e32 v5, v2, v10, vcc_lo
	v_cmp_eq_u16_sdwa vcc_lo, v86, v3 src0_sel:BYTE_0 src1_sel:DWORD
	v_cmp_ne_u16_sdwa s20, v60, v3 src0_sel:BYTE_0 src1_sel:DWORD
	v_cmp_ne_u16_sdwa s21, v59, v3 src0_sel:BYTE_0 src1_sel:DWORD
	v_cmp_eq_u32_e64 s13, 1, v63
	v_cmp_ne_u16_sdwa s34, v58, v3 src0_sel:BYTE_0 src1_sel:DWORD
	v_cndmask_b32_e32 v30, v10, v5, vcc_lo
	v_cndmask_b32_e32 v29, v9, v4, vcc_lo
	s_or_b32 s15, s20, s15
	s_or_b32 s20, s21, s14
	;; [unrolled: 1-line block ×4, first 2 shown]
	v_cmp_gt_i64_e64 s2, v[15:16], v[29:30]
	s_or_b32 s15, s15, s20
	s_or_b32 s13, s15, s13
	s_mov_b32 s15, exec_lo
	v_cndmask_b32_e64 v4, v29, v15, s2
	v_cndmask_b32_e64 v5, v30, v16, s2
	v_cmp_eq_u16_sdwa s2, v85, v3 src0_sel:BYTE_0 src1_sel:DWORD
	v_cndmask_b32_e64 v32, v16, v5, s2
	v_cndmask_b32_e64 v31, v15, v4, s2
	v_cmp_gt_i64_e64 s3, v[13:14], v[31:32]
	v_cndmask_b32_e64 v4, v31, v13, s3
	v_cndmask_b32_e64 v5, v32, v14, s3
	v_cmp_eq_u16_sdwa s3, v84, v3 src0_sel:BYTE_0 src1_sel:DWORD
	v_cndmask_b32_e64 v34, v14, v5, s3
	v_cndmask_b32_e64 v33, v13, v4, s3
	v_cmp_gt_i64_e64 s4, v[19:20], v[33:34]
	;; [unrolled: 6-line block ×8, first 2 shown]
	v_cndmask_b32_e64 v4, v45, v71, s10
	v_cndmask_b32_e64 v5, v46, v72, s10
	v_cmp_eq_u16_sdwa s10, v77, v3 src0_sel:BYTE_0 src1_sel:DWORD
	v_cndmask_b32_e64 v48, v72, v5, s10
	v_cndmask_b32_e64 v47, v71, v4, s10
	v_or_b32_e32 v4, v81, v86
	v_cmp_gt_i64_e64 s11, v[7:8], v[47:48]
	v_cmp_ne_u16_sdwa s17, v4, v3 src0_sel:BYTE_0 src1_sel:DWORD
	v_cndmask_b32_e64 v5, v47, v7, s11
	v_cndmask_b32_e64 v6, v48, v8, s11
	v_cmp_eq_u16_sdwa s11, v75, v3 src0_sel:BYTE_0 src1_sel:DWORD
	s_or_b32 s16, s17, s12
	v_cmp_eq_u16_e64 s12, 0, v57
	v_and_b32_e32 v57, 15, v56
	v_cndmask_b32_e64 v50, v8, v6, s11
	v_cndmask_b32_e64 v49, v7, v5, s11
	v_cmp_gt_i64_e64 s14, v[11:12], v[49:50]
	v_cndmask_b32_e64 v3, v49, v11, s14
	v_cndmask_b32_e64 v4, v50, v12, s14
	s_or_b32 s14, s13, s16
	v_cndmask_b32_e64 v58, 0, 1, s14
	v_cndmask_b32_e64 v51, v11, v3, s12
	;; [unrolled: 1-line block ×3, first 2 shown]
	v_mov_b32_dpp v59, v58 row_shr:1 row_mask:0xf bank_mask:0xf
	v_mov_b32_e32 v3, v51
	v_mov_b32_dpp v53, v51 row_shr:1 row_mask:0xf bank_mask:0xf
	v_mov_b32_dpp v60, v52 row_shr:1 row_mask:0xf bank_mask:0xf
	v_mov_b32_e32 v4, v52
	v_mov_b32_e32 v6, v52
	;; [unrolled: 1-line block ×3, first 2 shown]
	v_cmpx_ne_u32_e32 0, v57
	s_cbranch_execz .LBB175_158
; %bb.157:
	v_mov_b32_e32 v54, v60
	v_and_or_b32 v58, v59, 1, v58
	v_cmp_gt_i64_e64 s13, v[51:52], v[53:54]
	s_or_b32 s13, s14, s13
	v_cndmask_b32_e64 v4, v60, v52, s13
	v_cndmask_b32_e64 v3, v53, v51, s13
	v_mov_b32_e32 v6, v4
	v_mov_b32_e32 v5, v3
.LBB175_158:
	s_or_b32 exec_lo, exec_lo, s15
	v_mov_b32_dpp v53, v5 row_shr:2 row_mask:0xf bank_mask:0xf
	v_mov_b32_dpp v60, v6 row_shr:2 row_mask:0xf bank_mask:0xf
	;; [unrolled: 1-line block ×3, first 2 shown]
	s_mov_b32 s14, exec_lo
	v_cmpx_lt_u32_e32 1, v57
	s_cbranch_execz .LBB175_160
; %bb.159:
	v_mov_b32_e32 v54, v60
	v_cmp_gt_i64_e64 s13, v[3:4], v[53:54]
	v_cndmask_b32_e64 v5, v60, v4, s13
	v_cndmask_b32_e64 v53, v53, v3, s13
	v_cmp_eq_u16_e64 s13, 0, v58
	v_cndmask_b32_e64 v6, v4, v5, s13
	v_or_b32_e32 v4, v59, v58
	v_cndmask_b32_e64 v5, v3, v53, s13
	v_and_b32_e32 v58, 1, v4
	v_mov_b32_e32 v3, v5
	v_mov_b32_e32 v4, v6
.LBB175_160:
	s_or_b32 exec_lo, exec_lo, s14
	v_mov_b32_dpp v53, v5 row_shr:4 row_mask:0xf bank_mask:0xf
	v_mov_b32_dpp v60, v6 row_shr:4 row_mask:0xf bank_mask:0xf
	;; [unrolled: 1-line block ×3, first 2 shown]
	s_mov_b32 s14, exec_lo
	v_cmpx_lt_u32_e32 3, v57
	s_cbranch_execz .LBB175_162
; %bb.161:
	v_mov_b32_e32 v54, v60
	v_cmp_gt_i64_e64 s13, v[3:4], v[53:54]
	v_cndmask_b32_e64 v5, v60, v4, s13
	v_cndmask_b32_e64 v53, v53, v3, s13
	v_cmp_eq_u16_e64 s13, 0, v58
	v_cndmask_b32_e64 v6, v4, v5, s13
	v_or_b32_e32 v4, v59, v58
	v_cndmask_b32_e64 v5, v3, v53, s13
	v_and_b32_e32 v58, 1, v4
	v_mov_b32_e32 v3, v5
	v_mov_b32_e32 v4, v6
.LBB175_162:
	s_or_b32 exec_lo, exec_lo, s14
	v_mov_b32_dpp v53, v5 row_shr:8 row_mask:0xf bank_mask:0xf
	v_mov_b32_dpp v60, v6 row_shr:8 row_mask:0xf bank_mask:0xf
	;; [unrolled: 1-line block ×3, first 2 shown]
	s_mov_b32 s15, exec_lo
	v_cmpx_lt_u32_e32 7, v57
	s_cbranch_execz .LBB175_164
; %bb.163:
	v_mov_b32_e32 v54, v60
	v_cmp_eq_u16_e64 s14, 0, v58
	v_cmp_gt_i64_e64 s13, v[3:4], v[53:54]
	v_cndmask_b32_e64 v5, v60, v4, s13
	v_cndmask_b32_e64 v6, v53, v3, s13
	v_or_b32_e32 v53, v59, v58
	v_cndmask_b32_e64 v4, v4, v5, s14
	v_cndmask_b32_e64 v3, v3, v6, s14
	v_and_b32_e32 v58, 1, v53
	v_mov_b32_e32 v6, v4
	v_mov_b32_e32 v5, v3
.LBB175_164:
	s_or_b32 exec_lo, exec_lo, s15
	ds_swizzle_b32 v5, v5 offset:swizzle(BROADCAST,32,15)
	ds_swizzle_b32 v53, v6 offset:swizzle(BROADCAST,32,15)
	;; [unrolled: 1-line block ×3, first 2 shown]
	v_and_b32_e32 v6, 16, v56
	v_mov_b32_e32 v57, v58
	s_mov_b32 s16, exec_lo
	v_cmpx_ne_u32_e32 0, v6
	s_cbranch_execz .LBB175_166
; %bb.165:
	s_waitcnt lgkmcnt(1)
	v_mov_b32_e32 v6, v53
	v_and_b32_e32 v57, 1, v58
	s_waitcnt lgkmcnt(0)
	v_and_b32_e32 v54, 1, v54
	v_cmp_gt_i64_e64 s13, v[3:4], v[5:6]
	v_cmp_eq_u32_e64 s14, 1, v57
	v_cmp_eq_u32_e64 s15, 1, v54
	v_cndmask_b32_e64 v6, v53, v4, s13
	v_cndmask_b32_e64 v5, v5, v3, s13
	v_cmp_eq_u16_e64 s13, 0, v58
	s_or_b32 s14, s14, s15
	v_cndmask_b32_e64 v58, 0, 1, s14
	v_cndmask_b32_e64 v57, 0, 1, s14
	;; [unrolled: 1-line block ×4, first 2 shown]
.LBB175_166:
	s_or_b32 exec_lo, exec_lo, s16
	s_waitcnt lgkmcnt(2)
	v_or_b32_e32 v5, 31, v0
	v_lshrrev_b32_e32 v59, 5, v0
	s_mov_b32 s14, exec_lo
	v_cmpx_eq_u32_e64 v0, v5
	s_cbranch_execz .LBB175_168
; %bb.167:
	v_lshlrev_b32_e32 v5, 4, v59
	ds_write_b64 v5, v[3:4]
	ds_write_b8 v5, v58 offset:8
.LBB175_168:
	s_or_b32 exec_lo, exec_lo, s14
	s_mov_b32 s17, exec_lo
	s_waitcnt lgkmcnt(0)
	s_barrier
	buffer_gl0_inv
	v_cmpx_gt_u32_e32 8, v0
	s_cbranch_execz .LBB175_176
; %bb.169:
	v_lshlrev_b32_e32 v58, 4, v0
	v_and_b32_e32 v60, 7, v56
	s_mov_b32 s15, exec_lo
	ds_read_b64 v[5:6], v58
	ds_read_b32 v63, v58 offset:8
	s_waitcnt lgkmcnt(1)
	v_mov_b32_dpp v53, v5 row_shr:1 row_mask:0xf bank_mask:0xf
	v_mov_b32_dpp v64, v6 row_shr:1 row_mask:0xf bank_mask:0xf
	s_waitcnt lgkmcnt(0)
	v_and_b32_e32 v62, 0xffffff00, v63
	v_mov_b32_dpp v65, v63 row_shr:1 row_mask:0xf bank_mask:0xf
	v_mov_b32_e32 v54, v63
	v_mov_b32_e32 v61, v63
	v_cmpx_ne_u32_e32 0, v60
	s_cbranch_execz .LBB175_171
; %bb.170:
	v_mov_b32_e32 v54, v64
	v_mov_b32_e32 v61, 0
	v_cmp_gt_i64_e64 s13, v[5:6], v[53:54]
	v_or_b32_e32 v54, v65, v63
	v_cmp_eq_u16_sdwa s14, v63, v61 src0_sel:BYTE_0 src1_sel:DWORD
	v_and_b32_e32 v61, 1, v54
	v_cndmask_b32_e64 v64, v64, v6, s13
	v_cndmask_b32_e64 v53, v53, v5, s13
	v_and_b32_e32 v54, 1, v54
	v_or_b32_e32 v63, v61, v62
	v_cndmask_b32_e64 v6, v6, v64, s14
	v_cndmask_b32_e64 v5, v5, v53, s14
.LBB175_171:
	s_or_b32 exec_lo, exec_lo, s15
	v_mov_b32_dpp v53, v5 row_shr:2 row_mask:0xf bank_mask:0xf
	v_mov_b32_dpp v64, v6 row_shr:2 row_mask:0xf bank_mask:0xf
	v_mov_b32_dpp v65, v63 row_shr:2 row_mask:0xf bank_mask:0xf
	s_mov_b32 s20, exec_lo
	v_cmpx_lt_u32_e32 1, v60
	s_cbranch_execz .LBB175_173
; %bb.172:
	v_and_b32_e32 v63, 1, v61
	v_and_b32_e32 v65, 1, v65
	v_mov_b32_e32 v54, v64
	v_mov_b32_e32 v66, 0
	v_cmp_eq_u32_e64 s13, 1, v63
	v_cmp_eq_u32_e64 s14, 1, v65
	v_cmp_gt_i64_e64 s15, v[5:6], v[53:54]
	v_cmp_eq_u16_sdwa s16, v61, v66 src0_sel:BYTE_0 src1_sel:DWORD
	s_or_b32 s13, s13, s14
	v_cndmask_b32_e64 v63, v64, v6, s15
	v_cndmask_b32_e64 v54, 0, 1, s13
	;; [unrolled: 1-line block ×6, first 2 shown]
	v_or_b32_e32 v63, v62, v61
	v_mov_b32_e32 v61, v54
.LBB175_173:
	s_or_b32 exec_lo, exec_lo, s20
	v_mov_b32_dpp v53, v5 row_shr:4 row_mask:0xf bank_mask:0xf
	v_mov_b32_dpp v62, v6 row_shr:4 row_mask:0xf bank_mask:0xf
	;; [unrolled: 1-line block ×3, first 2 shown]
	s_mov_b32 s16, exec_lo
	v_cmpx_lt_u32_e32 3, v60
	s_cbranch_execz .LBB175_175
; %bb.174:
	v_mov_b32_e32 v54, v62
	v_and_b32_e32 v64, 1, v61
	v_mov_b32_e32 v60, 0
	v_cmp_gt_i64_e64 s13, v[5:6], v[53:54]
	v_and_b32_e32 v54, 1, v63
	v_cmp_eq_u32_e64 s15, 1, v64
	v_cmp_eq_u16_sdwa s14, v61, v60 src0_sel:BYTE_0 src1_sel:DWORD
	v_cndmask_b32_e64 v62, v62, v6, s13
	v_cndmask_b32_e64 v53, v53, v5, s13
	v_cmp_eq_u32_e64 s13, 1, v54
	v_cndmask_b32_e64 v6, v6, v62, s14
	v_cndmask_b32_e64 v5, v5, v53, s14
	s_or_b32 s13, s15, s13
	v_cndmask_b32_e64 v54, 0, 1, s13
.LBB175_175:
	s_or_b32 exec_lo, exec_lo, s16
	ds_write_b64 v58, v[5:6]
	ds_write_b8 v58, v54 offset:8
.LBB175_176:
	s_or_b32 exec_lo, exec_lo, s17
	v_mov_b32_e32 v5, 0
	v_mov_b32_e32 v6, 0
	s_mov_b32 s14, exec_lo
	s_waitcnt lgkmcnt(0)
	s_barrier
	buffer_gl0_inv
	v_cmpx_lt_u32_e32 31, v0
	s_cbranch_execz .LBB175_178
; %bb.177:
	v_lshl_add_u32 v5, v59, 4, -16
	ds_read_b64 v[5:6], v5
	s_waitcnt lgkmcnt(0)
	v_cmp_gt_i64_e64 s13, v[3:4], v[5:6]
	v_cndmask_b32_e64 v53, v5, v3, s13
	v_cndmask_b32_e64 v54, v6, v4, s13
	v_cmp_eq_u32_e64 s13, 0, v57
	v_cndmask_b32_e64 v4, v4, v54, s13
	v_cndmask_b32_e64 v3, v3, v53, s13
.LBB175_178:
	s_or_b32 exec_lo, exec_lo, s14
	v_add_nc_u32_e32 v53, -1, v56
	v_cmp_gt_i32_e64 s13, 0, v53
	v_cndmask_b32_e64 v53, v53, v56, s13
	v_lshlrev_b32_e32 v53, 2, v53
	ds_bpermute_b32 v3, v53, v3
	ds_bpermute_b32 v4, v53, v4
	s_and_saveexec_b32 s13, s1
	s_cbranch_execz .LBB175_180
; %bb.179:
	v_cmp_eq_u32_e64 s1, 0, v56
	;;#ASMSTART
	;;#ASMEND
	s_waitcnt lgkmcnt(0)
	v_cndmask_b32_e64 v4, v4, v6, s1
	v_cndmask_b32_e64 v3, v3, v5, s1
	v_mov_b32_e32 v5, 0
	v_cmp_gt_i64_e64 s1, v[1:2], v[3:4]
	v_cndmask_b32_e64 v4, v4, v2, s1
	v_cndmask_b32_e64 v3, v3, v1, s1
	v_cmp_eq_u16_sdwa s1, v81, v5 src0_sel:BYTE_0 src1_sel:DWORD
	v_cndmask_b32_e64 v2, v2, v4, s1
	v_cndmask_b32_e64 v1, v1, v3, s1
	v_cmp_gt_i64_e64 s1, v[9:10], v[1:2]
	v_cndmask_b32_e64 v3, v2, v10, s1
	v_cndmask_b32_e64 v4, v1, v9, s1
	v_cndmask_b32_e32 v30, v10, v3, vcc_lo
	v_cndmask_b32_e32 v29, v9, v4, vcc_lo
	v_cmp_gt_i64_e32 vcc_lo, v[15:16], v[29:30]
	v_cndmask_b32_e32 v3, v30, v16, vcc_lo
	v_cndmask_b32_e32 v4, v29, v15, vcc_lo
	v_cndmask_b32_e64 v32, v16, v3, s2
	v_cndmask_b32_e64 v31, v15, v4, s2
	v_cmp_gt_i64_e32 vcc_lo, v[13:14], v[31:32]
	v_cndmask_b32_e32 v3, v32, v14, vcc_lo
	v_cndmask_b32_e32 v4, v31, v13, vcc_lo
	v_cndmask_b32_e64 v34, v14, v3, s3
	v_cndmask_b32_e64 v33, v13, v4, s3
	v_cmp_gt_i64_e32 vcc_lo, v[19:20], v[33:34]
	v_cndmask_b32_e32 v3, v34, v20, vcc_lo
	v_cndmask_b32_e32 v4, v33, v19, vcc_lo
	v_cndmask_b32_e64 v36, v20, v3, s4
	v_cndmask_b32_e64 v35, v19, v4, s4
	v_cmp_gt_i64_e32 vcc_lo, v[17:18], v[35:36]
	v_cndmask_b32_e32 v3, v36, v18, vcc_lo
	v_cndmask_b32_e32 v4, v35, v17, vcc_lo
	v_cndmask_b32_e64 v38, v18, v3, s5
	v_cndmask_b32_e64 v37, v17, v4, s5
	v_cmp_gt_i64_e32 vcc_lo, v[27:28], v[37:38]
	v_cndmask_b32_e32 v3, v38, v28, vcc_lo
	v_cndmask_b32_e32 v4, v37, v27, vcc_lo
	v_cndmask_b32_e64 v40, v28, v3, s6
	v_cndmask_b32_e64 v39, v27, v4, s6
	v_cmp_gt_i64_e32 vcc_lo, v[25:26], v[39:40]
	v_cndmask_b32_e32 v3, v40, v26, vcc_lo
	v_cndmask_b32_e32 v4, v39, v25, vcc_lo
	v_cndmask_b32_e64 v42, v26, v3, s7
	v_cndmask_b32_e64 v41, v25, v4, s7
	v_cmp_gt_i64_e32 vcc_lo, v[23:24], v[41:42]
	v_cndmask_b32_e32 v3, v42, v24, vcc_lo
	v_cndmask_b32_e32 v4, v41, v23, vcc_lo
	v_cndmask_b32_e64 v44, v24, v3, s8
	v_cndmask_b32_e64 v43, v23, v4, s8
	v_cmp_gt_i64_e32 vcc_lo, v[21:22], v[43:44]
	v_cndmask_b32_e32 v3, v44, v22, vcc_lo
	v_cndmask_b32_e32 v4, v43, v21, vcc_lo
	v_cndmask_b32_e64 v46, v22, v3, s9
	v_cndmask_b32_e64 v45, v21, v4, s9
	v_cmp_gt_i64_e32 vcc_lo, v[71:72], v[45:46]
	v_cndmask_b32_e32 v3, v46, v72, vcc_lo
	v_cndmask_b32_e32 v4, v45, v71, vcc_lo
	v_cndmask_b32_e64 v48, v72, v3, s10
	v_cndmask_b32_e64 v47, v71, v4, s10
	v_cmp_gt_i64_e32 vcc_lo, v[7:8], v[47:48]
	v_cndmask_b32_e32 v3, v48, v8, vcc_lo
	v_cndmask_b32_e32 v4, v47, v7, vcc_lo
	v_cndmask_b32_e64 v50, v8, v3, s11
	v_cndmask_b32_e64 v49, v7, v4, s11
	v_cmp_gt_i64_e32 vcc_lo, v[11:12], v[49:50]
	v_cndmask_b32_e32 v3, v50, v12, vcc_lo
	v_cndmask_b32_e32 v4, v49, v11, vcc_lo
	v_cndmask_b32_e64 v52, v12, v3, s12
	v_cndmask_b32_e64 v51, v11, v4, s12
.LBB175_180:
	s_or_b32 exec_lo, exec_lo, s13
	s_and_saveexec_b32 s1, s0
	s_cbranch_execz .LBB175_182
; %bb.181:
	v_mov_b32_e32 v5, 0
	v_mov_b32_e32 v7, 2
	s_waitcnt lgkmcnt(0)
	ds_read_b64 v[3:4], v5 offset:112
	ds_read_u8 v6, v5 offset:120
	s_waitcnt lgkmcnt(1)
	global_store_dwordx2 v5, v[3:4], s[22:23] offset:512
	s_waitcnt lgkmcnt(0)
	global_store_byte v5, v6, s[22:23] offset:520
	s_waitcnt_vscnt null, 0x0
	buffer_gl1_inv
	buffer_gl0_inv
	global_store_byte v5, v7, s[24:25] offset:32
.LBB175_182:
	s_or_b32 exec_lo, exec_lo, s1
	v_mov_b32_e32 v54, v2
	v_mov_b32_e32 v53, v1
.LBB175_183:
	s_lshl_b64 s[0:1], s[28:29], 3
	s_add_u32 s2, s18, s0
	s_addc_u32 s3, s19, s1
	s_lshl_b64 s[0:1], s[30:31], 3
	s_add_u32 s0, s2, s0
	s_addc_u32 s1, s3, s1
	s_and_b32 vcc_lo, exec_lo, s27
	s_cbranch_vccz .LBB175_227
; %bb.184:
	v_mul_u32_u24_e32 v1, 13, v0
	s_add_i32 s33, s33, s26
	s_mov_b32 s2, exec_lo
	v_cmpx_gt_u32_e64 s33, v1
	s_cbranch_execz .LBB175_202
; %bb.185:
	v_add_nc_u32_e32 v2, 1, v1
	s_mov_b32 s3, exec_lo
	v_cmpx_gt_u32_e64 s33, v2
	s_cbranch_execz .LBB175_201
; %bb.186:
	v_add_nc_u32_e32 v2, 2, v1
	;; [unrolled: 5-line block ×8, first 2 shown]
	s_mov_b32 s10, exec_lo
	v_cmpx_gt_u32_e64 s33, v2
; %bb.193:
	v_add_nc_u32_e32 v2, 9, v1
	s_mov_b32 s11, exec_lo
	v_cmpx_gt_u32_e64 s33, v2
	s_or_b32 exec_lo, exec_lo, s11
; %bb.194:
	s_or_b32 exec_lo, exec_lo, s10
.LBB175_195:
	s_or_b32 exec_lo, exec_lo, s9
.LBB175_196:
	s_or_b32 exec_lo, exec_lo, s8
.LBB175_197:
	s_or_b32 exec_lo, exec_lo, s7
.LBB175_198:
	s_or_b32 exec_lo, exec_lo, s6
.LBB175_199:
	s_or_b32 exec_lo, exec_lo, s5
.LBB175_200:
	s_or_b32 exec_lo, exec_lo, s4
.LBB175_201:
	s_or_b32 exec_lo, exec_lo, s3
.LBB175_202:
	s_or_b32 exec_lo, exec_lo, s2
	v_lshlrev_b32_e32 v27, 3, v1
	s_waitcnt lgkmcnt(0)
	s_waitcnt_vscnt null, 0x0
	s_barrier
	buffer_gl0_inv
	v_sub_co_u32 v25, s2, s0, v55
	v_mad_i32_i24 v1, 0xffffffa0, v0, v27
	ds_write2_b64 v27, v[53:54], v[29:30] offset1:1
	ds_write2_b64 v27, v[31:32], v[33:34] offset0:2 offset1:3
	ds_write2_b64 v27, v[35:36], v[37:38] offset0:4 offset1:5
	;; [unrolled: 1-line block ×5, first 2 shown]
	ds_write_b64 v27, v[51:52] offset:96
	s_waitcnt lgkmcnt(0)
	s_barrier
	buffer_gl0_inv
	ds_read2st64_b64 v[21:24], v1 offset0:4 offset1:8
	ds_read2st64_b64 v[17:20], v1 offset0:12 offset1:16
	;; [unrolled: 1-line block ×6, first 2 shown]
	v_sub_co_ci_u32_e64 v26, null, s1, 0, s2
	s_mov_b32 s2, exec_lo
	v_cmpx_gt_u32_e64 s33, v0
	s_cbranch_execz .LBB175_204
; %bb.203:
	v_mul_i32_i24_e32 v28, 0xffffffa0, v0
	v_add_co_u32 v56, vcc_lo, -8, v25
	v_add_co_ci_u32_e64 v57, null, -1, v26, vcc_lo
	v_add_nc_u32_e32 v27, v27, v28
	ds_read_b64 v[27:28], v27
	s_waitcnt lgkmcnt(0)
	flat_store_dwordx2 v[56:57], v[27:28]
.LBB175_204:
	s_or_b32 exec_lo, exec_lo, s2
	v_or_b32_e32 v27, 0x100, v0
	s_mov_b32 s2, exec_lo
	v_cmpx_gt_u32_e64 s33, v27
	s_cbranch_execz .LBB175_206
; %bb.205:
	v_add_co_u32 v27, vcc_lo, 0xfffff7f8, v25
	v_add_co_ci_u32_e64 v28, null, -1, v26, vcc_lo
	s_waitcnt lgkmcnt(5)
	flat_store_dwordx2 v[27:28], v[21:22]
.LBB175_206:
	s_or_b32 exec_lo, exec_lo, s2
	s_waitcnt lgkmcnt(5)
	v_or_b32_e32 v21, 0x200, v0
	s_mov_b32 s2, exec_lo
	v_cmpx_gt_u32_e64 s33, v21
	s_cbranch_execz .LBB175_208
; %bb.207:
	v_add_co_u32 v21, vcc_lo, 0xffffeff8, v25
	v_add_co_ci_u32_e64 v22, null, -1, v26, vcc_lo
	flat_store_dwordx2 v[21:22], v[23:24]
.LBB175_208:
	s_or_b32 exec_lo, exec_lo, s2
	v_or_b32_e32 v21, 0x300, v0
	s_mov_b32 s2, exec_lo
	v_cmpx_gt_u32_e64 s33, v21
	s_cbranch_execz .LBB175_210
; %bb.209:
	v_add_co_u32 v21, vcc_lo, 0xffffe7f8, v25
	v_add_co_ci_u32_e64 v22, null, -1, v26, vcc_lo
	s_waitcnt lgkmcnt(4)
	flat_store_dwordx2 v[21:22], v[17:18]
.LBB175_210:
	s_or_b32 exec_lo, exec_lo, s2
	s_waitcnt lgkmcnt(4)
	v_or_b32_e32 v17, 0x400, v0
	s_mov_b32 s2, exec_lo
	v_cmpx_gt_u32_e64 s33, v17
	s_cbranch_execz .LBB175_212
; %bb.211:
	v_add_co_u32 v17, vcc_lo, 0xffffdff8, v25
	v_add_co_ci_u32_e64 v18, null, -1, v26, vcc_lo
	flat_store_dwordx2 v[17:18], v[19:20]
.LBB175_212:
	;; [unrolled: 22-line block ×5, first 2 shown]
	s_or_b32 exec_lo, exec_lo, s2
	v_sub_co_u32 v5, s2, 0, v0
	v_or_b32_e32 v7, 0xb00, v0
	v_sub_co_ci_u32_e64 v6, null, 0, 0, s2
	s_mov_b32 s2, exec_lo
	v_cmpx_gt_u32_e64 s33, v7
	s_cbranch_execz .LBB175_226
; %bb.225:
	v_add_co_u32 v7, vcc_lo, 0xffffa7f8, v25
	v_add_co_ci_u32_e64 v8, null, -1, v26, vcc_lo
	s_waitcnt lgkmcnt(0)
	flat_store_dwordx2 v[7:8], v[1:2]
.LBB175_226:
	s_or_b32 exec_lo, exec_lo, s2
	s_waitcnt lgkmcnt(0)
	v_or_b32_e32 v1, 0xc00, v0
	v_cmp_gt_u32_e64 s2, s33, v1
	s_branch .LBB175_229
.LBB175_227:
	s_mov_b32 s2, 0
                                        ; implicit-def: $vgpr3_vgpr4
                                        ; implicit-def: $vgpr5_vgpr6
	s_cbranch_execz .LBB175_229
; %bb.228:
	v_mul_i32_i24_e32 v2, 0xffffffa0, v0
	v_mul_u32_u24_e32 v1, 0x68, v0
	s_waitcnt lgkmcnt(0)
	s_waitcnt_vscnt null, 0x0
	s_barrier
	buffer_gl0_inv
	v_mad_u32_u24 v2, 0x68, v0, v2
	ds_write2_b64 v1, v[53:54], v[29:30] offset1:1
	ds_write2_b64 v1, v[31:32], v[33:34] offset0:2 offset1:3
	ds_write2_b64 v1, v[35:36], v[37:38] offset0:4 offset1:5
	;; [unrolled: 1-line block ×5, first 2 shown]
	ds_write_b64 v1, v[51:52] offset:96
	s_waitcnt lgkmcnt(0)
	s_barrier
	buffer_gl0_inv
	ds_read2st64_b64 v[7:10], v2 offset1:4
	ds_read2st64_b64 v[11:14], v2 offset0:8 offset1:12
	ds_read2st64_b64 v[15:18], v2 offset0:16 offset1:20
	;; [unrolled: 1-line block ×5, first 2 shown]
	v_sub_co_u32 v35, s3, s0, v55
	v_sub_co_ci_u32_e64 v36, null, s1, 0, s3
	ds_read_b64 v[3:4], v2 offset:24576
	v_add_co_u32 v1, vcc_lo, -8, v35
	v_add_co_ci_u32_e64 v2, null, -1, v36, vcc_lo
	v_add_co_u32 v31, vcc_lo, 0xfffff7f8, v35
	v_add_co_ci_u32_e64 v32, null, -1, v36, vcc_lo
	v_add_co_u32 v33, vcc_lo, 0xffffeff8, v35
	v_add_co_ci_u32_e64 v34, null, -1, v36, vcc_lo
	v_sub_co_u32 v5, s3, 0, v0
	v_add_co_u32 v0, vcc_lo, 0xffffe7f8, v35
	s_waitcnt lgkmcnt(6)
	flat_store_dwordx2 v[1:2], v[7:8]
	flat_store_dwordx2 v[31:32], v[9:10]
	s_waitcnt lgkmcnt(7)
	flat_store_dwordx2 v[33:34], v[11:12]
	v_add_co_ci_u32_e64 v1, null, -1, v36, vcc_lo
	v_add_co_u32 v7, vcc_lo, 0xffffdff8, v35
	v_add_co_ci_u32_e64 v8, null, -1, v36, vcc_lo
	v_add_co_u32 v9, vcc_lo, 0xffffd7f8, v35
	;; [unrolled: 2-line block ×4, first 2 shown]
	v_add_co_ci_u32_e64 v32, null, -1, v36, vcc_lo
	flat_store_dwordx2 v[0:1], v[13:14]
	s_waitcnt lgkmcnt(8)
	flat_store_dwordx2 v[7:8], v[15:16]
	flat_store_dwordx2 v[9:10], v[17:18]
	s_waitcnt lgkmcnt(9)
	flat_store_dwordx2 v[11:12], v[19:20]
	flat_store_dwordx2 v[31:32], v[21:22]
	v_add_co_u32 v0, vcc_lo, 0xffffbff8, v35
	v_add_co_ci_u32_e64 v1, null, -1, v36, vcc_lo
	v_add_co_u32 v7, vcc_lo, 0xffffb7f8, v35
	v_add_co_ci_u32_e64 v8, null, -1, v36, vcc_lo
	;; [unrolled: 2-line block ×3, first 2 shown]
	v_add_co_u32 v11, vcc_lo, 0xffffa7f8, v35
	v_sub_co_ci_u32_e64 v6, null, 0, 0, s3
	v_add_co_ci_u32_e64 v12, null, -1, v36, vcc_lo
	s_or_b32 s2, s2, exec_lo
	s_waitcnt lgkmcnt(10)
	flat_store_dwordx2 v[0:1], v[23:24]
	flat_store_dwordx2 v[7:8], v[25:26]
	s_waitcnt lgkmcnt(11)
	flat_store_dwordx2 v[9:10], v[27:28]
	flat_store_dwordx2 v[11:12], v[29:30]
.LBB175_229:
	s_and_saveexec_b32 s3, s2
	s_cbranch_execz .LBB175_231
; %bb.230:
	v_lshlrev_b64 v[0:1], 3, v[5:6]
	v_add_co_u32 v0, vcc_lo, s0, v0
	v_add_co_ci_u32_e64 v1, null, s1, v1, vcc_lo
	v_add_co_u32 v0, vcc_lo, 0xffff9ff8, v0
	v_add_co_ci_u32_e64 v1, null, -1, v1, vcc_lo
	s_waitcnt lgkmcnt(0)
	flat_store_dwordx2 v[0:1], v[3:4]
	s_endpgm
.LBB175_231:
	s_endpgm
	.section	.rodata,"a",@progbits
	.p2align	6, 0x0
	.amdhsa_kernel _ZN7rocprim17ROCPRIM_400000_NS6detail17trampoline_kernelINS0_14default_configENS1_27scan_by_key_config_selectorIllEEZZNS1_16scan_by_key_implILNS1_25lookback_scan_determinismE0ELb0ES3_N6thrust23THRUST_200600_302600_NS16reverse_iteratorIPKlEESD_NSA_IPlEElN6hipcub16HIPCUB_304000_NS3MaxENSH_8EqualityElEE10hipError_tPvRmT2_T3_T4_T5_mT6_T7_P12ihipStream_tbENKUlT_T0_E_clISt17integral_constantIbLb0EESZ_IbLb1EEEEDaSV_SW_EUlSV_E_NS1_11comp_targetILNS1_3genE8ELNS1_11target_archE1030ELNS1_3gpuE2ELNS1_3repE0EEENS1_30default_config_static_selectorELNS0_4arch9wavefront6targetE0EEEvT1_
		.amdhsa_group_segment_fixed_size 30720
		.amdhsa_private_segment_fixed_size 0
		.amdhsa_kernarg_size 136
		.amdhsa_user_sgpr_count 6
		.amdhsa_user_sgpr_private_segment_buffer 1
		.amdhsa_user_sgpr_dispatch_ptr 0
		.amdhsa_user_sgpr_queue_ptr 0
		.amdhsa_user_sgpr_kernarg_segment_ptr 1
		.amdhsa_user_sgpr_dispatch_id 0
		.amdhsa_user_sgpr_flat_scratch_init 0
		.amdhsa_user_sgpr_private_segment_size 0
		.amdhsa_wavefront_size32 1
		.amdhsa_uses_dynamic_stack 0
		.amdhsa_system_sgpr_private_segment_wavefront_offset 0
		.amdhsa_system_sgpr_workgroup_id_x 1
		.amdhsa_system_sgpr_workgroup_id_y 0
		.amdhsa_system_sgpr_workgroup_id_z 0
		.amdhsa_system_sgpr_workgroup_info 0
		.amdhsa_system_vgpr_workitem_id 0
		.amdhsa_next_free_vgpr 113
		.amdhsa_next_free_sgpr 59
		.amdhsa_reserve_vcc 1
		.amdhsa_reserve_flat_scratch 1
		.amdhsa_float_round_mode_32 0
		.amdhsa_float_round_mode_16_64 0
		.amdhsa_float_denorm_mode_32 3
		.amdhsa_float_denorm_mode_16_64 3
		.amdhsa_dx10_clamp 1
		.amdhsa_ieee_mode 1
		.amdhsa_fp16_overflow 0
		.amdhsa_workgroup_processor_mode 1
		.amdhsa_memory_ordered 1
		.amdhsa_forward_progress 1
		.amdhsa_shared_vgpr_count 0
		.amdhsa_exception_fp_ieee_invalid_op 0
		.amdhsa_exception_fp_denorm_src 0
		.amdhsa_exception_fp_ieee_div_zero 0
		.amdhsa_exception_fp_ieee_overflow 0
		.amdhsa_exception_fp_ieee_underflow 0
		.amdhsa_exception_fp_ieee_inexact 0
		.amdhsa_exception_int_div_zero 0
	.end_amdhsa_kernel
	.section	.text._ZN7rocprim17ROCPRIM_400000_NS6detail17trampoline_kernelINS0_14default_configENS1_27scan_by_key_config_selectorIllEEZZNS1_16scan_by_key_implILNS1_25lookback_scan_determinismE0ELb0ES3_N6thrust23THRUST_200600_302600_NS16reverse_iteratorIPKlEESD_NSA_IPlEElN6hipcub16HIPCUB_304000_NS3MaxENSH_8EqualityElEE10hipError_tPvRmT2_T3_T4_T5_mT6_T7_P12ihipStream_tbENKUlT_T0_E_clISt17integral_constantIbLb0EESZ_IbLb1EEEEDaSV_SW_EUlSV_E_NS1_11comp_targetILNS1_3genE8ELNS1_11target_archE1030ELNS1_3gpuE2ELNS1_3repE0EEENS1_30default_config_static_selectorELNS0_4arch9wavefront6targetE0EEEvT1_,"axG",@progbits,_ZN7rocprim17ROCPRIM_400000_NS6detail17trampoline_kernelINS0_14default_configENS1_27scan_by_key_config_selectorIllEEZZNS1_16scan_by_key_implILNS1_25lookback_scan_determinismE0ELb0ES3_N6thrust23THRUST_200600_302600_NS16reverse_iteratorIPKlEESD_NSA_IPlEElN6hipcub16HIPCUB_304000_NS3MaxENSH_8EqualityElEE10hipError_tPvRmT2_T3_T4_T5_mT6_T7_P12ihipStream_tbENKUlT_T0_E_clISt17integral_constantIbLb0EESZ_IbLb1EEEEDaSV_SW_EUlSV_E_NS1_11comp_targetILNS1_3genE8ELNS1_11target_archE1030ELNS1_3gpuE2ELNS1_3repE0EEENS1_30default_config_static_selectorELNS0_4arch9wavefront6targetE0EEEvT1_,comdat
.Lfunc_end175:
	.size	_ZN7rocprim17ROCPRIM_400000_NS6detail17trampoline_kernelINS0_14default_configENS1_27scan_by_key_config_selectorIllEEZZNS1_16scan_by_key_implILNS1_25lookback_scan_determinismE0ELb0ES3_N6thrust23THRUST_200600_302600_NS16reverse_iteratorIPKlEESD_NSA_IPlEElN6hipcub16HIPCUB_304000_NS3MaxENSH_8EqualityElEE10hipError_tPvRmT2_T3_T4_T5_mT6_T7_P12ihipStream_tbENKUlT_T0_E_clISt17integral_constantIbLb0EESZ_IbLb1EEEEDaSV_SW_EUlSV_E_NS1_11comp_targetILNS1_3genE8ELNS1_11target_archE1030ELNS1_3gpuE2ELNS1_3repE0EEENS1_30default_config_static_selectorELNS0_4arch9wavefront6targetE0EEEvT1_, .Lfunc_end175-_ZN7rocprim17ROCPRIM_400000_NS6detail17trampoline_kernelINS0_14default_configENS1_27scan_by_key_config_selectorIllEEZZNS1_16scan_by_key_implILNS1_25lookback_scan_determinismE0ELb0ES3_N6thrust23THRUST_200600_302600_NS16reverse_iteratorIPKlEESD_NSA_IPlEElN6hipcub16HIPCUB_304000_NS3MaxENSH_8EqualityElEE10hipError_tPvRmT2_T3_T4_T5_mT6_T7_P12ihipStream_tbENKUlT_T0_E_clISt17integral_constantIbLb0EESZ_IbLb1EEEEDaSV_SW_EUlSV_E_NS1_11comp_targetILNS1_3genE8ELNS1_11target_archE1030ELNS1_3gpuE2ELNS1_3repE0EEENS1_30default_config_static_selectorELNS0_4arch9wavefront6targetE0EEEvT1_
                                        ; -- End function
	.set _ZN7rocprim17ROCPRIM_400000_NS6detail17trampoline_kernelINS0_14default_configENS1_27scan_by_key_config_selectorIllEEZZNS1_16scan_by_key_implILNS1_25lookback_scan_determinismE0ELb0ES3_N6thrust23THRUST_200600_302600_NS16reverse_iteratorIPKlEESD_NSA_IPlEElN6hipcub16HIPCUB_304000_NS3MaxENSH_8EqualityElEE10hipError_tPvRmT2_T3_T4_T5_mT6_T7_P12ihipStream_tbENKUlT_T0_E_clISt17integral_constantIbLb0EESZ_IbLb1EEEEDaSV_SW_EUlSV_E_NS1_11comp_targetILNS1_3genE8ELNS1_11target_archE1030ELNS1_3gpuE2ELNS1_3repE0EEENS1_30default_config_static_selectorELNS0_4arch9wavefront6targetE0EEEvT1_.num_vgpr, 100
	.set _ZN7rocprim17ROCPRIM_400000_NS6detail17trampoline_kernelINS0_14default_configENS1_27scan_by_key_config_selectorIllEEZZNS1_16scan_by_key_implILNS1_25lookback_scan_determinismE0ELb0ES3_N6thrust23THRUST_200600_302600_NS16reverse_iteratorIPKlEESD_NSA_IPlEElN6hipcub16HIPCUB_304000_NS3MaxENSH_8EqualityElEE10hipError_tPvRmT2_T3_T4_T5_mT6_T7_P12ihipStream_tbENKUlT_T0_E_clISt17integral_constantIbLb0EESZ_IbLb1EEEEDaSV_SW_EUlSV_E_NS1_11comp_targetILNS1_3genE8ELNS1_11target_archE1030ELNS1_3gpuE2ELNS1_3repE0EEENS1_30default_config_static_selectorELNS0_4arch9wavefront6targetE0EEEvT1_.num_agpr, 0
	.set _ZN7rocprim17ROCPRIM_400000_NS6detail17trampoline_kernelINS0_14default_configENS1_27scan_by_key_config_selectorIllEEZZNS1_16scan_by_key_implILNS1_25lookback_scan_determinismE0ELb0ES3_N6thrust23THRUST_200600_302600_NS16reverse_iteratorIPKlEESD_NSA_IPlEElN6hipcub16HIPCUB_304000_NS3MaxENSH_8EqualityElEE10hipError_tPvRmT2_T3_T4_T5_mT6_T7_P12ihipStream_tbENKUlT_T0_E_clISt17integral_constantIbLb0EESZ_IbLb1EEEEDaSV_SW_EUlSV_E_NS1_11comp_targetILNS1_3genE8ELNS1_11target_archE1030ELNS1_3gpuE2ELNS1_3repE0EEENS1_30default_config_static_selectorELNS0_4arch9wavefront6targetE0EEEvT1_.numbered_sgpr, 59
	.set _ZN7rocprim17ROCPRIM_400000_NS6detail17trampoline_kernelINS0_14default_configENS1_27scan_by_key_config_selectorIllEEZZNS1_16scan_by_key_implILNS1_25lookback_scan_determinismE0ELb0ES3_N6thrust23THRUST_200600_302600_NS16reverse_iteratorIPKlEESD_NSA_IPlEElN6hipcub16HIPCUB_304000_NS3MaxENSH_8EqualityElEE10hipError_tPvRmT2_T3_T4_T5_mT6_T7_P12ihipStream_tbENKUlT_T0_E_clISt17integral_constantIbLb0EESZ_IbLb1EEEEDaSV_SW_EUlSV_E_NS1_11comp_targetILNS1_3genE8ELNS1_11target_archE1030ELNS1_3gpuE2ELNS1_3repE0EEENS1_30default_config_static_selectorELNS0_4arch9wavefront6targetE0EEEvT1_.num_named_barrier, 0
	.set _ZN7rocprim17ROCPRIM_400000_NS6detail17trampoline_kernelINS0_14default_configENS1_27scan_by_key_config_selectorIllEEZZNS1_16scan_by_key_implILNS1_25lookback_scan_determinismE0ELb0ES3_N6thrust23THRUST_200600_302600_NS16reverse_iteratorIPKlEESD_NSA_IPlEElN6hipcub16HIPCUB_304000_NS3MaxENSH_8EqualityElEE10hipError_tPvRmT2_T3_T4_T5_mT6_T7_P12ihipStream_tbENKUlT_T0_E_clISt17integral_constantIbLb0EESZ_IbLb1EEEEDaSV_SW_EUlSV_E_NS1_11comp_targetILNS1_3genE8ELNS1_11target_archE1030ELNS1_3gpuE2ELNS1_3repE0EEENS1_30default_config_static_selectorELNS0_4arch9wavefront6targetE0EEEvT1_.private_seg_size, 0
	.set _ZN7rocprim17ROCPRIM_400000_NS6detail17trampoline_kernelINS0_14default_configENS1_27scan_by_key_config_selectorIllEEZZNS1_16scan_by_key_implILNS1_25lookback_scan_determinismE0ELb0ES3_N6thrust23THRUST_200600_302600_NS16reverse_iteratorIPKlEESD_NSA_IPlEElN6hipcub16HIPCUB_304000_NS3MaxENSH_8EqualityElEE10hipError_tPvRmT2_T3_T4_T5_mT6_T7_P12ihipStream_tbENKUlT_T0_E_clISt17integral_constantIbLb0EESZ_IbLb1EEEEDaSV_SW_EUlSV_E_NS1_11comp_targetILNS1_3genE8ELNS1_11target_archE1030ELNS1_3gpuE2ELNS1_3repE0EEENS1_30default_config_static_selectorELNS0_4arch9wavefront6targetE0EEEvT1_.uses_vcc, 1
	.set _ZN7rocprim17ROCPRIM_400000_NS6detail17trampoline_kernelINS0_14default_configENS1_27scan_by_key_config_selectorIllEEZZNS1_16scan_by_key_implILNS1_25lookback_scan_determinismE0ELb0ES3_N6thrust23THRUST_200600_302600_NS16reverse_iteratorIPKlEESD_NSA_IPlEElN6hipcub16HIPCUB_304000_NS3MaxENSH_8EqualityElEE10hipError_tPvRmT2_T3_T4_T5_mT6_T7_P12ihipStream_tbENKUlT_T0_E_clISt17integral_constantIbLb0EESZ_IbLb1EEEEDaSV_SW_EUlSV_E_NS1_11comp_targetILNS1_3genE8ELNS1_11target_archE1030ELNS1_3gpuE2ELNS1_3repE0EEENS1_30default_config_static_selectorELNS0_4arch9wavefront6targetE0EEEvT1_.uses_flat_scratch, 1
	.set _ZN7rocprim17ROCPRIM_400000_NS6detail17trampoline_kernelINS0_14default_configENS1_27scan_by_key_config_selectorIllEEZZNS1_16scan_by_key_implILNS1_25lookback_scan_determinismE0ELb0ES3_N6thrust23THRUST_200600_302600_NS16reverse_iteratorIPKlEESD_NSA_IPlEElN6hipcub16HIPCUB_304000_NS3MaxENSH_8EqualityElEE10hipError_tPvRmT2_T3_T4_T5_mT6_T7_P12ihipStream_tbENKUlT_T0_E_clISt17integral_constantIbLb0EESZ_IbLb1EEEEDaSV_SW_EUlSV_E_NS1_11comp_targetILNS1_3genE8ELNS1_11target_archE1030ELNS1_3gpuE2ELNS1_3repE0EEENS1_30default_config_static_selectorELNS0_4arch9wavefront6targetE0EEEvT1_.has_dyn_sized_stack, 0
	.set _ZN7rocprim17ROCPRIM_400000_NS6detail17trampoline_kernelINS0_14default_configENS1_27scan_by_key_config_selectorIllEEZZNS1_16scan_by_key_implILNS1_25lookback_scan_determinismE0ELb0ES3_N6thrust23THRUST_200600_302600_NS16reverse_iteratorIPKlEESD_NSA_IPlEElN6hipcub16HIPCUB_304000_NS3MaxENSH_8EqualityElEE10hipError_tPvRmT2_T3_T4_T5_mT6_T7_P12ihipStream_tbENKUlT_T0_E_clISt17integral_constantIbLb0EESZ_IbLb1EEEEDaSV_SW_EUlSV_E_NS1_11comp_targetILNS1_3genE8ELNS1_11target_archE1030ELNS1_3gpuE2ELNS1_3repE0EEENS1_30default_config_static_selectorELNS0_4arch9wavefront6targetE0EEEvT1_.has_recursion, 0
	.set _ZN7rocprim17ROCPRIM_400000_NS6detail17trampoline_kernelINS0_14default_configENS1_27scan_by_key_config_selectorIllEEZZNS1_16scan_by_key_implILNS1_25lookback_scan_determinismE0ELb0ES3_N6thrust23THRUST_200600_302600_NS16reverse_iteratorIPKlEESD_NSA_IPlEElN6hipcub16HIPCUB_304000_NS3MaxENSH_8EqualityElEE10hipError_tPvRmT2_T3_T4_T5_mT6_T7_P12ihipStream_tbENKUlT_T0_E_clISt17integral_constantIbLb0EESZ_IbLb1EEEEDaSV_SW_EUlSV_E_NS1_11comp_targetILNS1_3genE8ELNS1_11target_archE1030ELNS1_3gpuE2ELNS1_3repE0EEENS1_30default_config_static_selectorELNS0_4arch9wavefront6targetE0EEEvT1_.has_indirect_call, 0
	.section	.AMDGPU.csdata,"",@progbits
; Kernel info:
; codeLenInByte = 16100
; TotalNumSgprs: 61
; NumVgprs: 100
; ScratchSize: 0
; MemoryBound: 0
; FloatMode: 240
; IeeeMode: 1
; LDSByteSize: 30720 bytes/workgroup (compile time only)
; SGPRBlocks: 0
; VGPRBlocks: 14
; NumSGPRsForWavesPerEU: 61
; NumVGPRsForWavesPerEU: 113
; Occupancy: 8
; WaveLimiterHint : 1
; COMPUTE_PGM_RSRC2:SCRATCH_EN: 0
; COMPUTE_PGM_RSRC2:USER_SGPR: 6
; COMPUTE_PGM_RSRC2:TRAP_HANDLER: 0
; COMPUTE_PGM_RSRC2:TGID_X_EN: 1
; COMPUTE_PGM_RSRC2:TGID_Y_EN: 0
; COMPUTE_PGM_RSRC2:TGID_Z_EN: 0
; COMPUTE_PGM_RSRC2:TIDIG_COMP_CNT: 0
	.section	.text._ZN2at6native12_GLOBAL__N_136embedding_renorm_wrap_indices_kernelIiEEvPKT_PS3_ll,"axG",@progbits,_ZN2at6native12_GLOBAL__N_136embedding_renorm_wrap_indices_kernelIiEEvPKT_PS3_ll,comdat
	.globl	_ZN2at6native12_GLOBAL__N_136embedding_renorm_wrap_indices_kernelIiEEvPKT_PS3_ll ; -- Begin function _ZN2at6native12_GLOBAL__N_136embedding_renorm_wrap_indices_kernelIiEEvPKT_PS3_ll
	.p2align	8
	.type	_ZN2at6native12_GLOBAL__N_136embedding_renorm_wrap_indices_kernelIiEEvPKT_PS3_ll,@function
_ZN2at6native12_GLOBAL__N_136embedding_renorm_wrap_indices_kernelIiEEvPKT_PS3_ll: ; @_ZN2at6native12_GLOBAL__N_136embedding_renorm_wrap_indices_kernelIiEEvPKT_PS3_ll
; %bb.0:
	s_clause 0x1
	s_load_dword s0, s[4:5], 0x2c
	s_load_dwordx8 s[8:15], s[4:5], 0x0
	v_mov_b32_e32 v1, 0
	s_waitcnt lgkmcnt(0)
	s_and_b32 s0, s0, 0xffff
	v_mad_u64_u32 v[0:1], null, s0, s6, v[0:1]
	s_mov_b32 s0, exec_lo
	v_cmpx_gt_i64_e64 s[12:13], v[0:1]
	s_cbranch_execz .LBB176_6
; %bb.1:
	v_lshlrev_b64 v[0:1], 2, v[0:1]
	s_sub_u32 s0, 0, s14
	s_subb_u32 s1, 0, s15
	v_add_co_u32 v2, vcc_lo, s8, v0
	v_add_co_ci_u32_e64 v3, null, s9, v1, vcc_lo
	global_load_dword v2, v[2:3], off
	s_waitcnt vmcnt(0)
	v_ashrrev_i32_e32 v3, 31, v2
	v_cmp_le_i64_e32 vcc_lo, s[0:1], v[2:3]
	s_mov_b32 s1, -1
	s_and_saveexec_b32 s0, vcc_lo
	s_cbranch_execz .LBB176_5
; %bb.2:
	s_getpc_b64 s[2:3]
	s_add_u32 s2, s2, .str.4@rel32@lo+4
	s_addc_u32 s3, s3, .str.4@rel32@hi+12
	v_cmp_le_i64_e32 vcc_lo, s[14:15], v[2:3]
	s_cmp_eq_u64 s[2:3], 0
	s_cselect_b32 s1, -1, 0
	s_or_b32 s1, vcc_lo, s1
	s_xor_b32 s3, s1, -1
	s_and_saveexec_b32 s2, s3
; %bb.3:
	v_ashrrev_i32_e32 v3, 31, v2
	v_add_co_u32 v0, vcc_lo, s10, v0
	v_add_co_ci_u32_e64 v1, null, s11, v1, vcc_lo
	v_and_b32_e32 v3, s14, v3
	v_add_nc_u32_e32 v2, v3, v2
	global_store_dword v[0:1], v2, off
; %bb.4:
	s_or_b32 exec_lo, exec_lo, s2
	s_orn2_b32 s1, s1, exec_lo
.LBB176_5:
	s_or_b32 exec_lo, exec_lo, s0
	s_and_b32 exec_lo, exec_lo, s1
	s_cbranch_execnz .LBB176_7
.LBB176_6:
	s_endpgm
.LBB176_7:
	s_trap 2
	; divergent unreachable
	s_endpgm
	.section	.rodata,"a",@progbits
	.p2align	6, 0x0
	.amdhsa_kernel _ZN2at6native12_GLOBAL__N_136embedding_renorm_wrap_indices_kernelIiEEvPKT_PS3_ll
		.amdhsa_group_segment_fixed_size 0
		.amdhsa_private_segment_fixed_size 0
		.amdhsa_kernarg_size 288
		.amdhsa_user_sgpr_count 6
		.amdhsa_user_sgpr_private_segment_buffer 1
		.amdhsa_user_sgpr_dispatch_ptr 0
		.amdhsa_user_sgpr_queue_ptr 0
		.amdhsa_user_sgpr_kernarg_segment_ptr 1
		.amdhsa_user_sgpr_dispatch_id 0
		.amdhsa_user_sgpr_flat_scratch_init 0
		.amdhsa_user_sgpr_private_segment_size 0
		.amdhsa_wavefront_size32 1
		.amdhsa_uses_dynamic_stack 0
		.amdhsa_system_sgpr_private_segment_wavefront_offset 0
		.amdhsa_system_sgpr_workgroup_id_x 1
		.amdhsa_system_sgpr_workgroup_id_y 0
		.amdhsa_system_sgpr_workgroup_id_z 0
		.amdhsa_system_sgpr_workgroup_info 0
		.amdhsa_system_vgpr_workitem_id 0
		.amdhsa_next_free_vgpr 4
		.amdhsa_next_free_sgpr 16
		.amdhsa_reserve_vcc 1
		.amdhsa_reserve_flat_scratch 0
		.amdhsa_float_round_mode_32 0
		.amdhsa_float_round_mode_16_64 0
		.amdhsa_float_denorm_mode_32 3
		.amdhsa_float_denorm_mode_16_64 3
		.amdhsa_dx10_clamp 1
		.amdhsa_ieee_mode 1
		.amdhsa_fp16_overflow 0
		.amdhsa_workgroup_processor_mode 1
		.amdhsa_memory_ordered 1
		.amdhsa_forward_progress 1
		.amdhsa_shared_vgpr_count 0
		.amdhsa_exception_fp_ieee_invalid_op 0
		.amdhsa_exception_fp_denorm_src 0
		.amdhsa_exception_fp_ieee_div_zero 0
		.amdhsa_exception_fp_ieee_overflow 0
		.amdhsa_exception_fp_ieee_underflow 0
		.amdhsa_exception_fp_ieee_inexact 0
		.amdhsa_exception_int_div_zero 0
	.end_amdhsa_kernel
	.section	.text._ZN2at6native12_GLOBAL__N_136embedding_renorm_wrap_indices_kernelIiEEvPKT_PS3_ll,"axG",@progbits,_ZN2at6native12_GLOBAL__N_136embedding_renorm_wrap_indices_kernelIiEEvPKT_PS3_ll,comdat
.Lfunc_end176:
	.size	_ZN2at6native12_GLOBAL__N_136embedding_renorm_wrap_indices_kernelIiEEvPKT_PS3_ll, .Lfunc_end176-_ZN2at6native12_GLOBAL__N_136embedding_renorm_wrap_indices_kernelIiEEvPKT_PS3_ll
                                        ; -- End function
	.set _ZN2at6native12_GLOBAL__N_136embedding_renorm_wrap_indices_kernelIiEEvPKT_PS3_ll.num_vgpr, 4
	.set _ZN2at6native12_GLOBAL__N_136embedding_renorm_wrap_indices_kernelIiEEvPKT_PS3_ll.num_agpr, 0
	.set _ZN2at6native12_GLOBAL__N_136embedding_renorm_wrap_indices_kernelIiEEvPKT_PS3_ll.numbered_sgpr, 16
	.set _ZN2at6native12_GLOBAL__N_136embedding_renorm_wrap_indices_kernelIiEEvPKT_PS3_ll.num_named_barrier, 0
	.set _ZN2at6native12_GLOBAL__N_136embedding_renorm_wrap_indices_kernelIiEEvPKT_PS3_ll.private_seg_size, 0
	.set _ZN2at6native12_GLOBAL__N_136embedding_renorm_wrap_indices_kernelIiEEvPKT_PS3_ll.uses_vcc, 1
	.set _ZN2at6native12_GLOBAL__N_136embedding_renorm_wrap_indices_kernelIiEEvPKT_PS3_ll.uses_flat_scratch, 0
	.set _ZN2at6native12_GLOBAL__N_136embedding_renorm_wrap_indices_kernelIiEEvPKT_PS3_ll.has_dyn_sized_stack, 0
	.set _ZN2at6native12_GLOBAL__N_136embedding_renorm_wrap_indices_kernelIiEEvPKT_PS3_ll.has_recursion, 0
	.set _ZN2at6native12_GLOBAL__N_136embedding_renorm_wrap_indices_kernelIiEEvPKT_PS3_ll.has_indirect_call, 0
	.section	.AMDGPU.csdata,"",@progbits
; Kernel info:
; codeLenInByte = 236
; TotalNumSgprs: 18
; NumVgprs: 4
; ScratchSize: 0
; MemoryBound: 0
; FloatMode: 240
; IeeeMode: 1
; LDSByteSize: 0 bytes/workgroup (compile time only)
; SGPRBlocks: 0
; VGPRBlocks: 0
; NumSGPRsForWavesPerEU: 18
; NumVGPRsForWavesPerEU: 4
; Occupancy: 16
; WaveLimiterHint : 0
; COMPUTE_PGM_RSRC2:SCRATCH_EN: 0
; COMPUTE_PGM_RSRC2:USER_SGPR: 6
; COMPUTE_PGM_RSRC2:TRAP_HANDLER: 0
; COMPUTE_PGM_RSRC2:TGID_X_EN: 1
; COMPUTE_PGM_RSRC2:TGID_Y_EN: 0
; COMPUTE_PGM_RSRC2:TGID_Z_EN: 0
; COMPUTE_PGM_RSRC2:TIDIG_COMP_CNT: 0
	.section	.text._ZN7rocprim17ROCPRIM_400000_NS6detail31init_lookback_scan_state_kernelINS1_19lookback_scan_stateIjLb0ELb1EEENS1_16block_id_wrapperIjLb0EEEEEvT_jT0_jPNS7_10value_typeE,"axG",@progbits,_ZN7rocprim17ROCPRIM_400000_NS6detail31init_lookback_scan_state_kernelINS1_19lookback_scan_stateIjLb0ELb1EEENS1_16block_id_wrapperIjLb0EEEEEvT_jT0_jPNS7_10value_typeE,comdat
	.protected	_ZN7rocprim17ROCPRIM_400000_NS6detail31init_lookback_scan_state_kernelINS1_19lookback_scan_stateIjLb0ELb1EEENS1_16block_id_wrapperIjLb0EEEEEvT_jT0_jPNS7_10value_typeE ; -- Begin function _ZN7rocprim17ROCPRIM_400000_NS6detail31init_lookback_scan_state_kernelINS1_19lookback_scan_stateIjLb0ELb1EEENS1_16block_id_wrapperIjLb0EEEEEvT_jT0_jPNS7_10value_typeE
	.globl	_ZN7rocprim17ROCPRIM_400000_NS6detail31init_lookback_scan_state_kernelINS1_19lookback_scan_stateIjLb0ELb1EEENS1_16block_id_wrapperIjLb0EEEEEvT_jT0_jPNS7_10value_typeE
	.p2align	8
	.type	_ZN7rocprim17ROCPRIM_400000_NS6detail31init_lookback_scan_state_kernelINS1_19lookback_scan_stateIjLb0ELb1EEENS1_16block_id_wrapperIjLb0EEEEEvT_jT0_jPNS7_10value_typeE,@function
_ZN7rocprim17ROCPRIM_400000_NS6detail31init_lookback_scan_state_kernelINS1_19lookback_scan_stateIjLb0ELb1EEENS1_16block_id_wrapperIjLb0EEEEEvT_jT0_jPNS7_10value_typeE: ; @_ZN7rocprim17ROCPRIM_400000_NS6detail31init_lookback_scan_state_kernelINS1_19lookback_scan_stateIjLb0ELb1EEENS1_16block_id_wrapperIjLb0EEEEEvT_jT0_jPNS7_10value_typeE
; %bb.0:
	s_clause 0x3
	s_load_dword s8, s[4:5], 0x2c
	s_load_dwordx2 s[2:3], s[4:5], 0x18
	s_load_dwordx2 s[0:1], s[4:5], 0x0
	s_load_dword s7, s[4:5], 0x8
	s_waitcnt lgkmcnt(0)
	s_and_b32 s8, s8, 0xffff
	s_cmp_eq_u64 s[2:3], 0
	v_mad_u64_u32 v[0:1], null, s6, s8, v[0:1]
	s_cbranch_scc1 .LBB177_6
; %bb.1:
	s_load_dword s4, s[4:5], 0x10
	s_waitcnt lgkmcnt(0)
	s_cmp_lt_u32 s4, s7
	s_cselect_b32 s5, s4, 0
	v_cmp_eq_u32_e32 vcc_lo, s5, v0
	s_mov_b32 s5, 0
	s_and_saveexec_b32 s6, vcc_lo
	s_cbranch_execz .LBB177_5
; %bb.2:
	s_add_i32 s4, s4, 32
	v_mov_b32_e32 v3, 0
	s_lshl_b64 s[4:5], s[4:5], 3
	s_add_u32 s4, s0, s4
	s_addc_u32 s5, s1, s5
	global_load_dwordx2 v[1:2], v3, s[4:5] glc dlc
	s_waitcnt vmcnt(0)
	v_and_b32_e32 v4, 0xff, v2
	v_cmp_ne_u64_e32 vcc_lo, 0, v[3:4]
	s_cbranch_vccnz .LBB177_4
.LBB177_3:                              ; =>This Inner Loop Header: Depth=1
	global_load_dwordx2 v[1:2], v3, s[4:5] glc dlc
	s_waitcnt vmcnt(0)
	v_and_b32_e32 v4, 0xff, v2
	v_cmp_eq_u64_e32 vcc_lo, 0, v[3:4]
	s_cbranch_vccnz .LBB177_3
.LBB177_4:
	v_mov_b32_e32 v2, 0
	global_store_dword v2, v1, s[2:3]
.LBB177_5:
	s_or_b32 exec_lo, exec_lo, s6
.LBB177_6:
	s_mov_b32 s2, exec_lo
	v_cmpx_gt_u32_e64 s7, v0
	s_cbranch_execz .LBB177_8
; %bb.7:
	v_add_nc_u32_e32 v1, 32, v0
	v_mov_b32_e32 v2, 0
	v_lshlrev_b64 v[3:4], 3, v[1:2]
	v_mov_b32_e32 v1, v2
	v_add_co_u32 v3, vcc_lo, s0, v3
	v_add_co_ci_u32_e64 v4, null, s1, v4, vcc_lo
	global_store_dwordx2 v[3:4], v[1:2], off
.LBB177_8:
	s_or_b32 exec_lo, exec_lo, s2
	s_mov_b32 s2, exec_lo
	v_cmpx_gt_u32_e32 32, v0
	s_cbranch_execz .LBB177_10
; %bb.9:
	v_mov_b32_e32 v1, 0
	v_mov_b32_e32 v4, 0xff
	v_lshlrev_b64 v[2:3], 3, v[0:1]
	v_add_co_u32 v5, vcc_lo, s0, v2
	v_add_co_ci_u32_e64 v6, null, s1, v3, vcc_lo
	v_mov_b32_e32 v3, v1
	global_store_dwordx2 v[5:6], v[3:4], off
.LBB177_10:
	s_endpgm
	.section	.rodata,"a",@progbits
	.p2align	6, 0x0
	.amdhsa_kernel _ZN7rocprim17ROCPRIM_400000_NS6detail31init_lookback_scan_state_kernelINS1_19lookback_scan_stateIjLb0ELb1EEENS1_16block_id_wrapperIjLb0EEEEEvT_jT0_jPNS7_10value_typeE
		.amdhsa_group_segment_fixed_size 0
		.amdhsa_private_segment_fixed_size 0
		.amdhsa_kernarg_size 288
		.amdhsa_user_sgpr_count 6
		.amdhsa_user_sgpr_private_segment_buffer 1
		.amdhsa_user_sgpr_dispatch_ptr 0
		.amdhsa_user_sgpr_queue_ptr 0
		.amdhsa_user_sgpr_kernarg_segment_ptr 1
		.amdhsa_user_sgpr_dispatch_id 0
		.amdhsa_user_sgpr_flat_scratch_init 0
		.amdhsa_user_sgpr_private_segment_size 0
		.amdhsa_wavefront_size32 1
		.amdhsa_uses_dynamic_stack 0
		.amdhsa_system_sgpr_private_segment_wavefront_offset 0
		.amdhsa_system_sgpr_workgroup_id_x 1
		.amdhsa_system_sgpr_workgroup_id_y 0
		.amdhsa_system_sgpr_workgroup_id_z 0
		.amdhsa_system_sgpr_workgroup_info 0
		.amdhsa_system_vgpr_workitem_id 0
		.amdhsa_next_free_vgpr 7
		.amdhsa_next_free_sgpr 9
		.amdhsa_reserve_vcc 1
		.amdhsa_reserve_flat_scratch 0
		.amdhsa_float_round_mode_32 0
		.amdhsa_float_round_mode_16_64 0
		.amdhsa_float_denorm_mode_32 3
		.amdhsa_float_denorm_mode_16_64 3
		.amdhsa_dx10_clamp 1
		.amdhsa_ieee_mode 1
		.amdhsa_fp16_overflow 0
		.amdhsa_workgroup_processor_mode 1
		.amdhsa_memory_ordered 1
		.amdhsa_forward_progress 1
		.amdhsa_shared_vgpr_count 0
		.amdhsa_exception_fp_ieee_invalid_op 0
		.amdhsa_exception_fp_denorm_src 0
		.amdhsa_exception_fp_ieee_div_zero 0
		.amdhsa_exception_fp_ieee_overflow 0
		.amdhsa_exception_fp_ieee_underflow 0
		.amdhsa_exception_fp_ieee_inexact 0
		.amdhsa_exception_int_div_zero 0
	.end_amdhsa_kernel
	.section	.text._ZN7rocprim17ROCPRIM_400000_NS6detail31init_lookback_scan_state_kernelINS1_19lookback_scan_stateIjLb0ELb1EEENS1_16block_id_wrapperIjLb0EEEEEvT_jT0_jPNS7_10value_typeE,"axG",@progbits,_ZN7rocprim17ROCPRIM_400000_NS6detail31init_lookback_scan_state_kernelINS1_19lookback_scan_stateIjLb0ELb1EEENS1_16block_id_wrapperIjLb0EEEEEvT_jT0_jPNS7_10value_typeE,comdat
.Lfunc_end177:
	.size	_ZN7rocprim17ROCPRIM_400000_NS6detail31init_lookback_scan_state_kernelINS1_19lookback_scan_stateIjLb0ELb1EEENS1_16block_id_wrapperIjLb0EEEEEvT_jT0_jPNS7_10value_typeE, .Lfunc_end177-_ZN7rocprim17ROCPRIM_400000_NS6detail31init_lookback_scan_state_kernelINS1_19lookback_scan_stateIjLb0ELb1EEENS1_16block_id_wrapperIjLb0EEEEEvT_jT0_jPNS7_10value_typeE
                                        ; -- End function
	.set _ZN7rocprim17ROCPRIM_400000_NS6detail31init_lookback_scan_state_kernelINS1_19lookback_scan_stateIjLb0ELb1EEENS1_16block_id_wrapperIjLb0EEEEEvT_jT0_jPNS7_10value_typeE.num_vgpr, 7
	.set _ZN7rocprim17ROCPRIM_400000_NS6detail31init_lookback_scan_state_kernelINS1_19lookback_scan_stateIjLb0ELb1EEENS1_16block_id_wrapperIjLb0EEEEEvT_jT0_jPNS7_10value_typeE.num_agpr, 0
	.set _ZN7rocprim17ROCPRIM_400000_NS6detail31init_lookback_scan_state_kernelINS1_19lookback_scan_stateIjLb0ELb1EEENS1_16block_id_wrapperIjLb0EEEEEvT_jT0_jPNS7_10value_typeE.numbered_sgpr, 9
	.set _ZN7rocprim17ROCPRIM_400000_NS6detail31init_lookback_scan_state_kernelINS1_19lookback_scan_stateIjLb0ELb1EEENS1_16block_id_wrapperIjLb0EEEEEvT_jT0_jPNS7_10value_typeE.num_named_barrier, 0
	.set _ZN7rocprim17ROCPRIM_400000_NS6detail31init_lookback_scan_state_kernelINS1_19lookback_scan_stateIjLb0ELb1EEENS1_16block_id_wrapperIjLb0EEEEEvT_jT0_jPNS7_10value_typeE.private_seg_size, 0
	.set _ZN7rocprim17ROCPRIM_400000_NS6detail31init_lookback_scan_state_kernelINS1_19lookback_scan_stateIjLb0ELb1EEENS1_16block_id_wrapperIjLb0EEEEEvT_jT0_jPNS7_10value_typeE.uses_vcc, 1
	.set _ZN7rocprim17ROCPRIM_400000_NS6detail31init_lookback_scan_state_kernelINS1_19lookback_scan_stateIjLb0ELb1EEENS1_16block_id_wrapperIjLb0EEEEEvT_jT0_jPNS7_10value_typeE.uses_flat_scratch, 0
	.set _ZN7rocprim17ROCPRIM_400000_NS6detail31init_lookback_scan_state_kernelINS1_19lookback_scan_stateIjLb0ELb1EEENS1_16block_id_wrapperIjLb0EEEEEvT_jT0_jPNS7_10value_typeE.has_dyn_sized_stack, 0
	.set _ZN7rocprim17ROCPRIM_400000_NS6detail31init_lookback_scan_state_kernelINS1_19lookback_scan_stateIjLb0ELb1EEENS1_16block_id_wrapperIjLb0EEEEEvT_jT0_jPNS7_10value_typeE.has_recursion, 0
	.set _ZN7rocprim17ROCPRIM_400000_NS6detail31init_lookback_scan_state_kernelINS1_19lookback_scan_stateIjLb0ELb1EEENS1_16block_id_wrapperIjLb0EEEEEvT_jT0_jPNS7_10value_typeE.has_indirect_call, 0
	.section	.AMDGPU.csdata,"",@progbits
; Kernel info:
; codeLenInByte = 320
; TotalNumSgprs: 11
; NumVgprs: 7
; ScratchSize: 0
; MemoryBound: 0
; FloatMode: 240
; IeeeMode: 1
; LDSByteSize: 0 bytes/workgroup (compile time only)
; SGPRBlocks: 0
; VGPRBlocks: 0
; NumSGPRsForWavesPerEU: 11
; NumVGPRsForWavesPerEU: 7
; Occupancy: 16
; WaveLimiterHint : 0
; COMPUTE_PGM_RSRC2:SCRATCH_EN: 0
; COMPUTE_PGM_RSRC2:USER_SGPR: 6
; COMPUTE_PGM_RSRC2:TRAP_HANDLER: 0
; COMPUTE_PGM_RSRC2:TGID_X_EN: 1
; COMPUTE_PGM_RSRC2:TGID_Y_EN: 0
; COMPUTE_PGM_RSRC2:TGID_Z_EN: 0
; COMPUTE_PGM_RSRC2:TIDIG_COMP_CNT: 0
	.section	.text._ZN7rocprim17ROCPRIM_400000_NS6detail17trampoline_kernelINS0_14default_configENS1_25partition_config_selectorILNS1_17partition_subalgoE8EiNS0_10empty_typeEbEEZZNS1_14partition_implILS5_8ELb0ES3_jPKiPS6_PKS6_NS0_5tupleIJPiS6_EEENSE_IJSB_SB_EEENS0_18inequality_wrapperIN6hipcub16HIPCUB_304000_NS8EqualityEEEPlJS6_EEE10hipError_tPvRmT3_T4_T5_T6_T7_T9_mT8_P12ihipStream_tbDpT10_ENKUlT_T0_E_clISt17integral_constantIbLb0EES17_EEDaS12_S13_EUlS12_E_NS1_11comp_targetILNS1_3genE0ELNS1_11target_archE4294967295ELNS1_3gpuE0ELNS1_3repE0EEENS1_30default_config_static_selectorELNS0_4arch9wavefront6targetE0EEEvT1_,"axG",@progbits,_ZN7rocprim17ROCPRIM_400000_NS6detail17trampoline_kernelINS0_14default_configENS1_25partition_config_selectorILNS1_17partition_subalgoE8EiNS0_10empty_typeEbEEZZNS1_14partition_implILS5_8ELb0ES3_jPKiPS6_PKS6_NS0_5tupleIJPiS6_EEENSE_IJSB_SB_EEENS0_18inequality_wrapperIN6hipcub16HIPCUB_304000_NS8EqualityEEEPlJS6_EEE10hipError_tPvRmT3_T4_T5_T6_T7_T9_mT8_P12ihipStream_tbDpT10_ENKUlT_T0_E_clISt17integral_constantIbLb0EES17_EEDaS12_S13_EUlS12_E_NS1_11comp_targetILNS1_3genE0ELNS1_11target_archE4294967295ELNS1_3gpuE0ELNS1_3repE0EEENS1_30default_config_static_selectorELNS0_4arch9wavefront6targetE0EEEvT1_,comdat
	.protected	_ZN7rocprim17ROCPRIM_400000_NS6detail17trampoline_kernelINS0_14default_configENS1_25partition_config_selectorILNS1_17partition_subalgoE8EiNS0_10empty_typeEbEEZZNS1_14partition_implILS5_8ELb0ES3_jPKiPS6_PKS6_NS0_5tupleIJPiS6_EEENSE_IJSB_SB_EEENS0_18inequality_wrapperIN6hipcub16HIPCUB_304000_NS8EqualityEEEPlJS6_EEE10hipError_tPvRmT3_T4_T5_T6_T7_T9_mT8_P12ihipStream_tbDpT10_ENKUlT_T0_E_clISt17integral_constantIbLb0EES17_EEDaS12_S13_EUlS12_E_NS1_11comp_targetILNS1_3genE0ELNS1_11target_archE4294967295ELNS1_3gpuE0ELNS1_3repE0EEENS1_30default_config_static_selectorELNS0_4arch9wavefront6targetE0EEEvT1_ ; -- Begin function _ZN7rocprim17ROCPRIM_400000_NS6detail17trampoline_kernelINS0_14default_configENS1_25partition_config_selectorILNS1_17partition_subalgoE8EiNS0_10empty_typeEbEEZZNS1_14partition_implILS5_8ELb0ES3_jPKiPS6_PKS6_NS0_5tupleIJPiS6_EEENSE_IJSB_SB_EEENS0_18inequality_wrapperIN6hipcub16HIPCUB_304000_NS8EqualityEEEPlJS6_EEE10hipError_tPvRmT3_T4_T5_T6_T7_T9_mT8_P12ihipStream_tbDpT10_ENKUlT_T0_E_clISt17integral_constantIbLb0EES17_EEDaS12_S13_EUlS12_E_NS1_11comp_targetILNS1_3genE0ELNS1_11target_archE4294967295ELNS1_3gpuE0ELNS1_3repE0EEENS1_30default_config_static_selectorELNS0_4arch9wavefront6targetE0EEEvT1_
	.globl	_ZN7rocprim17ROCPRIM_400000_NS6detail17trampoline_kernelINS0_14default_configENS1_25partition_config_selectorILNS1_17partition_subalgoE8EiNS0_10empty_typeEbEEZZNS1_14partition_implILS5_8ELb0ES3_jPKiPS6_PKS6_NS0_5tupleIJPiS6_EEENSE_IJSB_SB_EEENS0_18inequality_wrapperIN6hipcub16HIPCUB_304000_NS8EqualityEEEPlJS6_EEE10hipError_tPvRmT3_T4_T5_T6_T7_T9_mT8_P12ihipStream_tbDpT10_ENKUlT_T0_E_clISt17integral_constantIbLb0EES17_EEDaS12_S13_EUlS12_E_NS1_11comp_targetILNS1_3genE0ELNS1_11target_archE4294967295ELNS1_3gpuE0ELNS1_3repE0EEENS1_30default_config_static_selectorELNS0_4arch9wavefront6targetE0EEEvT1_
	.p2align	8
	.type	_ZN7rocprim17ROCPRIM_400000_NS6detail17trampoline_kernelINS0_14default_configENS1_25partition_config_selectorILNS1_17partition_subalgoE8EiNS0_10empty_typeEbEEZZNS1_14partition_implILS5_8ELb0ES3_jPKiPS6_PKS6_NS0_5tupleIJPiS6_EEENSE_IJSB_SB_EEENS0_18inequality_wrapperIN6hipcub16HIPCUB_304000_NS8EqualityEEEPlJS6_EEE10hipError_tPvRmT3_T4_T5_T6_T7_T9_mT8_P12ihipStream_tbDpT10_ENKUlT_T0_E_clISt17integral_constantIbLb0EES17_EEDaS12_S13_EUlS12_E_NS1_11comp_targetILNS1_3genE0ELNS1_11target_archE4294967295ELNS1_3gpuE0ELNS1_3repE0EEENS1_30default_config_static_selectorELNS0_4arch9wavefront6targetE0EEEvT1_,@function
_ZN7rocprim17ROCPRIM_400000_NS6detail17trampoline_kernelINS0_14default_configENS1_25partition_config_selectorILNS1_17partition_subalgoE8EiNS0_10empty_typeEbEEZZNS1_14partition_implILS5_8ELb0ES3_jPKiPS6_PKS6_NS0_5tupleIJPiS6_EEENSE_IJSB_SB_EEENS0_18inequality_wrapperIN6hipcub16HIPCUB_304000_NS8EqualityEEEPlJS6_EEE10hipError_tPvRmT3_T4_T5_T6_T7_T9_mT8_P12ihipStream_tbDpT10_ENKUlT_T0_E_clISt17integral_constantIbLb0EES17_EEDaS12_S13_EUlS12_E_NS1_11comp_targetILNS1_3genE0ELNS1_11target_archE4294967295ELNS1_3gpuE0ELNS1_3repE0EEENS1_30default_config_static_selectorELNS0_4arch9wavefront6targetE0EEEvT1_: ; @_ZN7rocprim17ROCPRIM_400000_NS6detail17trampoline_kernelINS0_14default_configENS1_25partition_config_selectorILNS1_17partition_subalgoE8EiNS0_10empty_typeEbEEZZNS1_14partition_implILS5_8ELb0ES3_jPKiPS6_PKS6_NS0_5tupleIJPiS6_EEENSE_IJSB_SB_EEENS0_18inequality_wrapperIN6hipcub16HIPCUB_304000_NS8EqualityEEEPlJS6_EEE10hipError_tPvRmT3_T4_T5_T6_T7_T9_mT8_P12ihipStream_tbDpT10_ENKUlT_T0_E_clISt17integral_constantIbLb0EES17_EEDaS12_S13_EUlS12_E_NS1_11comp_targetILNS1_3genE0ELNS1_11target_archE4294967295ELNS1_3gpuE0ELNS1_3repE0EEENS1_30default_config_static_selectorELNS0_4arch9wavefront6targetE0EEEvT1_
; %bb.0:
	.section	.rodata,"a",@progbits
	.p2align	6, 0x0
	.amdhsa_kernel _ZN7rocprim17ROCPRIM_400000_NS6detail17trampoline_kernelINS0_14default_configENS1_25partition_config_selectorILNS1_17partition_subalgoE8EiNS0_10empty_typeEbEEZZNS1_14partition_implILS5_8ELb0ES3_jPKiPS6_PKS6_NS0_5tupleIJPiS6_EEENSE_IJSB_SB_EEENS0_18inequality_wrapperIN6hipcub16HIPCUB_304000_NS8EqualityEEEPlJS6_EEE10hipError_tPvRmT3_T4_T5_T6_T7_T9_mT8_P12ihipStream_tbDpT10_ENKUlT_T0_E_clISt17integral_constantIbLb0EES17_EEDaS12_S13_EUlS12_E_NS1_11comp_targetILNS1_3genE0ELNS1_11target_archE4294967295ELNS1_3gpuE0ELNS1_3repE0EEENS1_30default_config_static_selectorELNS0_4arch9wavefront6targetE0EEEvT1_
		.amdhsa_group_segment_fixed_size 0
		.amdhsa_private_segment_fixed_size 0
		.amdhsa_kernarg_size 112
		.amdhsa_user_sgpr_count 6
		.amdhsa_user_sgpr_private_segment_buffer 1
		.amdhsa_user_sgpr_dispatch_ptr 0
		.amdhsa_user_sgpr_queue_ptr 0
		.amdhsa_user_sgpr_kernarg_segment_ptr 1
		.amdhsa_user_sgpr_dispatch_id 0
		.amdhsa_user_sgpr_flat_scratch_init 0
		.amdhsa_user_sgpr_private_segment_size 0
		.amdhsa_wavefront_size32 1
		.amdhsa_uses_dynamic_stack 0
		.amdhsa_system_sgpr_private_segment_wavefront_offset 0
		.amdhsa_system_sgpr_workgroup_id_x 1
		.amdhsa_system_sgpr_workgroup_id_y 0
		.amdhsa_system_sgpr_workgroup_id_z 0
		.amdhsa_system_sgpr_workgroup_info 0
		.amdhsa_system_vgpr_workitem_id 0
		.amdhsa_next_free_vgpr 1
		.amdhsa_next_free_sgpr 1
		.amdhsa_reserve_vcc 0
		.amdhsa_reserve_flat_scratch 0
		.amdhsa_float_round_mode_32 0
		.amdhsa_float_round_mode_16_64 0
		.amdhsa_float_denorm_mode_32 3
		.amdhsa_float_denorm_mode_16_64 3
		.amdhsa_dx10_clamp 1
		.amdhsa_ieee_mode 1
		.amdhsa_fp16_overflow 0
		.amdhsa_workgroup_processor_mode 1
		.amdhsa_memory_ordered 1
		.amdhsa_forward_progress 1
		.amdhsa_shared_vgpr_count 0
		.amdhsa_exception_fp_ieee_invalid_op 0
		.amdhsa_exception_fp_denorm_src 0
		.amdhsa_exception_fp_ieee_div_zero 0
		.amdhsa_exception_fp_ieee_overflow 0
		.amdhsa_exception_fp_ieee_underflow 0
		.amdhsa_exception_fp_ieee_inexact 0
		.amdhsa_exception_int_div_zero 0
	.end_amdhsa_kernel
	.section	.text._ZN7rocprim17ROCPRIM_400000_NS6detail17trampoline_kernelINS0_14default_configENS1_25partition_config_selectorILNS1_17partition_subalgoE8EiNS0_10empty_typeEbEEZZNS1_14partition_implILS5_8ELb0ES3_jPKiPS6_PKS6_NS0_5tupleIJPiS6_EEENSE_IJSB_SB_EEENS0_18inequality_wrapperIN6hipcub16HIPCUB_304000_NS8EqualityEEEPlJS6_EEE10hipError_tPvRmT3_T4_T5_T6_T7_T9_mT8_P12ihipStream_tbDpT10_ENKUlT_T0_E_clISt17integral_constantIbLb0EES17_EEDaS12_S13_EUlS12_E_NS1_11comp_targetILNS1_3genE0ELNS1_11target_archE4294967295ELNS1_3gpuE0ELNS1_3repE0EEENS1_30default_config_static_selectorELNS0_4arch9wavefront6targetE0EEEvT1_,"axG",@progbits,_ZN7rocprim17ROCPRIM_400000_NS6detail17trampoline_kernelINS0_14default_configENS1_25partition_config_selectorILNS1_17partition_subalgoE8EiNS0_10empty_typeEbEEZZNS1_14partition_implILS5_8ELb0ES3_jPKiPS6_PKS6_NS0_5tupleIJPiS6_EEENSE_IJSB_SB_EEENS0_18inequality_wrapperIN6hipcub16HIPCUB_304000_NS8EqualityEEEPlJS6_EEE10hipError_tPvRmT3_T4_T5_T6_T7_T9_mT8_P12ihipStream_tbDpT10_ENKUlT_T0_E_clISt17integral_constantIbLb0EES17_EEDaS12_S13_EUlS12_E_NS1_11comp_targetILNS1_3genE0ELNS1_11target_archE4294967295ELNS1_3gpuE0ELNS1_3repE0EEENS1_30default_config_static_selectorELNS0_4arch9wavefront6targetE0EEEvT1_,comdat
.Lfunc_end178:
	.size	_ZN7rocprim17ROCPRIM_400000_NS6detail17trampoline_kernelINS0_14default_configENS1_25partition_config_selectorILNS1_17partition_subalgoE8EiNS0_10empty_typeEbEEZZNS1_14partition_implILS5_8ELb0ES3_jPKiPS6_PKS6_NS0_5tupleIJPiS6_EEENSE_IJSB_SB_EEENS0_18inequality_wrapperIN6hipcub16HIPCUB_304000_NS8EqualityEEEPlJS6_EEE10hipError_tPvRmT3_T4_T5_T6_T7_T9_mT8_P12ihipStream_tbDpT10_ENKUlT_T0_E_clISt17integral_constantIbLb0EES17_EEDaS12_S13_EUlS12_E_NS1_11comp_targetILNS1_3genE0ELNS1_11target_archE4294967295ELNS1_3gpuE0ELNS1_3repE0EEENS1_30default_config_static_selectorELNS0_4arch9wavefront6targetE0EEEvT1_, .Lfunc_end178-_ZN7rocprim17ROCPRIM_400000_NS6detail17trampoline_kernelINS0_14default_configENS1_25partition_config_selectorILNS1_17partition_subalgoE8EiNS0_10empty_typeEbEEZZNS1_14partition_implILS5_8ELb0ES3_jPKiPS6_PKS6_NS0_5tupleIJPiS6_EEENSE_IJSB_SB_EEENS0_18inequality_wrapperIN6hipcub16HIPCUB_304000_NS8EqualityEEEPlJS6_EEE10hipError_tPvRmT3_T4_T5_T6_T7_T9_mT8_P12ihipStream_tbDpT10_ENKUlT_T0_E_clISt17integral_constantIbLb0EES17_EEDaS12_S13_EUlS12_E_NS1_11comp_targetILNS1_3genE0ELNS1_11target_archE4294967295ELNS1_3gpuE0ELNS1_3repE0EEENS1_30default_config_static_selectorELNS0_4arch9wavefront6targetE0EEEvT1_
                                        ; -- End function
	.set _ZN7rocprim17ROCPRIM_400000_NS6detail17trampoline_kernelINS0_14default_configENS1_25partition_config_selectorILNS1_17partition_subalgoE8EiNS0_10empty_typeEbEEZZNS1_14partition_implILS5_8ELb0ES3_jPKiPS6_PKS6_NS0_5tupleIJPiS6_EEENSE_IJSB_SB_EEENS0_18inequality_wrapperIN6hipcub16HIPCUB_304000_NS8EqualityEEEPlJS6_EEE10hipError_tPvRmT3_T4_T5_T6_T7_T9_mT8_P12ihipStream_tbDpT10_ENKUlT_T0_E_clISt17integral_constantIbLb0EES17_EEDaS12_S13_EUlS12_E_NS1_11comp_targetILNS1_3genE0ELNS1_11target_archE4294967295ELNS1_3gpuE0ELNS1_3repE0EEENS1_30default_config_static_selectorELNS0_4arch9wavefront6targetE0EEEvT1_.num_vgpr, 0
	.set _ZN7rocprim17ROCPRIM_400000_NS6detail17trampoline_kernelINS0_14default_configENS1_25partition_config_selectorILNS1_17partition_subalgoE8EiNS0_10empty_typeEbEEZZNS1_14partition_implILS5_8ELb0ES3_jPKiPS6_PKS6_NS0_5tupleIJPiS6_EEENSE_IJSB_SB_EEENS0_18inequality_wrapperIN6hipcub16HIPCUB_304000_NS8EqualityEEEPlJS6_EEE10hipError_tPvRmT3_T4_T5_T6_T7_T9_mT8_P12ihipStream_tbDpT10_ENKUlT_T0_E_clISt17integral_constantIbLb0EES17_EEDaS12_S13_EUlS12_E_NS1_11comp_targetILNS1_3genE0ELNS1_11target_archE4294967295ELNS1_3gpuE0ELNS1_3repE0EEENS1_30default_config_static_selectorELNS0_4arch9wavefront6targetE0EEEvT1_.num_agpr, 0
	.set _ZN7rocprim17ROCPRIM_400000_NS6detail17trampoline_kernelINS0_14default_configENS1_25partition_config_selectorILNS1_17partition_subalgoE8EiNS0_10empty_typeEbEEZZNS1_14partition_implILS5_8ELb0ES3_jPKiPS6_PKS6_NS0_5tupleIJPiS6_EEENSE_IJSB_SB_EEENS0_18inequality_wrapperIN6hipcub16HIPCUB_304000_NS8EqualityEEEPlJS6_EEE10hipError_tPvRmT3_T4_T5_T6_T7_T9_mT8_P12ihipStream_tbDpT10_ENKUlT_T0_E_clISt17integral_constantIbLb0EES17_EEDaS12_S13_EUlS12_E_NS1_11comp_targetILNS1_3genE0ELNS1_11target_archE4294967295ELNS1_3gpuE0ELNS1_3repE0EEENS1_30default_config_static_selectorELNS0_4arch9wavefront6targetE0EEEvT1_.numbered_sgpr, 0
	.set _ZN7rocprim17ROCPRIM_400000_NS6detail17trampoline_kernelINS0_14default_configENS1_25partition_config_selectorILNS1_17partition_subalgoE8EiNS0_10empty_typeEbEEZZNS1_14partition_implILS5_8ELb0ES3_jPKiPS6_PKS6_NS0_5tupleIJPiS6_EEENSE_IJSB_SB_EEENS0_18inequality_wrapperIN6hipcub16HIPCUB_304000_NS8EqualityEEEPlJS6_EEE10hipError_tPvRmT3_T4_T5_T6_T7_T9_mT8_P12ihipStream_tbDpT10_ENKUlT_T0_E_clISt17integral_constantIbLb0EES17_EEDaS12_S13_EUlS12_E_NS1_11comp_targetILNS1_3genE0ELNS1_11target_archE4294967295ELNS1_3gpuE0ELNS1_3repE0EEENS1_30default_config_static_selectorELNS0_4arch9wavefront6targetE0EEEvT1_.num_named_barrier, 0
	.set _ZN7rocprim17ROCPRIM_400000_NS6detail17trampoline_kernelINS0_14default_configENS1_25partition_config_selectorILNS1_17partition_subalgoE8EiNS0_10empty_typeEbEEZZNS1_14partition_implILS5_8ELb0ES3_jPKiPS6_PKS6_NS0_5tupleIJPiS6_EEENSE_IJSB_SB_EEENS0_18inequality_wrapperIN6hipcub16HIPCUB_304000_NS8EqualityEEEPlJS6_EEE10hipError_tPvRmT3_T4_T5_T6_T7_T9_mT8_P12ihipStream_tbDpT10_ENKUlT_T0_E_clISt17integral_constantIbLb0EES17_EEDaS12_S13_EUlS12_E_NS1_11comp_targetILNS1_3genE0ELNS1_11target_archE4294967295ELNS1_3gpuE0ELNS1_3repE0EEENS1_30default_config_static_selectorELNS0_4arch9wavefront6targetE0EEEvT1_.private_seg_size, 0
	.set _ZN7rocprim17ROCPRIM_400000_NS6detail17trampoline_kernelINS0_14default_configENS1_25partition_config_selectorILNS1_17partition_subalgoE8EiNS0_10empty_typeEbEEZZNS1_14partition_implILS5_8ELb0ES3_jPKiPS6_PKS6_NS0_5tupleIJPiS6_EEENSE_IJSB_SB_EEENS0_18inequality_wrapperIN6hipcub16HIPCUB_304000_NS8EqualityEEEPlJS6_EEE10hipError_tPvRmT3_T4_T5_T6_T7_T9_mT8_P12ihipStream_tbDpT10_ENKUlT_T0_E_clISt17integral_constantIbLb0EES17_EEDaS12_S13_EUlS12_E_NS1_11comp_targetILNS1_3genE0ELNS1_11target_archE4294967295ELNS1_3gpuE0ELNS1_3repE0EEENS1_30default_config_static_selectorELNS0_4arch9wavefront6targetE0EEEvT1_.uses_vcc, 0
	.set _ZN7rocprim17ROCPRIM_400000_NS6detail17trampoline_kernelINS0_14default_configENS1_25partition_config_selectorILNS1_17partition_subalgoE8EiNS0_10empty_typeEbEEZZNS1_14partition_implILS5_8ELb0ES3_jPKiPS6_PKS6_NS0_5tupleIJPiS6_EEENSE_IJSB_SB_EEENS0_18inequality_wrapperIN6hipcub16HIPCUB_304000_NS8EqualityEEEPlJS6_EEE10hipError_tPvRmT3_T4_T5_T6_T7_T9_mT8_P12ihipStream_tbDpT10_ENKUlT_T0_E_clISt17integral_constantIbLb0EES17_EEDaS12_S13_EUlS12_E_NS1_11comp_targetILNS1_3genE0ELNS1_11target_archE4294967295ELNS1_3gpuE0ELNS1_3repE0EEENS1_30default_config_static_selectorELNS0_4arch9wavefront6targetE0EEEvT1_.uses_flat_scratch, 0
	.set _ZN7rocprim17ROCPRIM_400000_NS6detail17trampoline_kernelINS0_14default_configENS1_25partition_config_selectorILNS1_17partition_subalgoE8EiNS0_10empty_typeEbEEZZNS1_14partition_implILS5_8ELb0ES3_jPKiPS6_PKS6_NS0_5tupleIJPiS6_EEENSE_IJSB_SB_EEENS0_18inequality_wrapperIN6hipcub16HIPCUB_304000_NS8EqualityEEEPlJS6_EEE10hipError_tPvRmT3_T4_T5_T6_T7_T9_mT8_P12ihipStream_tbDpT10_ENKUlT_T0_E_clISt17integral_constantIbLb0EES17_EEDaS12_S13_EUlS12_E_NS1_11comp_targetILNS1_3genE0ELNS1_11target_archE4294967295ELNS1_3gpuE0ELNS1_3repE0EEENS1_30default_config_static_selectorELNS0_4arch9wavefront6targetE0EEEvT1_.has_dyn_sized_stack, 0
	.set _ZN7rocprim17ROCPRIM_400000_NS6detail17trampoline_kernelINS0_14default_configENS1_25partition_config_selectorILNS1_17partition_subalgoE8EiNS0_10empty_typeEbEEZZNS1_14partition_implILS5_8ELb0ES3_jPKiPS6_PKS6_NS0_5tupleIJPiS6_EEENSE_IJSB_SB_EEENS0_18inequality_wrapperIN6hipcub16HIPCUB_304000_NS8EqualityEEEPlJS6_EEE10hipError_tPvRmT3_T4_T5_T6_T7_T9_mT8_P12ihipStream_tbDpT10_ENKUlT_T0_E_clISt17integral_constantIbLb0EES17_EEDaS12_S13_EUlS12_E_NS1_11comp_targetILNS1_3genE0ELNS1_11target_archE4294967295ELNS1_3gpuE0ELNS1_3repE0EEENS1_30default_config_static_selectorELNS0_4arch9wavefront6targetE0EEEvT1_.has_recursion, 0
	.set _ZN7rocprim17ROCPRIM_400000_NS6detail17trampoline_kernelINS0_14default_configENS1_25partition_config_selectorILNS1_17partition_subalgoE8EiNS0_10empty_typeEbEEZZNS1_14partition_implILS5_8ELb0ES3_jPKiPS6_PKS6_NS0_5tupleIJPiS6_EEENSE_IJSB_SB_EEENS0_18inequality_wrapperIN6hipcub16HIPCUB_304000_NS8EqualityEEEPlJS6_EEE10hipError_tPvRmT3_T4_T5_T6_T7_T9_mT8_P12ihipStream_tbDpT10_ENKUlT_T0_E_clISt17integral_constantIbLb0EES17_EEDaS12_S13_EUlS12_E_NS1_11comp_targetILNS1_3genE0ELNS1_11target_archE4294967295ELNS1_3gpuE0ELNS1_3repE0EEENS1_30default_config_static_selectorELNS0_4arch9wavefront6targetE0EEEvT1_.has_indirect_call, 0
	.section	.AMDGPU.csdata,"",@progbits
; Kernel info:
; codeLenInByte = 0
; TotalNumSgprs: 0
; NumVgprs: 0
; ScratchSize: 0
; MemoryBound: 0
; FloatMode: 240
; IeeeMode: 1
; LDSByteSize: 0 bytes/workgroup (compile time only)
; SGPRBlocks: 0
; VGPRBlocks: 0
; NumSGPRsForWavesPerEU: 1
; NumVGPRsForWavesPerEU: 1
; Occupancy: 16
; WaveLimiterHint : 0
; COMPUTE_PGM_RSRC2:SCRATCH_EN: 0
; COMPUTE_PGM_RSRC2:USER_SGPR: 6
; COMPUTE_PGM_RSRC2:TRAP_HANDLER: 0
; COMPUTE_PGM_RSRC2:TGID_X_EN: 1
; COMPUTE_PGM_RSRC2:TGID_Y_EN: 0
; COMPUTE_PGM_RSRC2:TGID_Z_EN: 0
; COMPUTE_PGM_RSRC2:TIDIG_COMP_CNT: 0
	.section	.text._ZN7rocprim17ROCPRIM_400000_NS6detail17trampoline_kernelINS0_14default_configENS1_25partition_config_selectorILNS1_17partition_subalgoE8EiNS0_10empty_typeEbEEZZNS1_14partition_implILS5_8ELb0ES3_jPKiPS6_PKS6_NS0_5tupleIJPiS6_EEENSE_IJSB_SB_EEENS0_18inequality_wrapperIN6hipcub16HIPCUB_304000_NS8EqualityEEEPlJS6_EEE10hipError_tPvRmT3_T4_T5_T6_T7_T9_mT8_P12ihipStream_tbDpT10_ENKUlT_T0_E_clISt17integral_constantIbLb0EES17_EEDaS12_S13_EUlS12_E_NS1_11comp_targetILNS1_3genE5ELNS1_11target_archE942ELNS1_3gpuE9ELNS1_3repE0EEENS1_30default_config_static_selectorELNS0_4arch9wavefront6targetE0EEEvT1_,"axG",@progbits,_ZN7rocprim17ROCPRIM_400000_NS6detail17trampoline_kernelINS0_14default_configENS1_25partition_config_selectorILNS1_17partition_subalgoE8EiNS0_10empty_typeEbEEZZNS1_14partition_implILS5_8ELb0ES3_jPKiPS6_PKS6_NS0_5tupleIJPiS6_EEENSE_IJSB_SB_EEENS0_18inequality_wrapperIN6hipcub16HIPCUB_304000_NS8EqualityEEEPlJS6_EEE10hipError_tPvRmT3_T4_T5_T6_T7_T9_mT8_P12ihipStream_tbDpT10_ENKUlT_T0_E_clISt17integral_constantIbLb0EES17_EEDaS12_S13_EUlS12_E_NS1_11comp_targetILNS1_3genE5ELNS1_11target_archE942ELNS1_3gpuE9ELNS1_3repE0EEENS1_30default_config_static_selectorELNS0_4arch9wavefront6targetE0EEEvT1_,comdat
	.protected	_ZN7rocprim17ROCPRIM_400000_NS6detail17trampoline_kernelINS0_14default_configENS1_25partition_config_selectorILNS1_17partition_subalgoE8EiNS0_10empty_typeEbEEZZNS1_14partition_implILS5_8ELb0ES3_jPKiPS6_PKS6_NS0_5tupleIJPiS6_EEENSE_IJSB_SB_EEENS0_18inequality_wrapperIN6hipcub16HIPCUB_304000_NS8EqualityEEEPlJS6_EEE10hipError_tPvRmT3_T4_T5_T6_T7_T9_mT8_P12ihipStream_tbDpT10_ENKUlT_T0_E_clISt17integral_constantIbLb0EES17_EEDaS12_S13_EUlS12_E_NS1_11comp_targetILNS1_3genE5ELNS1_11target_archE942ELNS1_3gpuE9ELNS1_3repE0EEENS1_30default_config_static_selectorELNS0_4arch9wavefront6targetE0EEEvT1_ ; -- Begin function _ZN7rocprim17ROCPRIM_400000_NS6detail17trampoline_kernelINS0_14default_configENS1_25partition_config_selectorILNS1_17partition_subalgoE8EiNS0_10empty_typeEbEEZZNS1_14partition_implILS5_8ELb0ES3_jPKiPS6_PKS6_NS0_5tupleIJPiS6_EEENSE_IJSB_SB_EEENS0_18inequality_wrapperIN6hipcub16HIPCUB_304000_NS8EqualityEEEPlJS6_EEE10hipError_tPvRmT3_T4_T5_T6_T7_T9_mT8_P12ihipStream_tbDpT10_ENKUlT_T0_E_clISt17integral_constantIbLb0EES17_EEDaS12_S13_EUlS12_E_NS1_11comp_targetILNS1_3genE5ELNS1_11target_archE942ELNS1_3gpuE9ELNS1_3repE0EEENS1_30default_config_static_selectorELNS0_4arch9wavefront6targetE0EEEvT1_
	.globl	_ZN7rocprim17ROCPRIM_400000_NS6detail17trampoline_kernelINS0_14default_configENS1_25partition_config_selectorILNS1_17partition_subalgoE8EiNS0_10empty_typeEbEEZZNS1_14partition_implILS5_8ELb0ES3_jPKiPS6_PKS6_NS0_5tupleIJPiS6_EEENSE_IJSB_SB_EEENS0_18inequality_wrapperIN6hipcub16HIPCUB_304000_NS8EqualityEEEPlJS6_EEE10hipError_tPvRmT3_T4_T5_T6_T7_T9_mT8_P12ihipStream_tbDpT10_ENKUlT_T0_E_clISt17integral_constantIbLb0EES17_EEDaS12_S13_EUlS12_E_NS1_11comp_targetILNS1_3genE5ELNS1_11target_archE942ELNS1_3gpuE9ELNS1_3repE0EEENS1_30default_config_static_selectorELNS0_4arch9wavefront6targetE0EEEvT1_
	.p2align	8
	.type	_ZN7rocprim17ROCPRIM_400000_NS6detail17trampoline_kernelINS0_14default_configENS1_25partition_config_selectorILNS1_17partition_subalgoE8EiNS0_10empty_typeEbEEZZNS1_14partition_implILS5_8ELb0ES3_jPKiPS6_PKS6_NS0_5tupleIJPiS6_EEENSE_IJSB_SB_EEENS0_18inequality_wrapperIN6hipcub16HIPCUB_304000_NS8EqualityEEEPlJS6_EEE10hipError_tPvRmT3_T4_T5_T6_T7_T9_mT8_P12ihipStream_tbDpT10_ENKUlT_T0_E_clISt17integral_constantIbLb0EES17_EEDaS12_S13_EUlS12_E_NS1_11comp_targetILNS1_3genE5ELNS1_11target_archE942ELNS1_3gpuE9ELNS1_3repE0EEENS1_30default_config_static_selectorELNS0_4arch9wavefront6targetE0EEEvT1_,@function
_ZN7rocprim17ROCPRIM_400000_NS6detail17trampoline_kernelINS0_14default_configENS1_25partition_config_selectorILNS1_17partition_subalgoE8EiNS0_10empty_typeEbEEZZNS1_14partition_implILS5_8ELb0ES3_jPKiPS6_PKS6_NS0_5tupleIJPiS6_EEENSE_IJSB_SB_EEENS0_18inequality_wrapperIN6hipcub16HIPCUB_304000_NS8EqualityEEEPlJS6_EEE10hipError_tPvRmT3_T4_T5_T6_T7_T9_mT8_P12ihipStream_tbDpT10_ENKUlT_T0_E_clISt17integral_constantIbLb0EES17_EEDaS12_S13_EUlS12_E_NS1_11comp_targetILNS1_3genE5ELNS1_11target_archE942ELNS1_3gpuE9ELNS1_3repE0EEENS1_30default_config_static_selectorELNS0_4arch9wavefront6targetE0EEEvT1_: ; @_ZN7rocprim17ROCPRIM_400000_NS6detail17trampoline_kernelINS0_14default_configENS1_25partition_config_selectorILNS1_17partition_subalgoE8EiNS0_10empty_typeEbEEZZNS1_14partition_implILS5_8ELb0ES3_jPKiPS6_PKS6_NS0_5tupleIJPiS6_EEENSE_IJSB_SB_EEENS0_18inequality_wrapperIN6hipcub16HIPCUB_304000_NS8EqualityEEEPlJS6_EEE10hipError_tPvRmT3_T4_T5_T6_T7_T9_mT8_P12ihipStream_tbDpT10_ENKUlT_T0_E_clISt17integral_constantIbLb0EES17_EEDaS12_S13_EUlS12_E_NS1_11comp_targetILNS1_3genE5ELNS1_11target_archE942ELNS1_3gpuE9ELNS1_3repE0EEENS1_30default_config_static_selectorELNS0_4arch9wavefront6targetE0EEEvT1_
; %bb.0:
	.section	.rodata,"a",@progbits
	.p2align	6, 0x0
	.amdhsa_kernel _ZN7rocprim17ROCPRIM_400000_NS6detail17trampoline_kernelINS0_14default_configENS1_25partition_config_selectorILNS1_17partition_subalgoE8EiNS0_10empty_typeEbEEZZNS1_14partition_implILS5_8ELb0ES3_jPKiPS6_PKS6_NS0_5tupleIJPiS6_EEENSE_IJSB_SB_EEENS0_18inequality_wrapperIN6hipcub16HIPCUB_304000_NS8EqualityEEEPlJS6_EEE10hipError_tPvRmT3_T4_T5_T6_T7_T9_mT8_P12ihipStream_tbDpT10_ENKUlT_T0_E_clISt17integral_constantIbLb0EES17_EEDaS12_S13_EUlS12_E_NS1_11comp_targetILNS1_3genE5ELNS1_11target_archE942ELNS1_3gpuE9ELNS1_3repE0EEENS1_30default_config_static_selectorELNS0_4arch9wavefront6targetE0EEEvT1_
		.amdhsa_group_segment_fixed_size 0
		.amdhsa_private_segment_fixed_size 0
		.amdhsa_kernarg_size 112
		.amdhsa_user_sgpr_count 6
		.amdhsa_user_sgpr_private_segment_buffer 1
		.amdhsa_user_sgpr_dispatch_ptr 0
		.amdhsa_user_sgpr_queue_ptr 0
		.amdhsa_user_sgpr_kernarg_segment_ptr 1
		.amdhsa_user_sgpr_dispatch_id 0
		.amdhsa_user_sgpr_flat_scratch_init 0
		.amdhsa_user_sgpr_private_segment_size 0
		.amdhsa_wavefront_size32 1
		.amdhsa_uses_dynamic_stack 0
		.amdhsa_system_sgpr_private_segment_wavefront_offset 0
		.amdhsa_system_sgpr_workgroup_id_x 1
		.amdhsa_system_sgpr_workgroup_id_y 0
		.amdhsa_system_sgpr_workgroup_id_z 0
		.amdhsa_system_sgpr_workgroup_info 0
		.amdhsa_system_vgpr_workitem_id 0
		.amdhsa_next_free_vgpr 1
		.amdhsa_next_free_sgpr 1
		.amdhsa_reserve_vcc 0
		.amdhsa_reserve_flat_scratch 0
		.amdhsa_float_round_mode_32 0
		.amdhsa_float_round_mode_16_64 0
		.amdhsa_float_denorm_mode_32 3
		.amdhsa_float_denorm_mode_16_64 3
		.amdhsa_dx10_clamp 1
		.amdhsa_ieee_mode 1
		.amdhsa_fp16_overflow 0
		.amdhsa_workgroup_processor_mode 1
		.amdhsa_memory_ordered 1
		.amdhsa_forward_progress 1
		.amdhsa_shared_vgpr_count 0
		.amdhsa_exception_fp_ieee_invalid_op 0
		.amdhsa_exception_fp_denorm_src 0
		.amdhsa_exception_fp_ieee_div_zero 0
		.amdhsa_exception_fp_ieee_overflow 0
		.amdhsa_exception_fp_ieee_underflow 0
		.amdhsa_exception_fp_ieee_inexact 0
		.amdhsa_exception_int_div_zero 0
	.end_amdhsa_kernel
	.section	.text._ZN7rocprim17ROCPRIM_400000_NS6detail17trampoline_kernelINS0_14default_configENS1_25partition_config_selectorILNS1_17partition_subalgoE8EiNS0_10empty_typeEbEEZZNS1_14partition_implILS5_8ELb0ES3_jPKiPS6_PKS6_NS0_5tupleIJPiS6_EEENSE_IJSB_SB_EEENS0_18inequality_wrapperIN6hipcub16HIPCUB_304000_NS8EqualityEEEPlJS6_EEE10hipError_tPvRmT3_T4_T5_T6_T7_T9_mT8_P12ihipStream_tbDpT10_ENKUlT_T0_E_clISt17integral_constantIbLb0EES17_EEDaS12_S13_EUlS12_E_NS1_11comp_targetILNS1_3genE5ELNS1_11target_archE942ELNS1_3gpuE9ELNS1_3repE0EEENS1_30default_config_static_selectorELNS0_4arch9wavefront6targetE0EEEvT1_,"axG",@progbits,_ZN7rocprim17ROCPRIM_400000_NS6detail17trampoline_kernelINS0_14default_configENS1_25partition_config_selectorILNS1_17partition_subalgoE8EiNS0_10empty_typeEbEEZZNS1_14partition_implILS5_8ELb0ES3_jPKiPS6_PKS6_NS0_5tupleIJPiS6_EEENSE_IJSB_SB_EEENS0_18inequality_wrapperIN6hipcub16HIPCUB_304000_NS8EqualityEEEPlJS6_EEE10hipError_tPvRmT3_T4_T5_T6_T7_T9_mT8_P12ihipStream_tbDpT10_ENKUlT_T0_E_clISt17integral_constantIbLb0EES17_EEDaS12_S13_EUlS12_E_NS1_11comp_targetILNS1_3genE5ELNS1_11target_archE942ELNS1_3gpuE9ELNS1_3repE0EEENS1_30default_config_static_selectorELNS0_4arch9wavefront6targetE0EEEvT1_,comdat
.Lfunc_end179:
	.size	_ZN7rocprim17ROCPRIM_400000_NS6detail17trampoline_kernelINS0_14default_configENS1_25partition_config_selectorILNS1_17partition_subalgoE8EiNS0_10empty_typeEbEEZZNS1_14partition_implILS5_8ELb0ES3_jPKiPS6_PKS6_NS0_5tupleIJPiS6_EEENSE_IJSB_SB_EEENS0_18inequality_wrapperIN6hipcub16HIPCUB_304000_NS8EqualityEEEPlJS6_EEE10hipError_tPvRmT3_T4_T5_T6_T7_T9_mT8_P12ihipStream_tbDpT10_ENKUlT_T0_E_clISt17integral_constantIbLb0EES17_EEDaS12_S13_EUlS12_E_NS1_11comp_targetILNS1_3genE5ELNS1_11target_archE942ELNS1_3gpuE9ELNS1_3repE0EEENS1_30default_config_static_selectorELNS0_4arch9wavefront6targetE0EEEvT1_, .Lfunc_end179-_ZN7rocprim17ROCPRIM_400000_NS6detail17trampoline_kernelINS0_14default_configENS1_25partition_config_selectorILNS1_17partition_subalgoE8EiNS0_10empty_typeEbEEZZNS1_14partition_implILS5_8ELb0ES3_jPKiPS6_PKS6_NS0_5tupleIJPiS6_EEENSE_IJSB_SB_EEENS0_18inequality_wrapperIN6hipcub16HIPCUB_304000_NS8EqualityEEEPlJS6_EEE10hipError_tPvRmT3_T4_T5_T6_T7_T9_mT8_P12ihipStream_tbDpT10_ENKUlT_T0_E_clISt17integral_constantIbLb0EES17_EEDaS12_S13_EUlS12_E_NS1_11comp_targetILNS1_3genE5ELNS1_11target_archE942ELNS1_3gpuE9ELNS1_3repE0EEENS1_30default_config_static_selectorELNS0_4arch9wavefront6targetE0EEEvT1_
                                        ; -- End function
	.set _ZN7rocprim17ROCPRIM_400000_NS6detail17trampoline_kernelINS0_14default_configENS1_25partition_config_selectorILNS1_17partition_subalgoE8EiNS0_10empty_typeEbEEZZNS1_14partition_implILS5_8ELb0ES3_jPKiPS6_PKS6_NS0_5tupleIJPiS6_EEENSE_IJSB_SB_EEENS0_18inequality_wrapperIN6hipcub16HIPCUB_304000_NS8EqualityEEEPlJS6_EEE10hipError_tPvRmT3_T4_T5_T6_T7_T9_mT8_P12ihipStream_tbDpT10_ENKUlT_T0_E_clISt17integral_constantIbLb0EES17_EEDaS12_S13_EUlS12_E_NS1_11comp_targetILNS1_3genE5ELNS1_11target_archE942ELNS1_3gpuE9ELNS1_3repE0EEENS1_30default_config_static_selectorELNS0_4arch9wavefront6targetE0EEEvT1_.num_vgpr, 0
	.set _ZN7rocprim17ROCPRIM_400000_NS6detail17trampoline_kernelINS0_14default_configENS1_25partition_config_selectorILNS1_17partition_subalgoE8EiNS0_10empty_typeEbEEZZNS1_14partition_implILS5_8ELb0ES3_jPKiPS6_PKS6_NS0_5tupleIJPiS6_EEENSE_IJSB_SB_EEENS0_18inequality_wrapperIN6hipcub16HIPCUB_304000_NS8EqualityEEEPlJS6_EEE10hipError_tPvRmT3_T4_T5_T6_T7_T9_mT8_P12ihipStream_tbDpT10_ENKUlT_T0_E_clISt17integral_constantIbLb0EES17_EEDaS12_S13_EUlS12_E_NS1_11comp_targetILNS1_3genE5ELNS1_11target_archE942ELNS1_3gpuE9ELNS1_3repE0EEENS1_30default_config_static_selectorELNS0_4arch9wavefront6targetE0EEEvT1_.num_agpr, 0
	.set _ZN7rocprim17ROCPRIM_400000_NS6detail17trampoline_kernelINS0_14default_configENS1_25partition_config_selectorILNS1_17partition_subalgoE8EiNS0_10empty_typeEbEEZZNS1_14partition_implILS5_8ELb0ES3_jPKiPS6_PKS6_NS0_5tupleIJPiS6_EEENSE_IJSB_SB_EEENS0_18inequality_wrapperIN6hipcub16HIPCUB_304000_NS8EqualityEEEPlJS6_EEE10hipError_tPvRmT3_T4_T5_T6_T7_T9_mT8_P12ihipStream_tbDpT10_ENKUlT_T0_E_clISt17integral_constantIbLb0EES17_EEDaS12_S13_EUlS12_E_NS1_11comp_targetILNS1_3genE5ELNS1_11target_archE942ELNS1_3gpuE9ELNS1_3repE0EEENS1_30default_config_static_selectorELNS0_4arch9wavefront6targetE0EEEvT1_.numbered_sgpr, 0
	.set _ZN7rocprim17ROCPRIM_400000_NS6detail17trampoline_kernelINS0_14default_configENS1_25partition_config_selectorILNS1_17partition_subalgoE8EiNS0_10empty_typeEbEEZZNS1_14partition_implILS5_8ELb0ES3_jPKiPS6_PKS6_NS0_5tupleIJPiS6_EEENSE_IJSB_SB_EEENS0_18inequality_wrapperIN6hipcub16HIPCUB_304000_NS8EqualityEEEPlJS6_EEE10hipError_tPvRmT3_T4_T5_T6_T7_T9_mT8_P12ihipStream_tbDpT10_ENKUlT_T0_E_clISt17integral_constantIbLb0EES17_EEDaS12_S13_EUlS12_E_NS1_11comp_targetILNS1_3genE5ELNS1_11target_archE942ELNS1_3gpuE9ELNS1_3repE0EEENS1_30default_config_static_selectorELNS0_4arch9wavefront6targetE0EEEvT1_.num_named_barrier, 0
	.set _ZN7rocprim17ROCPRIM_400000_NS6detail17trampoline_kernelINS0_14default_configENS1_25partition_config_selectorILNS1_17partition_subalgoE8EiNS0_10empty_typeEbEEZZNS1_14partition_implILS5_8ELb0ES3_jPKiPS6_PKS6_NS0_5tupleIJPiS6_EEENSE_IJSB_SB_EEENS0_18inequality_wrapperIN6hipcub16HIPCUB_304000_NS8EqualityEEEPlJS6_EEE10hipError_tPvRmT3_T4_T5_T6_T7_T9_mT8_P12ihipStream_tbDpT10_ENKUlT_T0_E_clISt17integral_constantIbLb0EES17_EEDaS12_S13_EUlS12_E_NS1_11comp_targetILNS1_3genE5ELNS1_11target_archE942ELNS1_3gpuE9ELNS1_3repE0EEENS1_30default_config_static_selectorELNS0_4arch9wavefront6targetE0EEEvT1_.private_seg_size, 0
	.set _ZN7rocprim17ROCPRIM_400000_NS6detail17trampoline_kernelINS0_14default_configENS1_25partition_config_selectorILNS1_17partition_subalgoE8EiNS0_10empty_typeEbEEZZNS1_14partition_implILS5_8ELb0ES3_jPKiPS6_PKS6_NS0_5tupleIJPiS6_EEENSE_IJSB_SB_EEENS0_18inequality_wrapperIN6hipcub16HIPCUB_304000_NS8EqualityEEEPlJS6_EEE10hipError_tPvRmT3_T4_T5_T6_T7_T9_mT8_P12ihipStream_tbDpT10_ENKUlT_T0_E_clISt17integral_constantIbLb0EES17_EEDaS12_S13_EUlS12_E_NS1_11comp_targetILNS1_3genE5ELNS1_11target_archE942ELNS1_3gpuE9ELNS1_3repE0EEENS1_30default_config_static_selectorELNS0_4arch9wavefront6targetE0EEEvT1_.uses_vcc, 0
	.set _ZN7rocprim17ROCPRIM_400000_NS6detail17trampoline_kernelINS0_14default_configENS1_25partition_config_selectorILNS1_17partition_subalgoE8EiNS0_10empty_typeEbEEZZNS1_14partition_implILS5_8ELb0ES3_jPKiPS6_PKS6_NS0_5tupleIJPiS6_EEENSE_IJSB_SB_EEENS0_18inequality_wrapperIN6hipcub16HIPCUB_304000_NS8EqualityEEEPlJS6_EEE10hipError_tPvRmT3_T4_T5_T6_T7_T9_mT8_P12ihipStream_tbDpT10_ENKUlT_T0_E_clISt17integral_constantIbLb0EES17_EEDaS12_S13_EUlS12_E_NS1_11comp_targetILNS1_3genE5ELNS1_11target_archE942ELNS1_3gpuE9ELNS1_3repE0EEENS1_30default_config_static_selectorELNS0_4arch9wavefront6targetE0EEEvT1_.uses_flat_scratch, 0
	.set _ZN7rocprim17ROCPRIM_400000_NS6detail17trampoline_kernelINS0_14default_configENS1_25partition_config_selectorILNS1_17partition_subalgoE8EiNS0_10empty_typeEbEEZZNS1_14partition_implILS5_8ELb0ES3_jPKiPS6_PKS6_NS0_5tupleIJPiS6_EEENSE_IJSB_SB_EEENS0_18inequality_wrapperIN6hipcub16HIPCUB_304000_NS8EqualityEEEPlJS6_EEE10hipError_tPvRmT3_T4_T5_T6_T7_T9_mT8_P12ihipStream_tbDpT10_ENKUlT_T0_E_clISt17integral_constantIbLb0EES17_EEDaS12_S13_EUlS12_E_NS1_11comp_targetILNS1_3genE5ELNS1_11target_archE942ELNS1_3gpuE9ELNS1_3repE0EEENS1_30default_config_static_selectorELNS0_4arch9wavefront6targetE0EEEvT1_.has_dyn_sized_stack, 0
	.set _ZN7rocprim17ROCPRIM_400000_NS6detail17trampoline_kernelINS0_14default_configENS1_25partition_config_selectorILNS1_17partition_subalgoE8EiNS0_10empty_typeEbEEZZNS1_14partition_implILS5_8ELb0ES3_jPKiPS6_PKS6_NS0_5tupleIJPiS6_EEENSE_IJSB_SB_EEENS0_18inequality_wrapperIN6hipcub16HIPCUB_304000_NS8EqualityEEEPlJS6_EEE10hipError_tPvRmT3_T4_T5_T6_T7_T9_mT8_P12ihipStream_tbDpT10_ENKUlT_T0_E_clISt17integral_constantIbLb0EES17_EEDaS12_S13_EUlS12_E_NS1_11comp_targetILNS1_3genE5ELNS1_11target_archE942ELNS1_3gpuE9ELNS1_3repE0EEENS1_30default_config_static_selectorELNS0_4arch9wavefront6targetE0EEEvT1_.has_recursion, 0
	.set _ZN7rocprim17ROCPRIM_400000_NS6detail17trampoline_kernelINS0_14default_configENS1_25partition_config_selectorILNS1_17partition_subalgoE8EiNS0_10empty_typeEbEEZZNS1_14partition_implILS5_8ELb0ES3_jPKiPS6_PKS6_NS0_5tupleIJPiS6_EEENSE_IJSB_SB_EEENS0_18inequality_wrapperIN6hipcub16HIPCUB_304000_NS8EqualityEEEPlJS6_EEE10hipError_tPvRmT3_T4_T5_T6_T7_T9_mT8_P12ihipStream_tbDpT10_ENKUlT_T0_E_clISt17integral_constantIbLb0EES17_EEDaS12_S13_EUlS12_E_NS1_11comp_targetILNS1_3genE5ELNS1_11target_archE942ELNS1_3gpuE9ELNS1_3repE0EEENS1_30default_config_static_selectorELNS0_4arch9wavefront6targetE0EEEvT1_.has_indirect_call, 0
	.section	.AMDGPU.csdata,"",@progbits
; Kernel info:
; codeLenInByte = 0
; TotalNumSgprs: 0
; NumVgprs: 0
; ScratchSize: 0
; MemoryBound: 0
; FloatMode: 240
; IeeeMode: 1
; LDSByteSize: 0 bytes/workgroup (compile time only)
; SGPRBlocks: 0
; VGPRBlocks: 0
; NumSGPRsForWavesPerEU: 1
; NumVGPRsForWavesPerEU: 1
; Occupancy: 16
; WaveLimiterHint : 0
; COMPUTE_PGM_RSRC2:SCRATCH_EN: 0
; COMPUTE_PGM_RSRC2:USER_SGPR: 6
; COMPUTE_PGM_RSRC2:TRAP_HANDLER: 0
; COMPUTE_PGM_RSRC2:TGID_X_EN: 1
; COMPUTE_PGM_RSRC2:TGID_Y_EN: 0
; COMPUTE_PGM_RSRC2:TGID_Z_EN: 0
; COMPUTE_PGM_RSRC2:TIDIG_COMP_CNT: 0
	.section	.text._ZN7rocprim17ROCPRIM_400000_NS6detail17trampoline_kernelINS0_14default_configENS1_25partition_config_selectorILNS1_17partition_subalgoE8EiNS0_10empty_typeEbEEZZNS1_14partition_implILS5_8ELb0ES3_jPKiPS6_PKS6_NS0_5tupleIJPiS6_EEENSE_IJSB_SB_EEENS0_18inequality_wrapperIN6hipcub16HIPCUB_304000_NS8EqualityEEEPlJS6_EEE10hipError_tPvRmT3_T4_T5_T6_T7_T9_mT8_P12ihipStream_tbDpT10_ENKUlT_T0_E_clISt17integral_constantIbLb0EES17_EEDaS12_S13_EUlS12_E_NS1_11comp_targetILNS1_3genE4ELNS1_11target_archE910ELNS1_3gpuE8ELNS1_3repE0EEENS1_30default_config_static_selectorELNS0_4arch9wavefront6targetE0EEEvT1_,"axG",@progbits,_ZN7rocprim17ROCPRIM_400000_NS6detail17trampoline_kernelINS0_14default_configENS1_25partition_config_selectorILNS1_17partition_subalgoE8EiNS0_10empty_typeEbEEZZNS1_14partition_implILS5_8ELb0ES3_jPKiPS6_PKS6_NS0_5tupleIJPiS6_EEENSE_IJSB_SB_EEENS0_18inequality_wrapperIN6hipcub16HIPCUB_304000_NS8EqualityEEEPlJS6_EEE10hipError_tPvRmT3_T4_T5_T6_T7_T9_mT8_P12ihipStream_tbDpT10_ENKUlT_T0_E_clISt17integral_constantIbLb0EES17_EEDaS12_S13_EUlS12_E_NS1_11comp_targetILNS1_3genE4ELNS1_11target_archE910ELNS1_3gpuE8ELNS1_3repE0EEENS1_30default_config_static_selectorELNS0_4arch9wavefront6targetE0EEEvT1_,comdat
	.protected	_ZN7rocprim17ROCPRIM_400000_NS6detail17trampoline_kernelINS0_14default_configENS1_25partition_config_selectorILNS1_17partition_subalgoE8EiNS0_10empty_typeEbEEZZNS1_14partition_implILS5_8ELb0ES3_jPKiPS6_PKS6_NS0_5tupleIJPiS6_EEENSE_IJSB_SB_EEENS0_18inequality_wrapperIN6hipcub16HIPCUB_304000_NS8EqualityEEEPlJS6_EEE10hipError_tPvRmT3_T4_T5_T6_T7_T9_mT8_P12ihipStream_tbDpT10_ENKUlT_T0_E_clISt17integral_constantIbLb0EES17_EEDaS12_S13_EUlS12_E_NS1_11comp_targetILNS1_3genE4ELNS1_11target_archE910ELNS1_3gpuE8ELNS1_3repE0EEENS1_30default_config_static_selectorELNS0_4arch9wavefront6targetE0EEEvT1_ ; -- Begin function _ZN7rocprim17ROCPRIM_400000_NS6detail17trampoline_kernelINS0_14default_configENS1_25partition_config_selectorILNS1_17partition_subalgoE8EiNS0_10empty_typeEbEEZZNS1_14partition_implILS5_8ELb0ES3_jPKiPS6_PKS6_NS0_5tupleIJPiS6_EEENSE_IJSB_SB_EEENS0_18inequality_wrapperIN6hipcub16HIPCUB_304000_NS8EqualityEEEPlJS6_EEE10hipError_tPvRmT3_T4_T5_T6_T7_T9_mT8_P12ihipStream_tbDpT10_ENKUlT_T0_E_clISt17integral_constantIbLb0EES17_EEDaS12_S13_EUlS12_E_NS1_11comp_targetILNS1_3genE4ELNS1_11target_archE910ELNS1_3gpuE8ELNS1_3repE0EEENS1_30default_config_static_selectorELNS0_4arch9wavefront6targetE0EEEvT1_
	.globl	_ZN7rocprim17ROCPRIM_400000_NS6detail17trampoline_kernelINS0_14default_configENS1_25partition_config_selectorILNS1_17partition_subalgoE8EiNS0_10empty_typeEbEEZZNS1_14partition_implILS5_8ELb0ES3_jPKiPS6_PKS6_NS0_5tupleIJPiS6_EEENSE_IJSB_SB_EEENS0_18inequality_wrapperIN6hipcub16HIPCUB_304000_NS8EqualityEEEPlJS6_EEE10hipError_tPvRmT3_T4_T5_T6_T7_T9_mT8_P12ihipStream_tbDpT10_ENKUlT_T0_E_clISt17integral_constantIbLb0EES17_EEDaS12_S13_EUlS12_E_NS1_11comp_targetILNS1_3genE4ELNS1_11target_archE910ELNS1_3gpuE8ELNS1_3repE0EEENS1_30default_config_static_selectorELNS0_4arch9wavefront6targetE0EEEvT1_
	.p2align	8
	.type	_ZN7rocprim17ROCPRIM_400000_NS6detail17trampoline_kernelINS0_14default_configENS1_25partition_config_selectorILNS1_17partition_subalgoE8EiNS0_10empty_typeEbEEZZNS1_14partition_implILS5_8ELb0ES3_jPKiPS6_PKS6_NS0_5tupleIJPiS6_EEENSE_IJSB_SB_EEENS0_18inequality_wrapperIN6hipcub16HIPCUB_304000_NS8EqualityEEEPlJS6_EEE10hipError_tPvRmT3_T4_T5_T6_T7_T9_mT8_P12ihipStream_tbDpT10_ENKUlT_T0_E_clISt17integral_constantIbLb0EES17_EEDaS12_S13_EUlS12_E_NS1_11comp_targetILNS1_3genE4ELNS1_11target_archE910ELNS1_3gpuE8ELNS1_3repE0EEENS1_30default_config_static_selectorELNS0_4arch9wavefront6targetE0EEEvT1_,@function
_ZN7rocprim17ROCPRIM_400000_NS6detail17trampoline_kernelINS0_14default_configENS1_25partition_config_selectorILNS1_17partition_subalgoE8EiNS0_10empty_typeEbEEZZNS1_14partition_implILS5_8ELb0ES3_jPKiPS6_PKS6_NS0_5tupleIJPiS6_EEENSE_IJSB_SB_EEENS0_18inequality_wrapperIN6hipcub16HIPCUB_304000_NS8EqualityEEEPlJS6_EEE10hipError_tPvRmT3_T4_T5_T6_T7_T9_mT8_P12ihipStream_tbDpT10_ENKUlT_T0_E_clISt17integral_constantIbLb0EES17_EEDaS12_S13_EUlS12_E_NS1_11comp_targetILNS1_3genE4ELNS1_11target_archE910ELNS1_3gpuE8ELNS1_3repE0EEENS1_30default_config_static_selectorELNS0_4arch9wavefront6targetE0EEEvT1_: ; @_ZN7rocprim17ROCPRIM_400000_NS6detail17trampoline_kernelINS0_14default_configENS1_25partition_config_selectorILNS1_17partition_subalgoE8EiNS0_10empty_typeEbEEZZNS1_14partition_implILS5_8ELb0ES3_jPKiPS6_PKS6_NS0_5tupleIJPiS6_EEENSE_IJSB_SB_EEENS0_18inequality_wrapperIN6hipcub16HIPCUB_304000_NS8EqualityEEEPlJS6_EEE10hipError_tPvRmT3_T4_T5_T6_T7_T9_mT8_P12ihipStream_tbDpT10_ENKUlT_T0_E_clISt17integral_constantIbLb0EES17_EEDaS12_S13_EUlS12_E_NS1_11comp_targetILNS1_3genE4ELNS1_11target_archE910ELNS1_3gpuE8ELNS1_3repE0EEENS1_30default_config_static_selectorELNS0_4arch9wavefront6targetE0EEEvT1_
; %bb.0:
	.section	.rodata,"a",@progbits
	.p2align	6, 0x0
	.amdhsa_kernel _ZN7rocprim17ROCPRIM_400000_NS6detail17trampoline_kernelINS0_14default_configENS1_25partition_config_selectorILNS1_17partition_subalgoE8EiNS0_10empty_typeEbEEZZNS1_14partition_implILS5_8ELb0ES3_jPKiPS6_PKS6_NS0_5tupleIJPiS6_EEENSE_IJSB_SB_EEENS0_18inequality_wrapperIN6hipcub16HIPCUB_304000_NS8EqualityEEEPlJS6_EEE10hipError_tPvRmT3_T4_T5_T6_T7_T9_mT8_P12ihipStream_tbDpT10_ENKUlT_T0_E_clISt17integral_constantIbLb0EES17_EEDaS12_S13_EUlS12_E_NS1_11comp_targetILNS1_3genE4ELNS1_11target_archE910ELNS1_3gpuE8ELNS1_3repE0EEENS1_30default_config_static_selectorELNS0_4arch9wavefront6targetE0EEEvT1_
		.amdhsa_group_segment_fixed_size 0
		.amdhsa_private_segment_fixed_size 0
		.amdhsa_kernarg_size 112
		.amdhsa_user_sgpr_count 6
		.amdhsa_user_sgpr_private_segment_buffer 1
		.amdhsa_user_sgpr_dispatch_ptr 0
		.amdhsa_user_sgpr_queue_ptr 0
		.amdhsa_user_sgpr_kernarg_segment_ptr 1
		.amdhsa_user_sgpr_dispatch_id 0
		.amdhsa_user_sgpr_flat_scratch_init 0
		.amdhsa_user_sgpr_private_segment_size 0
		.amdhsa_wavefront_size32 1
		.amdhsa_uses_dynamic_stack 0
		.amdhsa_system_sgpr_private_segment_wavefront_offset 0
		.amdhsa_system_sgpr_workgroup_id_x 1
		.amdhsa_system_sgpr_workgroup_id_y 0
		.amdhsa_system_sgpr_workgroup_id_z 0
		.amdhsa_system_sgpr_workgroup_info 0
		.amdhsa_system_vgpr_workitem_id 0
		.amdhsa_next_free_vgpr 1
		.amdhsa_next_free_sgpr 1
		.amdhsa_reserve_vcc 0
		.amdhsa_reserve_flat_scratch 0
		.amdhsa_float_round_mode_32 0
		.amdhsa_float_round_mode_16_64 0
		.amdhsa_float_denorm_mode_32 3
		.amdhsa_float_denorm_mode_16_64 3
		.amdhsa_dx10_clamp 1
		.amdhsa_ieee_mode 1
		.amdhsa_fp16_overflow 0
		.amdhsa_workgroup_processor_mode 1
		.amdhsa_memory_ordered 1
		.amdhsa_forward_progress 1
		.amdhsa_shared_vgpr_count 0
		.amdhsa_exception_fp_ieee_invalid_op 0
		.amdhsa_exception_fp_denorm_src 0
		.amdhsa_exception_fp_ieee_div_zero 0
		.amdhsa_exception_fp_ieee_overflow 0
		.amdhsa_exception_fp_ieee_underflow 0
		.amdhsa_exception_fp_ieee_inexact 0
		.amdhsa_exception_int_div_zero 0
	.end_amdhsa_kernel
	.section	.text._ZN7rocprim17ROCPRIM_400000_NS6detail17trampoline_kernelINS0_14default_configENS1_25partition_config_selectorILNS1_17partition_subalgoE8EiNS0_10empty_typeEbEEZZNS1_14partition_implILS5_8ELb0ES3_jPKiPS6_PKS6_NS0_5tupleIJPiS6_EEENSE_IJSB_SB_EEENS0_18inequality_wrapperIN6hipcub16HIPCUB_304000_NS8EqualityEEEPlJS6_EEE10hipError_tPvRmT3_T4_T5_T6_T7_T9_mT8_P12ihipStream_tbDpT10_ENKUlT_T0_E_clISt17integral_constantIbLb0EES17_EEDaS12_S13_EUlS12_E_NS1_11comp_targetILNS1_3genE4ELNS1_11target_archE910ELNS1_3gpuE8ELNS1_3repE0EEENS1_30default_config_static_selectorELNS0_4arch9wavefront6targetE0EEEvT1_,"axG",@progbits,_ZN7rocprim17ROCPRIM_400000_NS6detail17trampoline_kernelINS0_14default_configENS1_25partition_config_selectorILNS1_17partition_subalgoE8EiNS0_10empty_typeEbEEZZNS1_14partition_implILS5_8ELb0ES3_jPKiPS6_PKS6_NS0_5tupleIJPiS6_EEENSE_IJSB_SB_EEENS0_18inequality_wrapperIN6hipcub16HIPCUB_304000_NS8EqualityEEEPlJS6_EEE10hipError_tPvRmT3_T4_T5_T6_T7_T9_mT8_P12ihipStream_tbDpT10_ENKUlT_T0_E_clISt17integral_constantIbLb0EES17_EEDaS12_S13_EUlS12_E_NS1_11comp_targetILNS1_3genE4ELNS1_11target_archE910ELNS1_3gpuE8ELNS1_3repE0EEENS1_30default_config_static_selectorELNS0_4arch9wavefront6targetE0EEEvT1_,comdat
.Lfunc_end180:
	.size	_ZN7rocprim17ROCPRIM_400000_NS6detail17trampoline_kernelINS0_14default_configENS1_25partition_config_selectorILNS1_17partition_subalgoE8EiNS0_10empty_typeEbEEZZNS1_14partition_implILS5_8ELb0ES3_jPKiPS6_PKS6_NS0_5tupleIJPiS6_EEENSE_IJSB_SB_EEENS0_18inequality_wrapperIN6hipcub16HIPCUB_304000_NS8EqualityEEEPlJS6_EEE10hipError_tPvRmT3_T4_T5_T6_T7_T9_mT8_P12ihipStream_tbDpT10_ENKUlT_T0_E_clISt17integral_constantIbLb0EES17_EEDaS12_S13_EUlS12_E_NS1_11comp_targetILNS1_3genE4ELNS1_11target_archE910ELNS1_3gpuE8ELNS1_3repE0EEENS1_30default_config_static_selectorELNS0_4arch9wavefront6targetE0EEEvT1_, .Lfunc_end180-_ZN7rocprim17ROCPRIM_400000_NS6detail17trampoline_kernelINS0_14default_configENS1_25partition_config_selectorILNS1_17partition_subalgoE8EiNS0_10empty_typeEbEEZZNS1_14partition_implILS5_8ELb0ES3_jPKiPS6_PKS6_NS0_5tupleIJPiS6_EEENSE_IJSB_SB_EEENS0_18inequality_wrapperIN6hipcub16HIPCUB_304000_NS8EqualityEEEPlJS6_EEE10hipError_tPvRmT3_T4_T5_T6_T7_T9_mT8_P12ihipStream_tbDpT10_ENKUlT_T0_E_clISt17integral_constantIbLb0EES17_EEDaS12_S13_EUlS12_E_NS1_11comp_targetILNS1_3genE4ELNS1_11target_archE910ELNS1_3gpuE8ELNS1_3repE0EEENS1_30default_config_static_selectorELNS0_4arch9wavefront6targetE0EEEvT1_
                                        ; -- End function
	.set _ZN7rocprim17ROCPRIM_400000_NS6detail17trampoline_kernelINS0_14default_configENS1_25partition_config_selectorILNS1_17partition_subalgoE8EiNS0_10empty_typeEbEEZZNS1_14partition_implILS5_8ELb0ES3_jPKiPS6_PKS6_NS0_5tupleIJPiS6_EEENSE_IJSB_SB_EEENS0_18inequality_wrapperIN6hipcub16HIPCUB_304000_NS8EqualityEEEPlJS6_EEE10hipError_tPvRmT3_T4_T5_T6_T7_T9_mT8_P12ihipStream_tbDpT10_ENKUlT_T0_E_clISt17integral_constantIbLb0EES17_EEDaS12_S13_EUlS12_E_NS1_11comp_targetILNS1_3genE4ELNS1_11target_archE910ELNS1_3gpuE8ELNS1_3repE0EEENS1_30default_config_static_selectorELNS0_4arch9wavefront6targetE0EEEvT1_.num_vgpr, 0
	.set _ZN7rocprim17ROCPRIM_400000_NS6detail17trampoline_kernelINS0_14default_configENS1_25partition_config_selectorILNS1_17partition_subalgoE8EiNS0_10empty_typeEbEEZZNS1_14partition_implILS5_8ELb0ES3_jPKiPS6_PKS6_NS0_5tupleIJPiS6_EEENSE_IJSB_SB_EEENS0_18inequality_wrapperIN6hipcub16HIPCUB_304000_NS8EqualityEEEPlJS6_EEE10hipError_tPvRmT3_T4_T5_T6_T7_T9_mT8_P12ihipStream_tbDpT10_ENKUlT_T0_E_clISt17integral_constantIbLb0EES17_EEDaS12_S13_EUlS12_E_NS1_11comp_targetILNS1_3genE4ELNS1_11target_archE910ELNS1_3gpuE8ELNS1_3repE0EEENS1_30default_config_static_selectorELNS0_4arch9wavefront6targetE0EEEvT1_.num_agpr, 0
	.set _ZN7rocprim17ROCPRIM_400000_NS6detail17trampoline_kernelINS0_14default_configENS1_25partition_config_selectorILNS1_17partition_subalgoE8EiNS0_10empty_typeEbEEZZNS1_14partition_implILS5_8ELb0ES3_jPKiPS6_PKS6_NS0_5tupleIJPiS6_EEENSE_IJSB_SB_EEENS0_18inequality_wrapperIN6hipcub16HIPCUB_304000_NS8EqualityEEEPlJS6_EEE10hipError_tPvRmT3_T4_T5_T6_T7_T9_mT8_P12ihipStream_tbDpT10_ENKUlT_T0_E_clISt17integral_constantIbLb0EES17_EEDaS12_S13_EUlS12_E_NS1_11comp_targetILNS1_3genE4ELNS1_11target_archE910ELNS1_3gpuE8ELNS1_3repE0EEENS1_30default_config_static_selectorELNS0_4arch9wavefront6targetE0EEEvT1_.numbered_sgpr, 0
	.set _ZN7rocprim17ROCPRIM_400000_NS6detail17trampoline_kernelINS0_14default_configENS1_25partition_config_selectorILNS1_17partition_subalgoE8EiNS0_10empty_typeEbEEZZNS1_14partition_implILS5_8ELb0ES3_jPKiPS6_PKS6_NS0_5tupleIJPiS6_EEENSE_IJSB_SB_EEENS0_18inequality_wrapperIN6hipcub16HIPCUB_304000_NS8EqualityEEEPlJS6_EEE10hipError_tPvRmT3_T4_T5_T6_T7_T9_mT8_P12ihipStream_tbDpT10_ENKUlT_T0_E_clISt17integral_constantIbLb0EES17_EEDaS12_S13_EUlS12_E_NS1_11comp_targetILNS1_3genE4ELNS1_11target_archE910ELNS1_3gpuE8ELNS1_3repE0EEENS1_30default_config_static_selectorELNS0_4arch9wavefront6targetE0EEEvT1_.num_named_barrier, 0
	.set _ZN7rocprim17ROCPRIM_400000_NS6detail17trampoline_kernelINS0_14default_configENS1_25partition_config_selectorILNS1_17partition_subalgoE8EiNS0_10empty_typeEbEEZZNS1_14partition_implILS5_8ELb0ES3_jPKiPS6_PKS6_NS0_5tupleIJPiS6_EEENSE_IJSB_SB_EEENS0_18inequality_wrapperIN6hipcub16HIPCUB_304000_NS8EqualityEEEPlJS6_EEE10hipError_tPvRmT3_T4_T5_T6_T7_T9_mT8_P12ihipStream_tbDpT10_ENKUlT_T0_E_clISt17integral_constantIbLb0EES17_EEDaS12_S13_EUlS12_E_NS1_11comp_targetILNS1_3genE4ELNS1_11target_archE910ELNS1_3gpuE8ELNS1_3repE0EEENS1_30default_config_static_selectorELNS0_4arch9wavefront6targetE0EEEvT1_.private_seg_size, 0
	.set _ZN7rocprim17ROCPRIM_400000_NS6detail17trampoline_kernelINS0_14default_configENS1_25partition_config_selectorILNS1_17partition_subalgoE8EiNS0_10empty_typeEbEEZZNS1_14partition_implILS5_8ELb0ES3_jPKiPS6_PKS6_NS0_5tupleIJPiS6_EEENSE_IJSB_SB_EEENS0_18inequality_wrapperIN6hipcub16HIPCUB_304000_NS8EqualityEEEPlJS6_EEE10hipError_tPvRmT3_T4_T5_T6_T7_T9_mT8_P12ihipStream_tbDpT10_ENKUlT_T0_E_clISt17integral_constantIbLb0EES17_EEDaS12_S13_EUlS12_E_NS1_11comp_targetILNS1_3genE4ELNS1_11target_archE910ELNS1_3gpuE8ELNS1_3repE0EEENS1_30default_config_static_selectorELNS0_4arch9wavefront6targetE0EEEvT1_.uses_vcc, 0
	.set _ZN7rocprim17ROCPRIM_400000_NS6detail17trampoline_kernelINS0_14default_configENS1_25partition_config_selectorILNS1_17partition_subalgoE8EiNS0_10empty_typeEbEEZZNS1_14partition_implILS5_8ELb0ES3_jPKiPS6_PKS6_NS0_5tupleIJPiS6_EEENSE_IJSB_SB_EEENS0_18inequality_wrapperIN6hipcub16HIPCUB_304000_NS8EqualityEEEPlJS6_EEE10hipError_tPvRmT3_T4_T5_T6_T7_T9_mT8_P12ihipStream_tbDpT10_ENKUlT_T0_E_clISt17integral_constantIbLb0EES17_EEDaS12_S13_EUlS12_E_NS1_11comp_targetILNS1_3genE4ELNS1_11target_archE910ELNS1_3gpuE8ELNS1_3repE0EEENS1_30default_config_static_selectorELNS0_4arch9wavefront6targetE0EEEvT1_.uses_flat_scratch, 0
	.set _ZN7rocprim17ROCPRIM_400000_NS6detail17trampoline_kernelINS0_14default_configENS1_25partition_config_selectorILNS1_17partition_subalgoE8EiNS0_10empty_typeEbEEZZNS1_14partition_implILS5_8ELb0ES3_jPKiPS6_PKS6_NS0_5tupleIJPiS6_EEENSE_IJSB_SB_EEENS0_18inequality_wrapperIN6hipcub16HIPCUB_304000_NS8EqualityEEEPlJS6_EEE10hipError_tPvRmT3_T4_T5_T6_T7_T9_mT8_P12ihipStream_tbDpT10_ENKUlT_T0_E_clISt17integral_constantIbLb0EES17_EEDaS12_S13_EUlS12_E_NS1_11comp_targetILNS1_3genE4ELNS1_11target_archE910ELNS1_3gpuE8ELNS1_3repE0EEENS1_30default_config_static_selectorELNS0_4arch9wavefront6targetE0EEEvT1_.has_dyn_sized_stack, 0
	.set _ZN7rocprim17ROCPRIM_400000_NS6detail17trampoline_kernelINS0_14default_configENS1_25partition_config_selectorILNS1_17partition_subalgoE8EiNS0_10empty_typeEbEEZZNS1_14partition_implILS5_8ELb0ES3_jPKiPS6_PKS6_NS0_5tupleIJPiS6_EEENSE_IJSB_SB_EEENS0_18inequality_wrapperIN6hipcub16HIPCUB_304000_NS8EqualityEEEPlJS6_EEE10hipError_tPvRmT3_T4_T5_T6_T7_T9_mT8_P12ihipStream_tbDpT10_ENKUlT_T0_E_clISt17integral_constantIbLb0EES17_EEDaS12_S13_EUlS12_E_NS1_11comp_targetILNS1_3genE4ELNS1_11target_archE910ELNS1_3gpuE8ELNS1_3repE0EEENS1_30default_config_static_selectorELNS0_4arch9wavefront6targetE0EEEvT1_.has_recursion, 0
	.set _ZN7rocprim17ROCPRIM_400000_NS6detail17trampoline_kernelINS0_14default_configENS1_25partition_config_selectorILNS1_17partition_subalgoE8EiNS0_10empty_typeEbEEZZNS1_14partition_implILS5_8ELb0ES3_jPKiPS6_PKS6_NS0_5tupleIJPiS6_EEENSE_IJSB_SB_EEENS0_18inequality_wrapperIN6hipcub16HIPCUB_304000_NS8EqualityEEEPlJS6_EEE10hipError_tPvRmT3_T4_T5_T6_T7_T9_mT8_P12ihipStream_tbDpT10_ENKUlT_T0_E_clISt17integral_constantIbLb0EES17_EEDaS12_S13_EUlS12_E_NS1_11comp_targetILNS1_3genE4ELNS1_11target_archE910ELNS1_3gpuE8ELNS1_3repE0EEENS1_30default_config_static_selectorELNS0_4arch9wavefront6targetE0EEEvT1_.has_indirect_call, 0
	.section	.AMDGPU.csdata,"",@progbits
; Kernel info:
; codeLenInByte = 0
; TotalNumSgprs: 0
; NumVgprs: 0
; ScratchSize: 0
; MemoryBound: 0
; FloatMode: 240
; IeeeMode: 1
; LDSByteSize: 0 bytes/workgroup (compile time only)
; SGPRBlocks: 0
; VGPRBlocks: 0
; NumSGPRsForWavesPerEU: 1
; NumVGPRsForWavesPerEU: 1
; Occupancy: 16
; WaveLimiterHint : 0
; COMPUTE_PGM_RSRC2:SCRATCH_EN: 0
; COMPUTE_PGM_RSRC2:USER_SGPR: 6
; COMPUTE_PGM_RSRC2:TRAP_HANDLER: 0
; COMPUTE_PGM_RSRC2:TGID_X_EN: 1
; COMPUTE_PGM_RSRC2:TGID_Y_EN: 0
; COMPUTE_PGM_RSRC2:TGID_Z_EN: 0
; COMPUTE_PGM_RSRC2:TIDIG_COMP_CNT: 0
	.section	.text._ZN7rocprim17ROCPRIM_400000_NS6detail17trampoline_kernelINS0_14default_configENS1_25partition_config_selectorILNS1_17partition_subalgoE8EiNS0_10empty_typeEbEEZZNS1_14partition_implILS5_8ELb0ES3_jPKiPS6_PKS6_NS0_5tupleIJPiS6_EEENSE_IJSB_SB_EEENS0_18inequality_wrapperIN6hipcub16HIPCUB_304000_NS8EqualityEEEPlJS6_EEE10hipError_tPvRmT3_T4_T5_T6_T7_T9_mT8_P12ihipStream_tbDpT10_ENKUlT_T0_E_clISt17integral_constantIbLb0EES17_EEDaS12_S13_EUlS12_E_NS1_11comp_targetILNS1_3genE3ELNS1_11target_archE908ELNS1_3gpuE7ELNS1_3repE0EEENS1_30default_config_static_selectorELNS0_4arch9wavefront6targetE0EEEvT1_,"axG",@progbits,_ZN7rocprim17ROCPRIM_400000_NS6detail17trampoline_kernelINS0_14default_configENS1_25partition_config_selectorILNS1_17partition_subalgoE8EiNS0_10empty_typeEbEEZZNS1_14partition_implILS5_8ELb0ES3_jPKiPS6_PKS6_NS0_5tupleIJPiS6_EEENSE_IJSB_SB_EEENS0_18inequality_wrapperIN6hipcub16HIPCUB_304000_NS8EqualityEEEPlJS6_EEE10hipError_tPvRmT3_T4_T5_T6_T7_T9_mT8_P12ihipStream_tbDpT10_ENKUlT_T0_E_clISt17integral_constantIbLb0EES17_EEDaS12_S13_EUlS12_E_NS1_11comp_targetILNS1_3genE3ELNS1_11target_archE908ELNS1_3gpuE7ELNS1_3repE0EEENS1_30default_config_static_selectorELNS0_4arch9wavefront6targetE0EEEvT1_,comdat
	.protected	_ZN7rocprim17ROCPRIM_400000_NS6detail17trampoline_kernelINS0_14default_configENS1_25partition_config_selectorILNS1_17partition_subalgoE8EiNS0_10empty_typeEbEEZZNS1_14partition_implILS5_8ELb0ES3_jPKiPS6_PKS6_NS0_5tupleIJPiS6_EEENSE_IJSB_SB_EEENS0_18inequality_wrapperIN6hipcub16HIPCUB_304000_NS8EqualityEEEPlJS6_EEE10hipError_tPvRmT3_T4_T5_T6_T7_T9_mT8_P12ihipStream_tbDpT10_ENKUlT_T0_E_clISt17integral_constantIbLb0EES17_EEDaS12_S13_EUlS12_E_NS1_11comp_targetILNS1_3genE3ELNS1_11target_archE908ELNS1_3gpuE7ELNS1_3repE0EEENS1_30default_config_static_selectorELNS0_4arch9wavefront6targetE0EEEvT1_ ; -- Begin function _ZN7rocprim17ROCPRIM_400000_NS6detail17trampoline_kernelINS0_14default_configENS1_25partition_config_selectorILNS1_17partition_subalgoE8EiNS0_10empty_typeEbEEZZNS1_14partition_implILS5_8ELb0ES3_jPKiPS6_PKS6_NS0_5tupleIJPiS6_EEENSE_IJSB_SB_EEENS0_18inequality_wrapperIN6hipcub16HIPCUB_304000_NS8EqualityEEEPlJS6_EEE10hipError_tPvRmT3_T4_T5_T6_T7_T9_mT8_P12ihipStream_tbDpT10_ENKUlT_T0_E_clISt17integral_constantIbLb0EES17_EEDaS12_S13_EUlS12_E_NS1_11comp_targetILNS1_3genE3ELNS1_11target_archE908ELNS1_3gpuE7ELNS1_3repE0EEENS1_30default_config_static_selectorELNS0_4arch9wavefront6targetE0EEEvT1_
	.globl	_ZN7rocprim17ROCPRIM_400000_NS6detail17trampoline_kernelINS0_14default_configENS1_25partition_config_selectorILNS1_17partition_subalgoE8EiNS0_10empty_typeEbEEZZNS1_14partition_implILS5_8ELb0ES3_jPKiPS6_PKS6_NS0_5tupleIJPiS6_EEENSE_IJSB_SB_EEENS0_18inequality_wrapperIN6hipcub16HIPCUB_304000_NS8EqualityEEEPlJS6_EEE10hipError_tPvRmT3_T4_T5_T6_T7_T9_mT8_P12ihipStream_tbDpT10_ENKUlT_T0_E_clISt17integral_constantIbLb0EES17_EEDaS12_S13_EUlS12_E_NS1_11comp_targetILNS1_3genE3ELNS1_11target_archE908ELNS1_3gpuE7ELNS1_3repE0EEENS1_30default_config_static_selectorELNS0_4arch9wavefront6targetE0EEEvT1_
	.p2align	8
	.type	_ZN7rocprim17ROCPRIM_400000_NS6detail17trampoline_kernelINS0_14default_configENS1_25partition_config_selectorILNS1_17partition_subalgoE8EiNS0_10empty_typeEbEEZZNS1_14partition_implILS5_8ELb0ES3_jPKiPS6_PKS6_NS0_5tupleIJPiS6_EEENSE_IJSB_SB_EEENS0_18inequality_wrapperIN6hipcub16HIPCUB_304000_NS8EqualityEEEPlJS6_EEE10hipError_tPvRmT3_T4_T5_T6_T7_T9_mT8_P12ihipStream_tbDpT10_ENKUlT_T0_E_clISt17integral_constantIbLb0EES17_EEDaS12_S13_EUlS12_E_NS1_11comp_targetILNS1_3genE3ELNS1_11target_archE908ELNS1_3gpuE7ELNS1_3repE0EEENS1_30default_config_static_selectorELNS0_4arch9wavefront6targetE0EEEvT1_,@function
_ZN7rocprim17ROCPRIM_400000_NS6detail17trampoline_kernelINS0_14default_configENS1_25partition_config_selectorILNS1_17partition_subalgoE8EiNS0_10empty_typeEbEEZZNS1_14partition_implILS5_8ELb0ES3_jPKiPS6_PKS6_NS0_5tupleIJPiS6_EEENSE_IJSB_SB_EEENS0_18inequality_wrapperIN6hipcub16HIPCUB_304000_NS8EqualityEEEPlJS6_EEE10hipError_tPvRmT3_T4_T5_T6_T7_T9_mT8_P12ihipStream_tbDpT10_ENKUlT_T0_E_clISt17integral_constantIbLb0EES17_EEDaS12_S13_EUlS12_E_NS1_11comp_targetILNS1_3genE3ELNS1_11target_archE908ELNS1_3gpuE7ELNS1_3repE0EEENS1_30default_config_static_selectorELNS0_4arch9wavefront6targetE0EEEvT1_: ; @_ZN7rocprim17ROCPRIM_400000_NS6detail17trampoline_kernelINS0_14default_configENS1_25partition_config_selectorILNS1_17partition_subalgoE8EiNS0_10empty_typeEbEEZZNS1_14partition_implILS5_8ELb0ES3_jPKiPS6_PKS6_NS0_5tupleIJPiS6_EEENSE_IJSB_SB_EEENS0_18inequality_wrapperIN6hipcub16HIPCUB_304000_NS8EqualityEEEPlJS6_EEE10hipError_tPvRmT3_T4_T5_T6_T7_T9_mT8_P12ihipStream_tbDpT10_ENKUlT_T0_E_clISt17integral_constantIbLb0EES17_EEDaS12_S13_EUlS12_E_NS1_11comp_targetILNS1_3genE3ELNS1_11target_archE908ELNS1_3gpuE7ELNS1_3repE0EEENS1_30default_config_static_selectorELNS0_4arch9wavefront6targetE0EEEvT1_
; %bb.0:
	.section	.rodata,"a",@progbits
	.p2align	6, 0x0
	.amdhsa_kernel _ZN7rocprim17ROCPRIM_400000_NS6detail17trampoline_kernelINS0_14default_configENS1_25partition_config_selectorILNS1_17partition_subalgoE8EiNS0_10empty_typeEbEEZZNS1_14partition_implILS5_8ELb0ES3_jPKiPS6_PKS6_NS0_5tupleIJPiS6_EEENSE_IJSB_SB_EEENS0_18inequality_wrapperIN6hipcub16HIPCUB_304000_NS8EqualityEEEPlJS6_EEE10hipError_tPvRmT3_T4_T5_T6_T7_T9_mT8_P12ihipStream_tbDpT10_ENKUlT_T0_E_clISt17integral_constantIbLb0EES17_EEDaS12_S13_EUlS12_E_NS1_11comp_targetILNS1_3genE3ELNS1_11target_archE908ELNS1_3gpuE7ELNS1_3repE0EEENS1_30default_config_static_selectorELNS0_4arch9wavefront6targetE0EEEvT1_
		.amdhsa_group_segment_fixed_size 0
		.amdhsa_private_segment_fixed_size 0
		.amdhsa_kernarg_size 112
		.amdhsa_user_sgpr_count 6
		.amdhsa_user_sgpr_private_segment_buffer 1
		.amdhsa_user_sgpr_dispatch_ptr 0
		.amdhsa_user_sgpr_queue_ptr 0
		.amdhsa_user_sgpr_kernarg_segment_ptr 1
		.amdhsa_user_sgpr_dispatch_id 0
		.amdhsa_user_sgpr_flat_scratch_init 0
		.amdhsa_user_sgpr_private_segment_size 0
		.amdhsa_wavefront_size32 1
		.amdhsa_uses_dynamic_stack 0
		.amdhsa_system_sgpr_private_segment_wavefront_offset 0
		.amdhsa_system_sgpr_workgroup_id_x 1
		.amdhsa_system_sgpr_workgroup_id_y 0
		.amdhsa_system_sgpr_workgroup_id_z 0
		.amdhsa_system_sgpr_workgroup_info 0
		.amdhsa_system_vgpr_workitem_id 0
		.amdhsa_next_free_vgpr 1
		.amdhsa_next_free_sgpr 1
		.amdhsa_reserve_vcc 0
		.amdhsa_reserve_flat_scratch 0
		.amdhsa_float_round_mode_32 0
		.amdhsa_float_round_mode_16_64 0
		.amdhsa_float_denorm_mode_32 3
		.amdhsa_float_denorm_mode_16_64 3
		.amdhsa_dx10_clamp 1
		.amdhsa_ieee_mode 1
		.amdhsa_fp16_overflow 0
		.amdhsa_workgroup_processor_mode 1
		.amdhsa_memory_ordered 1
		.amdhsa_forward_progress 1
		.amdhsa_shared_vgpr_count 0
		.amdhsa_exception_fp_ieee_invalid_op 0
		.amdhsa_exception_fp_denorm_src 0
		.amdhsa_exception_fp_ieee_div_zero 0
		.amdhsa_exception_fp_ieee_overflow 0
		.amdhsa_exception_fp_ieee_underflow 0
		.amdhsa_exception_fp_ieee_inexact 0
		.amdhsa_exception_int_div_zero 0
	.end_amdhsa_kernel
	.section	.text._ZN7rocprim17ROCPRIM_400000_NS6detail17trampoline_kernelINS0_14default_configENS1_25partition_config_selectorILNS1_17partition_subalgoE8EiNS0_10empty_typeEbEEZZNS1_14partition_implILS5_8ELb0ES3_jPKiPS6_PKS6_NS0_5tupleIJPiS6_EEENSE_IJSB_SB_EEENS0_18inequality_wrapperIN6hipcub16HIPCUB_304000_NS8EqualityEEEPlJS6_EEE10hipError_tPvRmT3_T4_T5_T6_T7_T9_mT8_P12ihipStream_tbDpT10_ENKUlT_T0_E_clISt17integral_constantIbLb0EES17_EEDaS12_S13_EUlS12_E_NS1_11comp_targetILNS1_3genE3ELNS1_11target_archE908ELNS1_3gpuE7ELNS1_3repE0EEENS1_30default_config_static_selectorELNS0_4arch9wavefront6targetE0EEEvT1_,"axG",@progbits,_ZN7rocprim17ROCPRIM_400000_NS6detail17trampoline_kernelINS0_14default_configENS1_25partition_config_selectorILNS1_17partition_subalgoE8EiNS0_10empty_typeEbEEZZNS1_14partition_implILS5_8ELb0ES3_jPKiPS6_PKS6_NS0_5tupleIJPiS6_EEENSE_IJSB_SB_EEENS0_18inequality_wrapperIN6hipcub16HIPCUB_304000_NS8EqualityEEEPlJS6_EEE10hipError_tPvRmT3_T4_T5_T6_T7_T9_mT8_P12ihipStream_tbDpT10_ENKUlT_T0_E_clISt17integral_constantIbLb0EES17_EEDaS12_S13_EUlS12_E_NS1_11comp_targetILNS1_3genE3ELNS1_11target_archE908ELNS1_3gpuE7ELNS1_3repE0EEENS1_30default_config_static_selectorELNS0_4arch9wavefront6targetE0EEEvT1_,comdat
.Lfunc_end181:
	.size	_ZN7rocprim17ROCPRIM_400000_NS6detail17trampoline_kernelINS0_14default_configENS1_25partition_config_selectorILNS1_17partition_subalgoE8EiNS0_10empty_typeEbEEZZNS1_14partition_implILS5_8ELb0ES3_jPKiPS6_PKS6_NS0_5tupleIJPiS6_EEENSE_IJSB_SB_EEENS0_18inequality_wrapperIN6hipcub16HIPCUB_304000_NS8EqualityEEEPlJS6_EEE10hipError_tPvRmT3_T4_T5_T6_T7_T9_mT8_P12ihipStream_tbDpT10_ENKUlT_T0_E_clISt17integral_constantIbLb0EES17_EEDaS12_S13_EUlS12_E_NS1_11comp_targetILNS1_3genE3ELNS1_11target_archE908ELNS1_3gpuE7ELNS1_3repE0EEENS1_30default_config_static_selectorELNS0_4arch9wavefront6targetE0EEEvT1_, .Lfunc_end181-_ZN7rocprim17ROCPRIM_400000_NS6detail17trampoline_kernelINS0_14default_configENS1_25partition_config_selectorILNS1_17partition_subalgoE8EiNS0_10empty_typeEbEEZZNS1_14partition_implILS5_8ELb0ES3_jPKiPS6_PKS6_NS0_5tupleIJPiS6_EEENSE_IJSB_SB_EEENS0_18inequality_wrapperIN6hipcub16HIPCUB_304000_NS8EqualityEEEPlJS6_EEE10hipError_tPvRmT3_T4_T5_T6_T7_T9_mT8_P12ihipStream_tbDpT10_ENKUlT_T0_E_clISt17integral_constantIbLb0EES17_EEDaS12_S13_EUlS12_E_NS1_11comp_targetILNS1_3genE3ELNS1_11target_archE908ELNS1_3gpuE7ELNS1_3repE0EEENS1_30default_config_static_selectorELNS0_4arch9wavefront6targetE0EEEvT1_
                                        ; -- End function
	.set _ZN7rocprim17ROCPRIM_400000_NS6detail17trampoline_kernelINS0_14default_configENS1_25partition_config_selectorILNS1_17partition_subalgoE8EiNS0_10empty_typeEbEEZZNS1_14partition_implILS5_8ELb0ES3_jPKiPS6_PKS6_NS0_5tupleIJPiS6_EEENSE_IJSB_SB_EEENS0_18inequality_wrapperIN6hipcub16HIPCUB_304000_NS8EqualityEEEPlJS6_EEE10hipError_tPvRmT3_T4_T5_T6_T7_T9_mT8_P12ihipStream_tbDpT10_ENKUlT_T0_E_clISt17integral_constantIbLb0EES17_EEDaS12_S13_EUlS12_E_NS1_11comp_targetILNS1_3genE3ELNS1_11target_archE908ELNS1_3gpuE7ELNS1_3repE0EEENS1_30default_config_static_selectorELNS0_4arch9wavefront6targetE0EEEvT1_.num_vgpr, 0
	.set _ZN7rocprim17ROCPRIM_400000_NS6detail17trampoline_kernelINS0_14default_configENS1_25partition_config_selectorILNS1_17partition_subalgoE8EiNS0_10empty_typeEbEEZZNS1_14partition_implILS5_8ELb0ES3_jPKiPS6_PKS6_NS0_5tupleIJPiS6_EEENSE_IJSB_SB_EEENS0_18inequality_wrapperIN6hipcub16HIPCUB_304000_NS8EqualityEEEPlJS6_EEE10hipError_tPvRmT3_T4_T5_T6_T7_T9_mT8_P12ihipStream_tbDpT10_ENKUlT_T0_E_clISt17integral_constantIbLb0EES17_EEDaS12_S13_EUlS12_E_NS1_11comp_targetILNS1_3genE3ELNS1_11target_archE908ELNS1_3gpuE7ELNS1_3repE0EEENS1_30default_config_static_selectorELNS0_4arch9wavefront6targetE0EEEvT1_.num_agpr, 0
	.set _ZN7rocprim17ROCPRIM_400000_NS6detail17trampoline_kernelINS0_14default_configENS1_25partition_config_selectorILNS1_17partition_subalgoE8EiNS0_10empty_typeEbEEZZNS1_14partition_implILS5_8ELb0ES3_jPKiPS6_PKS6_NS0_5tupleIJPiS6_EEENSE_IJSB_SB_EEENS0_18inequality_wrapperIN6hipcub16HIPCUB_304000_NS8EqualityEEEPlJS6_EEE10hipError_tPvRmT3_T4_T5_T6_T7_T9_mT8_P12ihipStream_tbDpT10_ENKUlT_T0_E_clISt17integral_constantIbLb0EES17_EEDaS12_S13_EUlS12_E_NS1_11comp_targetILNS1_3genE3ELNS1_11target_archE908ELNS1_3gpuE7ELNS1_3repE0EEENS1_30default_config_static_selectorELNS0_4arch9wavefront6targetE0EEEvT1_.numbered_sgpr, 0
	.set _ZN7rocprim17ROCPRIM_400000_NS6detail17trampoline_kernelINS0_14default_configENS1_25partition_config_selectorILNS1_17partition_subalgoE8EiNS0_10empty_typeEbEEZZNS1_14partition_implILS5_8ELb0ES3_jPKiPS6_PKS6_NS0_5tupleIJPiS6_EEENSE_IJSB_SB_EEENS0_18inequality_wrapperIN6hipcub16HIPCUB_304000_NS8EqualityEEEPlJS6_EEE10hipError_tPvRmT3_T4_T5_T6_T7_T9_mT8_P12ihipStream_tbDpT10_ENKUlT_T0_E_clISt17integral_constantIbLb0EES17_EEDaS12_S13_EUlS12_E_NS1_11comp_targetILNS1_3genE3ELNS1_11target_archE908ELNS1_3gpuE7ELNS1_3repE0EEENS1_30default_config_static_selectorELNS0_4arch9wavefront6targetE0EEEvT1_.num_named_barrier, 0
	.set _ZN7rocprim17ROCPRIM_400000_NS6detail17trampoline_kernelINS0_14default_configENS1_25partition_config_selectorILNS1_17partition_subalgoE8EiNS0_10empty_typeEbEEZZNS1_14partition_implILS5_8ELb0ES3_jPKiPS6_PKS6_NS0_5tupleIJPiS6_EEENSE_IJSB_SB_EEENS0_18inequality_wrapperIN6hipcub16HIPCUB_304000_NS8EqualityEEEPlJS6_EEE10hipError_tPvRmT3_T4_T5_T6_T7_T9_mT8_P12ihipStream_tbDpT10_ENKUlT_T0_E_clISt17integral_constantIbLb0EES17_EEDaS12_S13_EUlS12_E_NS1_11comp_targetILNS1_3genE3ELNS1_11target_archE908ELNS1_3gpuE7ELNS1_3repE0EEENS1_30default_config_static_selectorELNS0_4arch9wavefront6targetE0EEEvT1_.private_seg_size, 0
	.set _ZN7rocprim17ROCPRIM_400000_NS6detail17trampoline_kernelINS0_14default_configENS1_25partition_config_selectorILNS1_17partition_subalgoE8EiNS0_10empty_typeEbEEZZNS1_14partition_implILS5_8ELb0ES3_jPKiPS6_PKS6_NS0_5tupleIJPiS6_EEENSE_IJSB_SB_EEENS0_18inequality_wrapperIN6hipcub16HIPCUB_304000_NS8EqualityEEEPlJS6_EEE10hipError_tPvRmT3_T4_T5_T6_T7_T9_mT8_P12ihipStream_tbDpT10_ENKUlT_T0_E_clISt17integral_constantIbLb0EES17_EEDaS12_S13_EUlS12_E_NS1_11comp_targetILNS1_3genE3ELNS1_11target_archE908ELNS1_3gpuE7ELNS1_3repE0EEENS1_30default_config_static_selectorELNS0_4arch9wavefront6targetE0EEEvT1_.uses_vcc, 0
	.set _ZN7rocprim17ROCPRIM_400000_NS6detail17trampoline_kernelINS0_14default_configENS1_25partition_config_selectorILNS1_17partition_subalgoE8EiNS0_10empty_typeEbEEZZNS1_14partition_implILS5_8ELb0ES3_jPKiPS6_PKS6_NS0_5tupleIJPiS6_EEENSE_IJSB_SB_EEENS0_18inequality_wrapperIN6hipcub16HIPCUB_304000_NS8EqualityEEEPlJS6_EEE10hipError_tPvRmT3_T4_T5_T6_T7_T9_mT8_P12ihipStream_tbDpT10_ENKUlT_T0_E_clISt17integral_constantIbLb0EES17_EEDaS12_S13_EUlS12_E_NS1_11comp_targetILNS1_3genE3ELNS1_11target_archE908ELNS1_3gpuE7ELNS1_3repE0EEENS1_30default_config_static_selectorELNS0_4arch9wavefront6targetE0EEEvT1_.uses_flat_scratch, 0
	.set _ZN7rocprim17ROCPRIM_400000_NS6detail17trampoline_kernelINS0_14default_configENS1_25partition_config_selectorILNS1_17partition_subalgoE8EiNS0_10empty_typeEbEEZZNS1_14partition_implILS5_8ELb0ES3_jPKiPS6_PKS6_NS0_5tupleIJPiS6_EEENSE_IJSB_SB_EEENS0_18inequality_wrapperIN6hipcub16HIPCUB_304000_NS8EqualityEEEPlJS6_EEE10hipError_tPvRmT3_T4_T5_T6_T7_T9_mT8_P12ihipStream_tbDpT10_ENKUlT_T0_E_clISt17integral_constantIbLb0EES17_EEDaS12_S13_EUlS12_E_NS1_11comp_targetILNS1_3genE3ELNS1_11target_archE908ELNS1_3gpuE7ELNS1_3repE0EEENS1_30default_config_static_selectorELNS0_4arch9wavefront6targetE0EEEvT1_.has_dyn_sized_stack, 0
	.set _ZN7rocprim17ROCPRIM_400000_NS6detail17trampoline_kernelINS0_14default_configENS1_25partition_config_selectorILNS1_17partition_subalgoE8EiNS0_10empty_typeEbEEZZNS1_14partition_implILS5_8ELb0ES3_jPKiPS6_PKS6_NS0_5tupleIJPiS6_EEENSE_IJSB_SB_EEENS0_18inequality_wrapperIN6hipcub16HIPCUB_304000_NS8EqualityEEEPlJS6_EEE10hipError_tPvRmT3_T4_T5_T6_T7_T9_mT8_P12ihipStream_tbDpT10_ENKUlT_T0_E_clISt17integral_constantIbLb0EES17_EEDaS12_S13_EUlS12_E_NS1_11comp_targetILNS1_3genE3ELNS1_11target_archE908ELNS1_3gpuE7ELNS1_3repE0EEENS1_30default_config_static_selectorELNS0_4arch9wavefront6targetE0EEEvT1_.has_recursion, 0
	.set _ZN7rocprim17ROCPRIM_400000_NS6detail17trampoline_kernelINS0_14default_configENS1_25partition_config_selectorILNS1_17partition_subalgoE8EiNS0_10empty_typeEbEEZZNS1_14partition_implILS5_8ELb0ES3_jPKiPS6_PKS6_NS0_5tupleIJPiS6_EEENSE_IJSB_SB_EEENS0_18inequality_wrapperIN6hipcub16HIPCUB_304000_NS8EqualityEEEPlJS6_EEE10hipError_tPvRmT3_T4_T5_T6_T7_T9_mT8_P12ihipStream_tbDpT10_ENKUlT_T0_E_clISt17integral_constantIbLb0EES17_EEDaS12_S13_EUlS12_E_NS1_11comp_targetILNS1_3genE3ELNS1_11target_archE908ELNS1_3gpuE7ELNS1_3repE0EEENS1_30default_config_static_selectorELNS0_4arch9wavefront6targetE0EEEvT1_.has_indirect_call, 0
	.section	.AMDGPU.csdata,"",@progbits
; Kernel info:
; codeLenInByte = 0
; TotalNumSgprs: 0
; NumVgprs: 0
; ScratchSize: 0
; MemoryBound: 0
; FloatMode: 240
; IeeeMode: 1
; LDSByteSize: 0 bytes/workgroup (compile time only)
; SGPRBlocks: 0
; VGPRBlocks: 0
; NumSGPRsForWavesPerEU: 1
; NumVGPRsForWavesPerEU: 1
; Occupancy: 16
; WaveLimiterHint : 0
; COMPUTE_PGM_RSRC2:SCRATCH_EN: 0
; COMPUTE_PGM_RSRC2:USER_SGPR: 6
; COMPUTE_PGM_RSRC2:TRAP_HANDLER: 0
; COMPUTE_PGM_RSRC2:TGID_X_EN: 1
; COMPUTE_PGM_RSRC2:TGID_Y_EN: 0
; COMPUTE_PGM_RSRC2:TGID_Z_EN: 0
; COMPUTE_PGM_RSRC2:TIDIG_COMP_CNT: 0
	.section	.text._ZN7rocprim17ROCPRIM_400000_NS6detail17trampoline_kernelINS0_14default_configENS1_25partition_config_selectorILNS1_17partition_subalgoE8EiNS0_10empty_typeEbEEZZNS1_14partition_implILS5_8ELb0ES3_jPKiPS6_PKS6_NS0_5tupleIJPiS6_EEENSE_IJSB_SB_EEENS0_18inequality_wrapperIN6hipcub16HIPCUB_304000_NS8EqualityEEEPlJS6_EEE10hipError_tPvRmT3_T4_T5_T6_T7_T9_mT8_P12ihipStream_tbDpT10_ENKUlT_T0_E_clISt17integral_constantIbLb0EES17_EEDaS12_S13_EUlS12_E_NS1_11comp_targetILNS1_3genE2ELNS1_11target_archE906ELNS1_3gpuE6ELNS1_3repE0EEENS1_30default_config_static_selectorELNS0_4arch9wavefront6targetE0EEEvT1_,"axG",@progbits,_ZN7rocprim17ROCPRIM_400000_NS6detail17trampoline_kernelINS0_14default_configENS1_25partition_config_selectorILNS1_17partition_subalgoE8EiNS0_10empty_typeEbEEZZNS1_14partition_implILS5_8ELb0ES3_jPKiPS6_PKS6_NS0_5tupleIJPiS6_EEENSE_IJSB_SB_EEENS0_18inequality_wrapperIN6hipcub16HIPCUB_304000_NS8EqualityEEEPlJS6_EEE10hipError_tPvRmT3_T4_T5_T6_T7_T9_mT8_P12ihipStream_tbDpT10_ENKUlT_T0_E_clISt17integral_constantIbLb0EES17_EEDaS12_S13_EUlS12_E_NS1_11comp_targetILNS1_3genE2ELNS1_11target_archE906ELNS1_3gpuE6ELNS1_3repE0EEENS1_30default_config_static_selectorELNS0_4arch9wavefront6targetE0EEEvT1_,comdat
	.protected	_ZN7rocprim17ROCPRIM_400000_NS6detail17trampoline_kernelINS0_14default_configENS1_25partition_config_selectorILNS1_17partition_subalgoE8EiNS0_10empty_typeEbEEZZNS1_14partition_implILS5_8ELb0ES3_jPKiPS6_PKS6_NS0_5tupleIJPiS6_EEENSE_IJSB_SB_EEENS0_18inequality_wrapperIN6hipcub16HIPCUB_304000_NS8EqualityEEEPlJS6_EEE10hipError_tPvRmT3_T4_T5_T6_T7_T9_mT8_P12ihipStream_tbDpT10_ENKUlT_T0_E_clISt17integral_constantIbLb0EES17_EEDaS12_S13_EUlS12_E_NS1_11comp_targetILNS1_3genE2ELNS1_11target_archE906ELNS1_3gpuE6ELNS1_3repE0EEENS1_30default_config_static_selectorELNS0_4arch9wavefront6targetE0EEEvT1_ ; -- Begin function _ZN7rocprim17ROCPRIM_400000_NS6detail17trampoline_kernelINS0_14default_configENS1_25partition_config_selectorILNS1_17partition_subalgoE8EiNS0_10empty_typeEbEEZZNS1_14partition_implILS5_8ELb0ES3_jPKiPS6_PKS6_NS0_5tupleIJPiS6_EEENSE_IJSB_SB_EEENS0_18inequality_wrapperIN6hipcub16HIPCUB_304000_NS8EqualityEEEPlJS6_EEE10hipError_tPvRmT3_T4_T5_T6_T7_T9_mT8_P12ihipStream_tbDpT10_ENKUlT_T0_E_clISt17integral_constantIbLb0EES17_EEDaS12_S13_EUlS12_E_NS1_11comp_targetILNS1_3genE2ELNS1_11target_archE906ELNS1_3gpuE6ELNS1_3repE0EEENS1_30default_config_static_selectorELNS0_4arch9wavefront6targetE0EEEvT1_
	.globl	_ZN7rocprim17ROCPRIM_400000_NS6detail17trampoline_kernelINS0_14default_configENS1_25partition_config_selectorILNS1_17partition_subalgoE8EiNS0_10empty_typeEbEEZZNS1_14partition_implILS5_8ELb0ES3_jPKiPS6_PKS6_NS0_5tupleIJPiS6_EEENSE_IJSB_SB_EEENS0_18inequality_wrapperIN6hipcub16HIPCUB_304000_NS8EqualityEEEPlJS6_EEE10hipError_tPvRmT3_T4_T5_T6_T7_T9_mT8_P12ihipStream_tbDpT10_ENKUlT_T0_E_clISt17integral_constantIbLb0EES17_EEDaS12_S13_EUlS12_E_NS1_11comp_targetILNS1_3genE2ELNS1_11target_archE906ELNS1_3gpuE6ELNS1_3repE0EEENS1_30default_config_static_selectorELNS0_4arch9wavefront6targetE0EEEvT1_
	.p2align	8
	.type	_ZN7rocprim17ROCPRIM_400000_NS6detail17trampoline_kernelINS0_14default_configENS1_25partition_config_selectorILNS1_17partition_subalgoE8EiNS0_10empty_typeEbEEZZNS1_14partition_implILS5_8ELb0ES3_jPKiPS6_PKS6_NS0_5tupleIJPiS6_EEENSE_IJSB_SB_EEENS0_18inequality_wrapperIN6hipcub16HIPCUB_304000_NS8EqualityEEEPlJS6_EEE10hipError_tPvRmT3_T4_T5_T6_T7_T9_mT8_P12ihipStream_tbDpT10_ENKUlT_T0_E_clISt17integral_constantIbLb0EES17_EEDaS12_S13_EUlS12_E_NS1_11comp_targetILNS1_3genE2ELNS1_11target_archE906ELNS1_3gpuE6ELNS1_3repE0EEENS1_30default_config_static_selectorELNS0_4arch9wavefront6targetE0EEEvT1_,@function
_ZN7rocprim17ROCPRIM_400000_NS6detail17trampoline_kernelINS0_14default_configENS1_25partition_config_selectorILNS1_17partition_subalgoE8EiNS0_10empty_typeEbEEZZNS1_14partition_implILS5_8ELb0ES3_jPKiPS6_PKS6_NS0_5tupleIJPiS6_EEENSE_IJSB_SB_EEENS0_18inequality_wrapperIN6hipcub16HIPCUB_304000_NS8EqualityEEEPlJS6_EEE10hipError_tPvRmT3_T4_T5_T6_T7_T9_mT8_P12ihipStream_tbDpT10_ENKUlT_T0_E_clISt17integral_constantIbLb0EES17_EEDaS12_S13_EUlS12_E_NS1_11comp_targetILNS1_3genE2ELNS1_11target_archE906ELNS1_3gpuE6ELNS1_3repE0EEENS1_30default_config_static_selectorELNS0_4arch9wavefront6targetE0EEEvT1_: ; @_ZN7rocprim17ROCPRIM_400000_NS6detail17trampoline_kernelINS0_14default_configENS1_25partition_config_selectorILNS1_17partition_subalgoE8EiNS0_10empty_typeEbEEZZNS1_14partition_implILS5_8ELb0ES3_jPKiPS6_PKS6_NS0_5tupleIJPiS6_EEENSE_IJSB_SB_EEENS0_18inequality_wrapperIN6hipcub16HIPCUB_304000_NS8EqualityEEEPlJS6_EEE10hipError_tPvRmT3_T4_T5_T6_T7_T9_mT8_P12ihipStream_tbDpT10_ENKUlT_T0_E_clISt17integral_constantIbLb0EES17_EEDaS12_S13_EUlS12_E_NS1_11comp_targetILNS1_3genE2ELNS1_11target_archE906ELNS1_3gpuE6ELNS1_3repE0EEENS1_30default_config_static_selectorELNS0_4arch9wavefront6targetE0EEEvT1_
; %bb.0:
	.section	.rodata,"a",@progbits
	.p2align	6, 0x0
	.amdhsa_kernel _ZN7rocprim17ROCPRIM_400000_NS6detail17trampoline_kernelINS0_14default_configENS1_25partition_config_selectorILNS1_17partition_subalgoE8EiNS0_10empty_typeEbEEZZNS1_14partition_implILS5_8ELb0ES3_jPKiPS6_PKS6_NS0_5tupleIJPiS6_EEENSE_IJSB_SB_EEENS0_18inequality_wrapperIN6hipcub16HIPCUB_304000_NS8EqualityEEEPlJS6_EEE10hipError_tPvRmT3_T4_T5_T6_T7_T9_mT8_P12ihipStream_tbDpT10_ENKUlT_T0_E_clISt17integral_constantIbLb0EES17_EEDaS12_S13_EUlS12_E_NS1_11comp_targetILNS1_3genE2ELNS1_11target_archE906ELNS1_3gpuE6ELNS1_3repE0EEENS1_30default_config_static_selectorELNS0_4arch9wavefront6targetE0EEEvT1_
		.amdhsa_group_segment_fixed_size 0
		.amdhsa_private_segment_fixed_size 0
		.amdhsa_kernarg_size 112
		.amdhsa_user_sgpr_count 6
		.amdhsa_user_sgpr_private_segment_buffer 1
		.amdhsa_user_sgpr_dispatch_ptr 0
		.amdhsa_user_sgpr_queue_ptr 0
		.amdhsa_user_sgpr_kernarg_segment_ptr 1
		.amdhsa_user_sgpr_dispatch_id 0
		.amdhsa_user_sgpr_flat_scratch_init 0
		.amdhsa_user_sgpr_private_segment_size 0
		.amdhsa_wavefront_size32 1
		.amdhsa_uses_dynamic_stack 0
		.amdhsa_system_sgpr_private_segment_wavefront_offset 0
		.amdhsa_system_sgpr_workgroup_id_x 1
		.amdhsa_system_sgpr_workgroup_id_y 0
		.amdhsa_system_sgpr_workgroup_id_z 0
		.amdhsa_system_sgpr_workgroup_info 0
		.amdhsa_system_vgpr_workitem_id 0
		.amdhsa_next_free_vgpr 1
		.amdhsa_next_free_sgpr 1
		.amdhsa_reserve_vcc 0
		.amdhsa_reserve_flat_scratch 0
		.amdhsa_float_round_mode_32 0
		.amdhsa_float_round_mode_16_64 0
		.amdhsa_float_denorm_mode_32 3
		.amdhsa_float_denorm_mode_16_64 3
		.amdhsa_dx10_clamp 1
		.amdhsa_ieee_mode 1
		.amdhsa_fp16_overflow 0
		.amdhsa_workgroup_processor_mode 1
		.amdhsa_memory_ordered 1
		.amdhsa_forward_progress 1
		.amdhsa_shared_vgpr_count 0
		.amdhsa_exception_fp_ieee_invalid_op 0
		.amdhsa_exception_fp_denorm_src 0
		.amdhsa_exception_fp_ieee_div_zero 0
		.amdhsa_exception_fp_ieee_overflow 0
		.amdhsa_exception_fp_ieee_underflow 0
		.amdhsa_exception_fp_ieee_inexact 0
		.amdhsa_exception_int_div_zero 0
	.end_amdhsa_kernel
	.section	.text._ZN7rocprim17ROCPRIM_400000_NS6detail17trampoline_kernelINS0_14default_configENS1_25partition_config_selectorILNS1_17partition_subalgoE8EiNS0_10empty_typeEbEEZZNS1_14partition_implILS5_8ELb0ES3_jPKiPS6_PKS6_NS0_5tupleIJPiS6_EEENSE_IJSB_SB_EEENS0_18inequality_wrapperIN6hipcub16HIPCUB_304000_NS8EqualityEEEPlJS6_EEE10hipError_tPvRmT3_T4_T5_T6_T7_T9_mT8_P12ihipStream_tbDpT10_ENKUlT_T0_E_clISt17integral_constantIbLb0EES17_EEDaS12_S13_EUlS12_E_NS1_11comp_targetILNS1_3genE2ELNS1_11target_archE906ELNS1_3gpuE6ELNS1_3repE0EEENS1_30default_config_static_selectorELNS0_4arch9wavefront6targetE0EEEvT1_,"axG",@progbits,_ZN7rocprim17ROCPRIM_400000_NS6detail17trampoline_kernelINS0_14default_configENS1_25partition_config_selectorILNS1_17partition_subalgoE8EiNS0_10empty_typeEbEEZZNS1_14partition_implILS5_8ELb0ES3_jPKiPS6_PKS6_NS0_5tupleIJPiS6_EEENSE_IJSB_SB_EEENS0_18inequality_wrapperIN6hipcub16HIPCUB_304000_NS8EqualityEEEPlJS6_EEE10hipError_tPvRmT3_T4_T5_T6_T7_T9_mT8_P12ihipStream_tbDpT10_ENKUlT_T0_E_clISt17integral_constantIbLb0EES17_EEDaS12_S13_EUlS12_E_NS1_11comp_targetILNS1_3genE2ELNS1_11target_archE906ELNS1_3gpuE6ELNS1_3repE0EEENS1_30default_config_static_selectorELNS0_4arch9wavefront6targetE0EEEvT1_,comdat
.Lfunc_end182:
	.size	_ZN7rocprim17ROCPRIM_400000_NS6detail17trampoline_kernelINS0_14default_configENS1_25partition_config_selectorILNS1_17partition_subalgoE8EiNS0_10empty_typeEbEEZZNS1_14partition_implILS5_8ELb0ES3_jPKiPS6_PKS6_NS0_5tupleIJPiS6_EEENSE_IJSB_SB_EEENS0_18inequality_wrapperIN6hipcub16HIPCUB_304000_NS8EqualityEEEPlJS6_EEE10hipError_tPvRmT3_T4_T5_T6_T7_T9_mT8_P12ihipStream_tbDpT10_ENKUlT_T0_E_clISt17integral_constantIbLb0EES17_EEDaS12_S13_EUlS12_E_NS1_11comp_targetILNS1_3genE2ELNS1_11target_archE906ELNS1_3gpuE6ELNS1_3repE0EEENS1_30default_config_static_selectorELNS0_4arch9wavefront6targetE0EEEvT1_, .Lfunc_end182-_ZN7rocprim17ROCPRIM_400000_NS6detail17trampoline_kernelINS0_14default_configENS1_25partition_config_selectorILNS1_17partition_subalgoE8EiNS0_10empty_typeEbEEZZNS1_14partition_implILS5_8ELb0ES3_jPKiPS6_PKS6_NS0_5tupleIJPiS6_EEENSE_IJSB_SB_EEENS0_18inequality_wrapperIN6hipcub16HIPCUB_304000_NS8EqualityEEEPlJS6_EEE10hipError_tPvRmT3_T4_T5_T6_T7_T9_mT8_P12ihipStream_tbDpT10_ENKUlT_T0_E_clISt17integral_constantIbLb0EES17_EEDaS12_S13_EUlS12_E_NS1_11comp_targetILNS1_3genE2ELNS1_11target_archE906ELNS1_3gpuE6ELNS1_3repE0EEENS1_30default_config_static_selectorELNS0_4arch9wavefront6targetE0EEEvT1_
                                        ; -- End function
	.set _ZN7rocprim17ROCPRIM_400000_NS6detail17trampoline_kernelINS0_14default_configENS1_25partition_config_selectorILNS1_17partition_subalgoE8EiNS0_10empty_typeEbEEZZNS1_14partition_implILS5_8ELb0ES3_jPKiPS6_PKS6_NS0_5tupleIJPiS6_EEENSE_IJSB_SB_EEENS0_18inequality_wrapperIN6hipcub16HIPCUB_304000_NS8EqualityEEEPlJS6_EEE10hipError_tPvRmT3_T4_T5_T6_T7_T9_mT8_P12ihipStream_tbDpT10_ENKUlT_T0_E_clISt17integral_constantIbLb0EES17_EEDaS12_S13_EUlS12_E_NS1_11comp_targetILNS1_3genE2ELNS1_11target_archE906ELNS1_3gpuE6ELNS1_3repE0EEENS1_30default_config_static_selectorELNS0_4arch9wavefront6targetE0EEEvT1_.num_vgpr, 0
	.set _ZN7rocprim17ROCPRIM_400000_NS6detail17trampoline_kernelINS0_14default_configENS1_25partition_config_selectorILNS1_17partition_subalgoE8EiNS0_10empty_typeEbEEZZNS1_14partition_implILS5_8ELb0ES3_jPKiPS6_PKS6_NS0_5tupleIJPiS6_EEENSE_IJSB_SB_EEENS0_18inequality_wrapperIN6hipcub16HIPCUB_304000_NS8EqualityEEEPlJS6_EEE10hipError_tPvRmT3_T4_T5_T6_T7_T9_mT8_P12ihipStream_tbDpT10_ENKUlT_T0_E_clISt17integral_constantIbLb0EES17_EEDaS12_S13_EUlS12_E_NS1_11comp_targetILNS1_3genE2ELNS1_11target_archE906ELNS1_3gpuE6ELNS1_3repE0EEENS1_30default_config_static_selectorELNS0_4arch9wavefront6targetE0EEEvT1_.num_agpr, 0
	.set _ZN7rocprim17ROCPRIM_400000_NS6detail17trampoline_kernelINS0_14default_configENS1_25partition_config_selectorILNS1_17partition_subalgoE8EiNS0_10empty_typeEbEEZZNS1_14partition_implILS5_8ELb0ES3_jPKiPS6_PKS6_NS0_5tupleIJPiS6_EEENSE_IJSB_SB_EEENS0_18inequality_wrapperIN6hipcub16HIPCUB_304000_NS8EqualityEEEPlJS6_EEE10hipError_tPvRmT3_T4_T5_T6_T7_T9_mT8_P12ihipStream_tbDpT10_ENKUlT_T0_E_clISt17integral_constantIbLb0EES17_EEDaS12_S13_EUlS12_E_NS1_11comp_targetILNS1_3genE2ELNS1_11target_archE906ELNS1_3gpuE6ELNS1_3repE0EEENS1_30default_config_static_selectorELNS0_4arch9wavefront6targetE0EEEvT1_.numbered_sgpr, 0
	.set _ZN7rocprim17ROCPRIM_400000_NS6detail17trampoline_kernelINS0_14default_configENS1_25partition_config_selectorILNS1_17partition_subalgoE8EiNS0_10empty_typeEbEEZZNS1_14partition_implILS5_8ELb0ES3_jPKiPS6_PKS6_NS0_5tupleIJPiS6_EEENSE_IJSB_SB_EEENS0_18inequality_wrapperIN6hipcub16HIPCUB_304000_NS8EqualityEEEPlJS6_EEE10hipError_tPvRmT3_T4_T5_T6_T7_T9_mT8_P12ihipStream_tbDpT10_ENKUlT_T0_E_clISt17integral_constantIbLb0EES17_EEDaS12_S13_EUlS12_E_NS1_11comp_targetILNS1_3genE2ELNS1_11target_archE906ELNS1_3gpuE6ELNS1_3repE0EEENS1_30default_config_static_selectorELNS0_4arch9wavefront6targetE0EEEvT1_.num_named_barrier, 0
	.set _ZN7rocprim17ROCPRIM_400000_NS6detail17trampoline_kernelINS0_14default_configENS1_25partition_config_selectorILNS1_17partition_subalgoE8EiNS0_10empty_typeEbEEZZNS1_14partition_implILS5_8ELb0ES3_jPKiPS6_PKS6_NS0_5tupleIJPiS6_EEENSE_IJSB_SB_EEENS0_18inequality_wrapperIN6hipcub16HIPCUB_304000_NS8EqualityEEEPlJS6_EEE10hipError_tPvRmT3_T4_T5_T6_T7_T9_mT8_P12ihipStream_tbDpT10_ENKUlT_T0_E_clISt17integral_constantIbLb0EES17_EEDaS12_S13_EUlS12_E_NS1_11comp_targetILNS1_3genE2ELNS1_11target_archE906ELNS1_3gpuE6ELNS1_3repE0EEENS1_30default_config_static_selectorELNS0_4arch9wavefront6targetE0EEEvT1_.private_seg_size, 0
	.set _ZN7rocprim17ROCPRIM_400000_NS6detail17trampoline_kernelINS0_14default_configENS1_25partition_config_selectorILNS1_17partition_subalgoE8EiNS0_10empty_typeEbEEZZNS1_14partition_implILS5_8ELb0ES3_jPKiPS6_PKS6_NS0_5tupleIJPiS6_EEENSE_IJSB_SB_EEENS0_18inequality_wrapperIN6hipcub16HIPCUB_304000_NS8EqualityEEEPlJS6_EEE10hipError_tPvRmT3_T4_T5_T6_T7_T9_mT8_P12ihipStream_tbDpT10_ENKUlT_T0_E_clISt17integral_constantIbLb0EES17_EEDaS12_S13_EUlS12_E_NS1_11comp_targetILNS1_3genE2ELNS1_11target_archE906ELNS1_3gpuE6ELNS1_3repE0EEENS1_30default_config_static_selectorELNS0_4arch9wavefront6targetE0EEEvT1_.uses_vcc, 0
	.set _ZN7rocprim17ROCPRIM_400000_NS6detail17trampoline_kernelINS0_14default_configENS1_25partition_config_selectorILNS1_17partition_subalgoE8EiNS0_10empty_typeEbEEZZNS1_14partition_implILS5_8ELb0ES3_jPKiPS6_PKS6_NS0_5tupleIJPiS6_EEENSE_IJSB_SB_EEENS0_18inequality_wrapperIN6hipcub16HIPCUB_304000_NS8EqualityEEEPlJS6_EEE10hipError_tPvRmT3_T4_T5_T6_T7_T9_mT8_P12ihipStream_tbDpT10_ENKUlT_T0_E_clISt17integral_constantIbLb0EES17_EEDaS12_S13_EUlS12_E_NS1_11comp_targetILNS1_3genE2ELNS1_11target_archE906ELNS1_3gpuE6ELNS1_3repE0EEENS1_30default_config_static_selectorELNS0_4arch9wavefront6targetE0EEEvT1_.uses_flat_scratch, 0
	.set _ZN7rocprim17ROCPRIM_400000_NS6detail17trampoline_kernelINS0_14default_configENS1_25partition_config_selectorILNS1_17partition_subalgoE8EiNS0_10empty_typeEbEEZZNS1_14partition_implILS5_8ELb0ES3_jPKiPS6_PKS6_NS0_5tupleIJPiS6_EEENSE_IJSB_SB_EEENS0_18inequality_wrapperIN6hipcub16HIPCUB_304000_NS8EqualityEEEPlJS6_EEE10hipError_tPvRmT3_T4_T5_T6_T7_T9_mT8_P12ihipStream_tbDpT10_ENKUlT_T0_E_clISt17integral_constantIbLb0EES17_EEDaS12_S13_EUlS12_E_NS1_11comp_targetILNS1_3genE2ELNS1_11target_archE906ELNS1_3gpuE6ELNS1_3repE0EEENS1_30default_config_static_selectorELNS0_4arch9wavefront6targetE0EEEvT1_.has_dyn_sized_stack, 0
	.set _ZN7rocprim17ROCPRIM_400000_NS6detail17trampoline_kernelINS0_14default_configENS1_25partition_config_selectorILNS1_17partition_subalgoE8EiNS0_10empty_typeEbEEZZNS1_14partition_implILS5_8ELb0ES3_jPKiPS6_PKS6_NS0_5tupleIJPiS6_EEENSE_IJSB_SB_EEENS0_18inequality_wrapperIN6hipcub16HIPCUB_304000_NS8EqualityEEEPlJS6_EEE10hipError_tPvRmT3_T4_T5_T6_T7_T9_mT8_P12ihipStream_tbDpT10_ENKUlT_T0_E_clISt17integral_constantIbLb0EES17_EEDaS12_S13_EUlS12_E_NS1_11comp_targetILNS1_3genE2ELNS1_11target_archE906ELNS1_3gpuE6ELNS1_3repE0EEENS1_30default_config_static_selectorELNS0_4arch9wavefront6targetE0EEEvT1_.has_recursion, 0
	.set _ZN7rocprim17ROCPRIM_400000_NS6detail17trampoline_kernelINS0_14default_configENS1_25partition_config_selectorILNS1_17partition_subalgoE8EiNS0_10empty_typeEbEEZZNS1_14partition_implILS5_8ELb0ES3_jPKiPS6_PKS6_NS0_5tupleIJPiS6_EEENSE_IJSB_SB_EEENS0_18inequality_wrapperIN6hipcub16HIPCUB_304000_NS8EqualityEEEPlJS6_EEE10hipError_tPvRmT3_T4_T5_T6_T7_T9_mT8_P12ihipStream_tbDpT10_ENKUlT_T0_E_clISt17integral_constantIbLb0EES17_EEDaS12_S13_EUlS12_E_NS1_11comp_targetILNS1_3genE2ELNS1_11target_archE906ELNS1_3gpuE6ELNS1_3repE0EEENS1_30default_config_static_selectorELNS0_4arch9wavefront6targetE0EEEvT1_.has_indirect_call, 0
	.section	.AMDGPU.csdata,"",@progbits
; Kernel info:
; codeLenInByte = 0
; TotalNumSgprs: 0
; NumVgprs: 0
; ScratchSize: 0
; MemoryBound: 0
; FloatMode: 240
; IeeeMode: 1
; LDSByteSize: 0 bytes/workgroup (compile time only)
; SGPRBlocks: 0
; VGPRBlocks: 0
; NumSGPRsForWavesPerEU: 1
; NumVGPRsForWavesPerEU: 1
; Occupancy: 16
; WaveLimiterHint : 0
; COMPUTE_PGM_RSRC2:SCRATCH_EN: 0
; COMPUTE_PGM_RSRC2:USER_SGPR: 6
; COMPUTE_PGM_RSRC2:TRAP_HANDLER: 0
; COMPUTE_PGM_RSRC2:TGID_X_EN: 1
; COMPUTE_PGM_RSRC2:TGID_Y_EN: 0
; COMPUTE_PGM_RSRC2:TGID_Z_EN: 0
; COMPUTE_PGM_RSRC2:TIDIG_COMP_CNT: 0
	.section	.text._ZN7rocprim17ROCPRIM_400000_NS6detail17trampoline_kernelINS0_14default_configENS1_25partition_config_selectorILNS1_17partition_subalgoE8EiNS0_10empty_typeEbEEZZNS1_14partition_implILS5_8ELb0ES3_jPKiPS6_PKS6_NS0_5tupleIJPiS6_EEENSE_IJSB_SB_EEENS0_18inequality_wrapperIN6hipcub16HIPCUB_304000_NS8EqualityEEEPlJS6_EEE10hipError_tPvRmT3_T4_T5_T6_T7_T9_mT8_P12ihipStream_tbDpT10_ENKUlT_T0_E_clISt17integral_constantIbLb0EES17_EEDaS12_S13_EUlS12_E_NS1_11comp_targetILNS1_3genE10ELNS1_11target_archE1200ELNS1_3gpuE4ELNS1_3repE0EEENS1_30default_config_static_selectorELNS0_4arch9wavefront6targetE0EEEvT1_,"axG",@progbits,_ZN7rocprim17ROCPRIM_400000_NS6detail17trampoline_kernelINS0_14default_configENS1_25partition_config_selectorILNS1_17partition_subalgoE8EiNS0_10empty_typeEbEEZZNS1_14partition_implILS5_8ELb0ES3_jPKiPS6_PKS6_NS0_5tupleIJPiS6_EEENSE_IJSB_SB_EEENS0_18inequality_wrapperIN6hipcub16HIPCUB_304000_NS8EqualityEEEPlJS6_EEE10hipError_tPvRmT3_T4_T5_T6_T7_T9_mT8_P12ihipStream_tbDpT10_ENKUlT_T0_E_clISt17integral_constantIbLb0EES17_EEDaS12_S13_EUlS12_E_NS1_11comp_targetILNS1_3genE10ELNS1_11target_archE1200ELNS1_3gpuE4ELNS1_3repE0EEENS1_30default_config_static_selectorELNS0_4arch9wavefront6targetE0EEEvT1_,comdat
	.protected	_ZN7rocprim17ROCPRIM_400000_NS6detail17trampoline_kernelINS0_14default_configENS1_25partition_config_selectorILNS1_17partition_subalgoE8EiNS0_10empty_typeEbEEZZNS1_14partition_implILS5_8ELb0ES3_jPKiPS6_PKS6_NS0_5tupleIJPiS6_EEENSE_IJSB_SB_EEENS0_18inequality_wrapperIN6hipcub16HIPCUB_304000_NS8EqualityEEEPlJS6_EEE10hipError_tPvRmT3_T4_T5_T6_T7_T9_mT8_P12ihipStream_tbDpT10_ENKUlT_T0_E_clISt17integral_constantIbLb0EES17_EEDaS12_S13_EUlS12_E_NS1_11comp_targetILNS1_3genE10ELNS1_11target_archE1200ELNS1_3gpuE4ELNS1_3repE0EEENS1_30default_config_static_selectorELNS0_4arch9wavefront6targetE0EEEvT1_ ; -- Begin function _ZN7rocprim17ROCPRIM_400000_NS6detail17trampoline_kernelINS0_14default_configENS1_25partition_config_selectorILNS1_17partition_subalgoE8EiNS0_10empty_typeEbEEZZNS1_14partition_implILS5_8ELb0ES3_jPKiPS6_PKS6_NS0_5tupleIJPiS6_EEENSE_IJSB_SB_EEENS0_18inequality_wrapperIN6hipcub16HIPCUB_304000_NS8EqualityEEEPlJS6_EEE10hipError_tPvRmT3_T4_T5_T6_T7_T9_mT8_P12ihipStream_tbDpT10_ENKUlT_T0_E_clISt17integral_constantIbLb0EES17_EEDaS12_S13_EUlS12_E_NS1_11comp_targetILNS1_3genE10ELNS1_11target_archE1200ELNS1_3gpuE4ELNS1_3repE0EEENS1_30default_config_static_selectorELNS0_4arch9wavefront6targetE0EEEvT1_
	.globl	_ZN7rocprim17ROCPRIM_400000_NS6detail17trampoline_kernelINS0_14default_configENS1_25partition_config_selectorILNS1_17partition_subalgoE8EiNS0_10empty_typeEbEEZZNS1_14partition_implILS5_8ELb0ES3_jPKiPS6_PKS6_NS0_5tupleIJPiS6_EEENSE_IJSB_SB_EEENS0_18inequality_wrapperIN6hipcub16HIPCUB_304000_NS8EqualityEEEPlJS6_EEE10hipError_tPvRmT3_T4_T5_T6_T7_T9_mT8_P12ihipStream_tbDpT10_ENKUlT_T0_E_clISt17integral_constantIbLb0EES17_EEDaS12_S13_EUlS12_E_NS1_11comp_targetILNS1_3genE10ELNS1_11target_archE1200ELNS1_3gpuE4ELNS1_3repE0EEENS1_30default_config_static_selectorELNS0_4arch9wavefront6targetE0EEEvT1_
	.p2align	8
	.type	_ZN7rocprim17ROCPRIM_400000_NS6detail17trampoline_kernelINS0_14default_configENS1_25partition_config_selectorILNS1_17partition_subalgoE8EiNS0_10empty_typeEbEEZZNS1_14partition_implILS5_8ELb0ES3_jPKiPS6_PKS6_NS0_5tupleIJPiS6_EEENSE_IJSB_SB_EEENS0_18inequality_wrapperIN6hipcub16HIPCUB_304000_NS8EqualityEEEPlJS6_EEE10hipError_tPvRmT3_T4_T5_T6_T7_T9_mT8_P12ihipStream_tbDpT10_ENKUlT_T0_E_clISt17integral_constantIbLb0EES17_EEDaS12_S13_EUlS12_E_NS1_11comp_targetILNS1_3genE10ELNS1_11target_archE1200ELNS1_3gpuE4ELNS1_3repE0EEENS1_30default_config_static_selectorELNS0_4arch9wavefront6targetE0EEEvT1_,@function
_ZN7rocprim17ROCPRIM_400000_NS6detail17trampoline_kernelINS0_14default_configENS1_25partition_config_selectorILNS1_17partition_subalgoE8EiNS0_10empty_typeEbEEZZNS1_14partition_implILS5_8ELb0ES3_jPKiPS6_PKS6_NS0_5tupleIJPiS6_EEENSE_IJSB_SB_EEENS0_18inequality_wrapperIN6hipcub16HIPCUB_304000_NS8EqualityEEEPlJS6_EEE10hipError_tPvRmT3_T4_T5_T6_T7_T9_mT8_P12ihipStream_tbDpT10_ENKUlT_T0_E_clISt17integral_constantIbLb0EES17_EEDaS12_S13_EUlS12_E_NS1_11comp_targetILNS1_3genE10ELNS1_11target_archE1200ELNS1_3gpuE4ELNS1_3repE0EEENS1_30default_config_static_selectorELNS0_4arch9wavefront6targetE0EEEvT1_: ; @_ZN7rocprim17ROCPRIM_400000_NS6detail17trampoline_kernelINS0_14default_configENS1_25partition_config_selectorILNS1_17partition_subalgoE8EiNS0_10empty_typeEbEEZZNS1_14partition_implILS5_8ELb0ES3_jPKiPS6_PKS6_NS0_5tupleIJPiS6_EEENSE_IJSB_SB_EEENS0_18inequality_wrapperIN6hipcub16HIPCUB_304000_NS8EqualityEEEPlJS6_EEE10hipError_tPvRmT3_T4_T5_T6_T7_T9_mT8_P12ihipStream_tbDpT10_ENKUlT_T0_E_clISt17integral_constantIbLb0EES17_EEDaS12_S13_EUlS12_E_NS1_11comp_targetILNS1_3genE10ELNS1_11target_archE1200ELNS1_3gpuE4ELNS1_3repE0EEENS1_30default_config_static_selectorELNS0_4arch9wavefront6targetE0EEEvT1_
; %bb.0:
	.section	.rodata,"a",@progbits
	.p2align	6, 0x0
	.amdhsa_kernel _ZN7rocprim17ROCPRIM_400000_NS6detail17trampoline_kernelINS0_14default_configENS1_25partition_config_selectorILNS1_17partition_subalgoE8EiNS0_10empty_typeEbEEZZNS1_14partition_implILS5_8ELb0ES3_jPKiPS6_PKS6_NS0_5tupleIJPiS6_EEENSE_IJSB_SB_EEENS0_18inequality_wrapperIN6hipcub16HIPCUB_304000_NS8EqualityEEEPlJS6_EEE10hipError_tPvRmT3_T4_T5_T6_T7_T9_mT8_P12ihipStream_tbDpT10_ENKUlT_T0_E_clISt17integral_constantIbLb0EES17_EEDaS12_S13_EUlS12_E_NS1_11comp_targetILNS1_3genE10ELNS1_11target_archE1200ELNS1_3gpuE4ELNS1_3repE0EEENS1_30default_config_static_selectorELNS0_4arch9wavefront6targetE0EEEvT1_
		.amdhsa_group_segment_fixed_size 0
		.amdhsa_private_segment_fixed_size 0
		.amdhsa_kernarg_size 112
		.amdhsa_user_sgpr_count 6
		.amdhsa_user_sgpr_private_segment_buffer 1
		.amdhsa_user_sgpr_dispatch_ptr 0
		.amdhsa_user_sgpr_queue_ptr 0
		.amdhsa_user_sgpr_kernarg_segment_ptr 1
		.amdhsa_user_sgpr_dispatch_id 0
		.amdhsa_user_sgpr_flat_scratch_init 0
		.amdhsa_user_sgpr_private_segment_size 0
		.amdhsa_wavefront_size32 1
		.amdhsa_uses_dynamic_stack 0
		.amdhsa_system_sgpr_private_segment_wavefront_offset 0
		.amdhsa_system_sgpr_workgroup_id_x 1
		.amdhsa_system_sgpr_workgroup_id_y 0
		.amdhsa_system_sgpr_workgroup_id_z 0
		.amdhsa_system_sgpr_workgroup_info 0
		.amdhsa_system_vgpr_workitem_id 0
		.amdhsa_next_free_vgpr 1
		.amdhsa_next_free_sgpr 1
		.amdhsa_reserve_vcc 0
		.amdhsa_reserve_flat_scratch 0
		.amdhsa_float_round_mode_32 0
		.amdhsa_float_round_mode_16_64 0
		.amdhsa_float_denorm_mode_32 3
		.amdhsa_float_denorm_mode_16_64 3
		.amdhsa_dx10_clamp 1
		.amdhsa_ieee_mode 1
		.amdhsa_fp16_overflow 0
		.amdhsa_workgroup_processor_mode 1
		.amdhsa_memory_ordered 1
		.amdhsa_forward_progress 1
		.amdhsa_shared_vgpr_count 0
		.amdhsa_exception_fp_ieee_invalid_op 0
		.amdhsa_exception_fp_denorm_src 0
		.amdhsa_exception_fp_ieee_div_zero 0
		.amdhsa_exception_fp_ieee_overflow 0
		.amdhsa_exception_fp_ieee_underflow 0
		.amdhsa_exception_fp_ieee_inexact 0
		.amdhsa_exception_int_div_zero 0
	.end_amdhsa_kernel
	.section	.text._ZN7rocprim17ROCPRIM_400000_NS6detail17trampoline_kernelINS0_14default_configENS1_25partition_config_selectorILNS1_17partition_subalgoE8EiNS0_10empty_typeEbEEZZNS1_14partition_implILS5_8ELb0ES3_jPKiPS6_PKS6_NS0_5tupleIJPiS6_EEENSE_IJSB_SB_EEENS0_18inequality_wrapperIN6hipcub16HIPCUB_304000_NS8EqualityEEEPlJS6_EEE10hipError_tPvRmT3_T4_T5_T6_T7_T9_mT8_P12ihipStream_tbDpT10_ENKUlT_T0_E_clISt17integral_constantIbLb0EES17_EEDaS12_S13_EUlS12_E_NS1_11comp_targetILNS1_3genE10ELNS1_11target_archE1200ELNS1_3gpuE4ELNS1_3repE0EEENS1_30default_config_static_selectorELNS0_4arch9wavefront6targetE0EEEvT1_,"axG",@progbits,_ZN7rocprim17ROCPRIM_400000_NS6detail17trampoline_kernelINS0_14default_configENS1_25partition_config_selectorILNS1_17partition_subalgoE8EiNS0_10empty_typeEbEEZZNS1_14partition_implILS5_8ELb0ES3_jPKiPS6_PKS6_NS0_5tupleIJPiS6_EEENSE_IJSB_SB_EEENS0_18inequality_wrapperIN6hipcub16HIPCUB_304000_NS8EqualityEEEPlJS6_EEE10hipError_tPvRmT3_T4_T5_T6_T7_T9_mT8_P12ihipStream_tbDpT10_ENKUlT_T0_E_clISt17integral_constantIbLb0EES17_EEDaS12_S13_EUlS12_E_NS1_11comp_targetILNS1_3genE10ELNS1_11target_archE1200ELNS1_3gpuE4ELNS1_3repE0EEENS1_30default_config_static_selectorELNS0_4arch9wavefront6targetE0EEEvT1_,comdat
.Lfunc_end183:
	.size	_ZN7rocprim17ROCPRIM_400000_NS6detail17trampoline_kernelINS0_14default_configENS1_25partition_config_selectorILNS1_17partition_subalgoE8EiNS0_10empty_typeEbEEZZNS1_14partition_implILS5_8ELb0ES3_jPKiPS6_PKS6_NS0_5tupleIJPiS6_EEENSE_IJSB_SB_EEENS0_18inequality_wrapperIN6hipcub16HIPCUB_304000_NS8EqualityEEEPlJS6_EEE10hipError_tPvRmT3_T4_T5_T6_T7_T9_mT8_P12ihipStream_tbDpT10_ENKUlT_T0_E_clISt17integral_constantIbLb0EES17_EEDaS12_S13_EUlS12_E_NS1_11comp_targetILNS1_3genE10ELNS1_11target_archE1200ELNS1_3gpuE4ELNS1_3repE0EEENS1_30default_config_static_selectorELNS0_4arch9wavefront6targetE0EEEvT1_, .Lfunc_end183-_ZN7rocprim17ROCPRIM_400000_NS6detail17trampoline_kernelINS0_14default_configENS1_25partition_config_selectorILNS1_17partition_subalgoE8EiNS0_10empty_typeEbEEZZNS1_14partition_implILS5_8ELb0ES3_jPKiPS6_PKS6_NS0_5tupleIJPiS6_EEENSE_IJSB_SB_EEENS0_18inequality_wrapperIN6hipcub16HIPCUB_304000_NS8EqualityEEEPlJS6_EEE10hipError_tPvRmT3_T4_T5_T6_T7_T9_mT8_P12ihipStream_tbDpT10_ENKUlT_T0_E_clISt17integral_constantIbLb0EES17_EEDaS12_S13_EUlS12_E_NS1_11comp_targetILNS1_3genE10ELNS1_11target_archE1200ELNS1_3gpuE4ELNS1_3repE0EEENS1_30default_config_static_selectorELNS0_4arch9wavefront6targetE0EEEvT1_
                                        ; -- End function
	.set _ZN7rocprim17ROCPRIM_400000_NS6detail17trampoline_kernelINS0_14default_configENS1_25partition_config_selectorILNS1_17partition_subalgoE8EiNS0_10empty_typeEbEEZZNS1_14partition_implILS5_8ELb0ES3_jPKiPS6_PKS6_NS0_5tupleIJPiS6_EEENSE_IJSB_SB_EEENS0_18inequality_wrapperIN6hipcub16HIPCUB_304000_NS8EqualityEEEPlJS6_EEE10hipError_tPvRmT3_T4_T5_T6_T7_T9_mT8_P12ihipStream_tbDpT10_ENKUlT_T0_E_clISt17integral_constantIbLb0EES17_EEDaS12_S13_EUlS12_E_NS1_11comp_targetILNS1_3genE10ELNS1_11target_archE1200ELNS1_3gpuE4ELNS1_3repE0EEENS1_30default_config_static_selectorELNS0_4arch9wavefront6targetE0EEEvT1_.num_vgpr, 0
	.set _ZN7rocprim17ROCPRIM_400000_NS6detail17trampoline_kernelINS0_14default_configENS1_25partition_config_selectorILNS1_17partition_subalgoE8EiNS0_10empty_typeEbEEZZNS1_14partition_implILS5_8ELb0ES3_jPKiPS6_PKS6_NS0_5tupleIJPiS6_EEENSE_IJSB_SB_EEENS0_18inequality_wrapperIN6hipcub16HIPCUB_304000_NS8EqualityEEEPlJS6_EEE10hipError_tPvRmT3_T4_T5_T6_T7_T9_mT8_P12ihipStream_tbDpT10_ENKUlT_T0_E_clISt17integral_constantIbLb0EES17_EEDaS12_S13_EUlS12_E_NS1_11comp_targetILNS1_3genE10ELNS1_11target_archE1200ELNS1_3gpuE4ELNS1_3repE0EEENS1_30default_config_static_selectorELNS0_4arch9wavefront6targetE0EEEvT1_.num_agpr, 0
	.set _ZN7rocprim17ROCPRIM_400000_NS6detail17trampoline_kernelINS0_14default_configENS1_25partition_config_selectorILNS1_17partition_subalgoE8EiNS0_10empty_typeEbEEZZNS1_14partition_implILS5_8ELb0ES3_jPKiPS6_PKS6_NS0_5tupleIJPiS6_EEENSE_IJSB_SB_EEENS0_18inequality_wrapperIN6hipcub16HIPCUB_304000_NS8EqualityEEEPlJS6_EEE10hipError_tPvRmT3_T4_T5_T6_T7_T9_mT8_P12ihipStream_tbDpT10_ENKUlT_T0_E_clISt17integral_constantIbLb0EES17_EEDaS12_S13_EUlS12_E_NS1_11comp_targetILNS1_3genE10ELNS1_11target_archE1200ELNS1_3gpuE4ELNS1_3repE0EEENS1_30default_config_static_selectorELNS0_4arch9wavefront6targetE0EEEvT1_.numbered_sgpr, 0
	.set _ZN7rocprim17ROCPRIM_400000_NS6detail17trampoline_kernelINS0_14default_configENS1_25partition_config_selectorILNS1_17partition_subalgoE8EiNS0_10empty_typeEbEEZZNS1_14partition_implILS5_8ELb0ES3_jPKiPS6_PKS6_NS0_5tupleIJPiS6_EEENSE_IJSB_SB_EEENS0_18inequality_wrapperIN6hipcub16HIPCUB_304000_NS8EqualityEEEPlJS6_EEE10hipError_tPvRmT3_T4_T5_T6_T7_T9_mT8_P12ihipStream_tbDpT10_ENKUlT_T0_E_clISt17integral_constantIbLb0EES17_EEDaS12_S13_EUlS12_E_NS1_11comp_targetILNS1_3genE10ELNS1_11target_archE1200ELNS1_3gpuE4ELNS1_3repE0EEENS1_30default_config_static_selectorELNS0_4arch9wavefront6targetE0EEEvT1_.num_named_barrier, 0
	.set _ZN7rocprim17ROCPRIM_400000_NS6detail17trampoline_kernelINS0_14default_configENS1_25partition_config_selectorILNS1_17partition_subalgoE8EiNS0_10empty_typeEbEEZZNS1_14partition_implILS5_8ELb0ES3_jPKiPS6_PKS6_NS0_5tupleIJPiS6_EEENSE_IJSB_SB_EEENS0_18inequality_wrapperIN6hipcub16HIPCUB_304000_NS8EqualityEEEPlJS6_EEE10hipError_tPvRmT3_T4_T5_T6_T7_T9_mT8_P12ihipStream_tbDpT10_ENKUlT_T0_E_clISt17integral_constantIbLb0EES17_EEDaS12_S13_EUlS12_E_NS1_11comp_targetILNS1_3genE10ELNS1_11target_archE1200ELNS1_3gpuE4ELNS1_3repE0EEENS1_30default_config_static_selectorELNS0_4arch9wavefront6targetE0EEEvT1_.private_seg_size, 0
	.set _ZN7rocprim17ROCPRIM_400000_NS6detail17trampoline_kernelINS0_14default_configENS1_25partition_config_selectorILNS1_17partition_subalgoE8EiNS0_10empty_typeEbEEZZNS1_14partition_implILS5_8ELb0ES3_jPKiPS6_PKS6_NS0_5tupleIJPiS6_EEENSE_IJSB_SB_EEENS0_18inequality_wrapperIN6hipcub16HIPCUB_304000_NS8EqualityEEEPlJS6_EEE10hipError_tPvRmT3_T4_T5_T6_T7_T9_mT8_P12ihipStream_tbDpT10_ENKUlT_T0_E_clISt17integral_constantIbLb0EES17_EEDaS12_S13_EUlS12_E_NS1_11comp_targetILNS1_3genE10ELNS1_11target_archE1200ELNS1_3gpuE4ELNS1_3repE0EEENS1_30default_config_static_selectorELNS0_4arch9wavefront6targetE0EEEvT1_.uses_vcc, 0
	.set _ZN7rocprim17ROCPRIM_400000_NS6detail17trampoline_kernelINS0_14default_configENS1_25partition_config_selectorILNS1_17partition_subalgoE8EiNS0_10empty_typeEbEEZZNS1_14partition_implILS5_8ELb0ES3_jPKiPS6_PKS6_NS0_5tupleIJPiS6_EEENSE_IJSB_SB_EEENS0_18inequality_wrapperIN6hipcub16HIPCUB_304000_NS8EqualityEEEPlJS6_EEE10hipError_tPvRmT3_T4_T5_T6_T7_T9_mT8_P12ihipStream_tbDpT10_ENKUlT_T0_E_clISt17integral_constantIbLb0EES17_EEDaS12_S13_EUlS12_E_NS1_11comp_targetILNS1_3genE10ELNS1_11target_archE1200ELNS1_3gpuE4ELNS1_3repE0EEENS1_30default_config_static_selectorELNS0_4arch9wavefront6targetE0EEEvT1_.uses_flat_scratch, 0
	.set _ZN7rocprim17ROCPRIM_400000_NS6detail17trampoline_kernelINS0_14default_configENS1_25partition_config_selectorILNS1_17partition_subalgoE8EiNS0_10empty_typeEbEEZZNS1_14partition_implILS5_8ELb0ES3_jPKiPS6_PKS6_NS0_5tupleIJPiS6_EEENSE_IJSB_SB_EEENS0_18inequality_wrapperIN6hipcub16HIPCUB_304000_NS8EqualityEEEPlJS6_EEE10hipError_tPvRmT3_T4_T5_T6_T7_T9_mT8_P12ihipStream_tbDpT10_ENKUlT_T0_E_clISt17integral_constantIbLb0EES17_EEDaS12_S13_EUlS12_E_NS1_11comp_targetILNS1_3genE10ELNS1_11target_archE1200ELNS1_3gpuE4ELNS1_3repE0EEENS1_30default_config_static_selectorELNS0_4arch9wavefront6targetE0EEEvT1_.has_dyn_sized_stack, 0
	.set _ZN7rocprim17ROCPRIM_400000_NS6detail17trampoline_kernelINS0_14default_configENS1_25partition_config_selectorILNS1_17partition_subalgoE8EiNS0_10empty_typeEbEEZZNS1_14partition_implILS5_8ELb0ES3_jPKiPS6_PKS6_NS0_5tupleIJPiS6_EEENSE_IJSB_SB_EEENS0_18inequality_wrapperIN6hipcub16HIPCUB_304000_NS8EqualityEEEPlJS6_EEE10hipError_tPvRmT3_T4_T5_T6_T7_T9_mT8_P12ihipStream_tbDpT10_ENKUlT_T0_E_clISt17integral_constantIbLb0EES17_EEDaS12_S13_EUlS12_E_NS1_11comp_targetILNS1_3genE10ELNS1_11target_archE1200ELNS1_3gpuE4ELNS1_3repE0EEENS1_30default_config_static_selectorELNS0_4arch9wavefront6targetE0EEEvT1_.has_recursion, 0
	.set _ZN7rocprim17ROCPRIM_400000_NS6detail17trampoline_kernelINS0_14default_configENS1_25partition_config_selectorILNS1_17partition_subalgoE8EiNS0_10empty_typeEbEEZZNS1_14partition_implILS5_8ELb0ES3_jPKiPS6_PKS6_NS0_5tupleIJPiS6_EEENSE_IJSB_SB_EEENS0_18inequality_wrapperIN6hipcub16HIPCUB_304000_NS8EqualityEEEPlJS6_EEE10hipError_tPvRmT3_T4_T5_T6_T7_T9_mT8_P12ihipStream_tbDpT10_ENKUlT_T0_E_clISt17integral_constantIbLb0EES17_EEDaS12_S13_EUlS12_E_NS1_11comp_targetILNS1_3genE10ELNS1_11target_archE1200ELNS1_3gpuE4ELNS1_3repE0EEENS1_30default_config_static_selectorELNS0_4arch9wavefront6targetE0EEEvT1_.has_indirect_call, 0
	.section	.AMDGPU.csdata,"",@progbits
; Kernel info:
; codeLenInByte = 0
; TotalNumSgprs: 0
; NumVgprs: 0
; ScratchSize: 0
; MemoryBound: 0
; FloatMode: 240
; IeeeMode: 1
; LDSByteSize: 0 bytes/workgroup (compile time only)
; SGPRBlocks: 0
; VGPRBlocks: 0
; NumSGPRsForWavesPerEU: 1
; NumVGPRsForWavesPerEU: 1
; Occupancy: 16
; WaveLimiterHint : 0
; COMPUTE_PGM_RSRC2:SCRATCH_EN: 0
; COMPUTE_PGM_RSRC2:USER_SGPR: 6
; COMPUTE_PGM_RSRC2:TRAP_HANDLER: 0
; COMPUTE_PGM_RSRC2:TGID_X_EN: 1
; COMPUTE_PGM_RSRC2:TGID_Y_EN: 0
; COMPUTE_PGM_RSRC2:TGID_Z_EN: 0
; COMPUTE_PGM_RSRC2:TIDIG_COMP_CNT: 0
	.section	.text._ZN7rocprim17ROCPRIM_400000_NS6detail17trampoline_kernelINS0_14default_configENS1_25partition_config_selectorILNS1_17partition_subalgoE8EiNS0_10empty_typeEbEEZZNS1_14partition_implILS5_8ELb0ES3_jPKiPS6_PKS6_NS0_5tupleIJPiS6_EEENSE_IJSB_SB_EEENS0_18inequality_wrapperIN6hipcub16HIPCUB_304000_NS8EqualityEEEPlJS6_EEE10hipError_tPvRmT3_T4_T5_T6_T7_T9_mT8_P12ihipStream_tbDpT10_ENKUlT_T0_E_clISt17integral_constantIbLb0EES17_EEDaS12_S13_EUlS12_E_NS1_11comp_targetILNS1_3genE9ELNS1_11target_archE1100ELNS1_3gpuE3ELNS1_3repE0EEENS1_30default_config_static_selectorELNS0_4arch9wavefront6targetE0EEEvT1_,"axG",@progbits,_ZN7rocprim17ROCPRIM_400000_NS6detail17trampoline_kernelINS0_14default_configENS1_25partition_config_selectorILNS1_17partition_subalgoE8EiNS0_10empty_typeEbEEZZNS1_14partition_implILS5_8ELb0ES3_jPKiPS6_PKS6_NS0_5tupleIJPiS6_EEENSE_IJSB_SB_EEENS0_18inequality_wrapperIN6hipcub16HIPCUB_304000_NS8EqualityEEEPlJS6_EEE10hipError_tPvRmT3_T4_T5_T6_T7_T9_mT8_P12ihipStream_tbDpT10_ENKUlT_T0_E_clISt17integral_constantIbLb0EES17_EEDaS12_S13_EUlS12_E_NS1_11comp_targetILNS1_3genE9ELNS1_11target_archE1100ELNS1_3gpuE3ELNS1_3repE0EEENS1_30default_config_static_selectorELNS0_4arch9wavefront6targetE0EEEvT1_,comdat
	.protected	_ZN7rocprim17ROCPRIM_400000_NS6detail17trampoline_kernelINS0_14default_configENS1_25partition_config_selectorILNS1_17partition_subalgoE8EiNS0_10empty_typeEbEEZZNS1_14partition_implILS5_8ELb0ES3_jPKiPS6_PKS6_NS0_5tupleIJPiS6_EEENSE_IJSB_SB_EEENS0_18inequality_wrapperIN6hipcub16HIPCUB_304000_NS8EqualityEEEPlJS6_EEE10hipError_tPvRmT3_T4_T5_T6_T7_T9_mT8_P12ihipStream_tbDpT10_ENKUlT_T0_E_clISt17integral_constantIbLb0EES17_EEDaS12_S13_EUlS12_E_NS1_11comp_targetILNS1_3genE9ELNS1_11target_archE1100ELNS1_3gpuE3ELNS1_3repE0EEENS1_30default_config_static_selectorELNS0_4arch9wavefront6targetE0EEEvT1_ ; -- Begin function _ZN7rocprim17ROCPRIM_400000_NS6detail17trampoline_kernelINS0_14default_configENS1_25partition_config_selectorILNS1_17partition_subalgoE8EiNS0_10empty_typeEbEEZZNS1_14partition_implILS5_8ELb0ES3_jPKiPS6_PKS6_NS0_5tupleIJPiS6_EEENSE_IJSB_SB_EEENS0_18inequality_wrapperIN6hipcub16HIPCUB_304000_NS8EqualityEEEPlJS6_EEE10hipError_tPvRmT3_T4_T5_T6_T7_T9_mT8_P12ihipStream_tbDpT10_ENKUlT_T0_E_clISt17integral_constantIbLb0EES17_EEDaS12_S13_EUlS12_E_NS1_11comp_targetILNS1_3genE9ELNS1_11target_archE1100ELNS1_3gpuE3ELNS1_3repE0EEENS1_30default_config_static_selectorELNS0_4arch9wavefront6targetE0EEEvT1_
	.globl	_ZN7rocprim17ROCPRIM_400000_NS6detail17trampoline_kernelINS0_14default_configENS1_25partition_config_selectorILNS1_17partition_subalgoE8EiNS0_10empty_typeEbEEZZNS1_14partition_implILS5_8ELb0ES3_jPKiPS6_PKS6_NS0_5tupleIJPiS6_EEENSE_IJSB_SB_EEENS0_18inequality_wrapperIN6hipcub16HIPCUB_304000_NS8EqualityEEEPlJS6_EEE10hipError_tPvRmT3_T4_T5_T6_T7_T9_mT8_P12ihipStream_tbDpT10_ENKUlT_T0_E_clISt17integral_constantIbLb0EES17_EEDaS12_S13_EUlS12_E_NS1_11comp_targetILNS1_3genE9ELNS1_11target_archE1100ELNS1_3gpuE3ELNS1_3repE0EEENS1_30default_config_static_selectorELNS0_4arch9wavefront6targetE0EEEvT1_
	.p2align	8
	.type	_ZN7rocprim17ROCPRIM_400000_NS6detail17trampoline_kernelINS0_14default_configENS1_25partition_config_selectorILNS1_17partition_subalgoE8EiNS0_10empty_typeEbEEZZNS1_14partition_implILS5_8ELb0ES3_jPKiPS6_PKS6_NS0_5tupleIJPiS6_EEENSE_IJSB_SB_EEENS0_18inequality_wrapperIN6hipcub16HIPCUB_304000_NS8EqualityEEEPlJS6_EEE10hipError_tPvRmT3_T4_T5_T6_T7_T9_mT8_P12ihipStream_tbDpT10_ENKUlT_T0_E_clISt17integral_constantIbLb0EES17_EEDaS12_S13_EUlS12_E_NS1_11comp_targetILNS1_3genE9ELNS1_11target_archE1100ELNS1_3gpuE3ELNS1_3repE0EEENS1_30default_config_static_selectorELNS0_4arch9wavefront6targetE0EEEvT1_,@function
_ZN7rocprim17ROCPRIM_400000_NS6detail17trampoline_kernelINS0_14default_configENS1_25partition_config_selectorILNS1_17partition_subalgoE8EiNS0_10empty_typeEbEEZZNS1_14partition_implILS5_8ELb0ES3_jPKiPS6_PKS6_NS0_5tupleIJPiS6_EEENSE_IJSB_SB_EEENS0_18inequality_wrapperIN6hipcub16HIPCUB_304000_NS8EqualityEEEPlJS6_EEE10hipError_tPvRmT3_T4_T5_T6_T7_T9_mT8_P12ihipStream_tbDpT10_ENKUlT_T0_E_clISt17integral_constantIbLb0EES17_EEDaS12_S13_EUlS12_E_NS1_11comp_targetILNS1_3genE9ELNS1_11target_archE1100ELNS1_3gpuE3ELNS1_3repE0EEENS1_30default_config_static_selectorELNS0_4arch9wavefront6targetE0EEEvT1_: ; @_ZN7rocprim17ROCPRIM_400000_NS6detail17trampoline_kernelINS0_14default_configENS1_25partition_config_selectorILNS1_17partition_subalgoE8EiNS0_10empty_typeEbEEZZNS1_14partition_implILS5_8ELb0ES3_jPKiPS6_PKS6_NS0_5tupleIJPiS6_EEENSE_IJSB_SB_EEENS0_18inequality_wrapperIN6hipcub16HIPCUB_304000_NS8EqualityEEEPlJS6_EEE10hipError_tPvRmT3_T4_T5_T6_T7_T9_mT8_P12ihipStream_tbDpT10_ENKUlT_T0_E_clISt17integral_constantIbLb0EES17_EEDaS12_S13_EUlS12_E_NS1_11comp_targetILNS1_3genE9ELNS1_11target_archE1100ELNS1_3gpuE3ELNS1_3repE0EEENS1_30default_config_static_selectorELNS0_4arch9wavefront6targetE0EEEvT1_
; %bb.0:
	.section	.rodata,"a",@progbits
	.p2align	6, 0x0
	.amdhsa_kernel _ZN7rocprim17ROCPRIM_400000_NS6detail17trampoline_kernelINS0_14default_configENS1_25partition_config_selectorILNS1_17partition_subalgoE8EiNS0_10empty_typeEbEEZZNS1_14partition_implILS5_8ELb0ES3_jPKiPS6_PKS6_NS0_5tupleIJPiS6_EEENSE_IJSB_SB_EEENS0_18inequality_wrapperIN6hipcub16HIPCUB_304000_NS8EqualityEEEPlJS6_EEE10hipError_tPvRmT3_T4_T5_T6_T7_T9_mT8_P12ihipStream_tbDpT10_ENKUlT_T0_E_clISt17integral_constantIbLb0EES17_EEDaS12_S13_EUlS12_E_NS1_11comp_targetILNS1_3genE9ELNS1_11target_archE1100ELNS1_3gpuE3ELNS1_3repE0EEENS1_30default_config_static_selectorELNS0_4arch9wavefront6targetE0EEEvT1_
		.amdhsa_group_segment_fixed_size 0
		.amdhsa_private_segment_fixed_size 0
		.amdhsa_kernarg_size 112
		.amdhsa_user_sgpr_count 6
		.amdhsa_user_sgpr_private_segment_buffer 1
		.amdhsa_user_sgpr_dispatch_ptr 0
		.amdhsa_user_sgpr_queue_ptr 0
		.amdhsa_user_sgpr_kernarg_segment_ptr 1
		.amdhsa_user_sgpr_dispatch_id 0
		.amdhsa_user_sgpr_flat_scratch_init 0
		.amdhsa_user_sgpr_private_segment_size 0
		.amdhsa_wavefront_size32 1
		.amdhsa_uses_dynamic_stack 0
		.amdhsa_system_sgpr_private_segment_wavefront_offset 0
		.amdhsa_system_sgpr_workgroup_id_x 1
		.amdhsa_system_sgpr_workgroup_id_y 0
		.amdhsa_system_sgpr_workgroup_id_z 0
		.amdhsa_system_sgpr_workgroup_info 0
		.amdhsa_system_vgpr_workitem_id 0
		.amdhsa_next_free_vgpr 1
		.amdhsa_next_free_sgpr 1
		.amdhsa_reserve_vcc 0
		.amdhsa_reserve_flat_scratch 0
		.amdhsa_float_round_mode_32 0
		.amdhsa_float_round_mode_16_64 0
		.amdhsa_float_denorm_mode_32 3
		.amdhsa_float_denorm_mode_16_64 3
		.amdhsa_dx10_clamp 1
		.amdhsa_ieee_mode 1
		.amdhsa_fp16_overflow 0
		.amdhsa_workgroup_processor_mode 1
		.amdhsa_memory_ordered 1
		.amdhsa_forward_progress 1
		.amdhsa_shared_vgpr_count 0
		.amdhsa_exception_fp_ieee_invalid_op 0
		.amdhsa_exception_fp_denorm_src 0
		.amdhsa_exception_fp_ieee_div_zero 0
		.amdhsa_exception_fp_ieee_overflow 0
		.amdhsa_exception_fp_ieee_underflow 0
		.amdhsa_exception_fp_ieee_inexact 0
		.amdhsa_exception_int_div_zero 0
	.end_amdhsa_kernel
	.section	.text._ZN7rocprim17ROCPRIM_400000_NS6detail17trampoline_kernelINS0_14default_configENS1_25partition_config_selectorILNS1_17partition_subalgoE8EiNS0_10empty_typeEbEEZZNS1_14partition_implILS5_8ELb0ES3_jPKiPS6_PKS6_NS0_5tupleIJPiS6_EEENSE_IJSB_SB_EEENS0_18inequality_wrapperIN6hipcub16HIPCUB_304000_NS8EqualityEEEPlJS6_EEE10hipError_tPvRmT3_T4_T5_T6_T7_T9_mT8_P12ihipStream_tbDpT10_ENKUlT_T0_E_clISt17integral_constantIbLb0EES17_EEDaS12_S13_EUlS12_E_NS1_11comp_targetILNS1_3genE9ELNS1_11target_archE1100ELNS1_3gpuE3ELNS1_3repE0EEENS1_30default_config_static_selectorELNS0_4arch9wavefront6targetE0EEEvT1_,"axG",@progbits,_ZN7rocprim17ROCPRIM_400000_NS6detail17trampoline_kernelINS0_14default_configENS1_25partition_config_selectorILNS1_17partition_subalgoE8EiNS0_10empty_typeEbEEZZNS1_14partition_implILS5_8ELb0ES3_jPKiPS6_PKS6_NS0_5tupleIJPiS6_EEENSE_IJSB_SB_EEENS0_18inequality_wrapperIN6hipcub16HIPCUB_304000_NS8EqualityEEEPlJS6_EEE10hipError_tPvRmT3_T4_T5_T6_T7_T9_mT8_P12ihipStream_tbDpT10_ENKUlT_T0_E_clISt17integral_constantIbLb0EES17_EEDaS12_S13_EUlS12_E_NS1_11comp_targetILNS1_3genE9ELNS1_11target_archE1100ELNS1_3gpuE3ELNS1_3repE0EEENS1_30default_config_static_selectorELNS0_4arch9wavefront6targetE0EEEvT1_,comdat
.Lfunc_end184:
	.size	_ZN7rocprim17ROCPRIM_400000_NS6detail17trampoline_kernelINS0_14default_configENS1_25partition_config_selectorILNS1_17partition_subalgoE8EiNS0_10empty_typeEbEEZZNS1_14partition_implILS5_8ELb0ES3_jPKiPS6_PKS6_NS0_5tupleIJPiS6_EEENSE_IJSB_SB_EEENS0_18inequality_wrapperIN6hipcub16HIPCUB_304000_NS8EqualityEEEPlJS6_EEE10hipError_tPvRmT3_T4_T5_T6_T7_T9_mT8_P12ihipStream_tbDpT10_ENKUlT_T0_E_clISt17integral_constantIbLb0EES17_EEDaS12_S13_EUlS12_E_NS1_11comp_targetILNS1_3genE9ELNS1_11target_archE1100ELNS1_3gpuE3ELNS1_3repE0EEENS1_30default_config_static_selectorELNS0_4arch9wavefront6targetE0EEEvT1_, .Lfunc_end184-_ZN7rocprim17ROCPRIM_400000_NS6detail17trampoline_kernelINS0_14default_configENS1_25partition_config_selectorILNS1_17partition_subalgoE8EiNS0_10empty_typeEbEEZZNS1_14partition_implILS5_8ELb0ES3_jPKiPS6_PKS6_NS0_5tupleIJPiS6_EEENSE_IJSB_SB_EEENS0_18inequality_wrapperIN6hipcub16HIPCUB_304000_NS8EqualityEEEPlJS6_EEE10hipError_tPvRmT3_T4_T5_T6_T7_T9_mT8_P12ihipStream_tbDpT10_ENKUlT_T0_E_clISt17integral_constantIbLb0EES17_EEDaS12_S13_EUlS12_E_NS1_11comp_targetILNS1_3genE9ELNS1_11target_archE1100ELNS1_3gpuE3ELNS1_3repE0EEENS1_30default_config_static_selectorELNS0_4arch9wavefront6targetE0EEEvT1_
                                        ; -- End function
	.set _ZN7rocprim17ROCPRIM_400000_NS6detail17trampoline_kernelINS0_14default_configENS1_25partition_config_selectorILNS1_17partition_subalgoE8EiNS0_10empty_typeEbEEZZNS1_14partition_implILS5_8ELb0ES3_jPKiPS6_PKS6_NS0_5tupleIJPiS6_EEENSE_IJSB_SB_EEENS0_18inequality_wrapperIN6hipcub16HIPCUB_304000_NS8EqualityEEEPlJS6_EEE10hipError_tPvRmT3_T4_T5_T6_T7_T9_mT8_P12ihipStream_tbDpT10_ENKUlT_T0_E_clISt17integral_constantIbLb0EES17_EEDaS12_S13_EUlS12_E_NS1_11comp_targetILNS1_3genE9ELNS1_11target_archE1100ELNS1_3gpuE3ELNS1_3repE0EEENS1_30default_config_static_selectorELNS0_4arch9wavefront6targetE0EEEvT1_.num_vgpr, 0
	.set _ZN7rocprim17ROCPRIM_400000_NS6detail17trampoline_kernelINS0_14default_configENS1_25partition_config_selectorILNS1_17partition_subalgoE8EiNS0_10empty_typeEbEEZZNS1_14partition_implILS5_8ELb0ES3_jPKiPS6_PKS6_NS0_5tupleIJPiS6_EEENSE_IJSB_SB_EEENS0_18inequality_wrapperIN6hipcub16HIPCUB_304000_NS8EqualityEEEPlJS6_EEE10hipError_tPvRmT3_T4_T5_T6_T7_T9_mT8_P12ihipStream_tbDpT10_ENKUlT_T0_E_clISt17integral_constantIbLb0EES17_EEDaS12_S13_EUlS12_E_NS1_11comp_targetILNS1_3genE9ELNS1_11target_archE1100ELNS1_3gpuE3ELNS1_3repE0EEENS1_30default_config_static_selectorELNS0_4arch9wavefront6targetE0EEEvT1_.num_agpr, 0
	.set _ZN7rocprim17ROCPRIM_400000_NS6detail17trampoline_kernelINS0_14default_configENS1_25partition_config_selectorILNS1_17partition_subalgoE8EiNS0_10empty_typeEbEEZZNS1_14partition_implILS5_8ELb0ES3_jPKiPS6_PKS6_NS0_5tupleIJPiS6_EEENSE_IJSB_SB_EEENS0_18inequality_wrapperIN6hipcub16HIPCUB_304000_NS8EqualityEEEPlJS6_EEE10hipError_tPvRmT3_T4_T5_T6_T7_T9_mT8_P12ihipStream_tbDpT10_ENKUlT_T0_E_clISt17integral_constantIbLb0EES17_EEDaS12_S13_EUlS12_E_NS1_11comp_targetILNS1_3genE9ELNS1_11target_archE1100ELNS1_3gpuE3ELNS1_3repE0EEENS1_30default_config_static_selectorELNS0_4arch9wavefront6targetE0EEEvT1_.numbered_sgpr, 0
	.set _ZN7rocprim17ROCPRIM_400000_NS6detail17trampoline_kernelINS0_14default_configENS1_25partition_config_selectorILNS1_17partition_subalgoE8EiNS0_10empty_typeEbEEZZNS1_14partition_implILS5_8ELb0ES3_jPKiPS6_PKS6_NS0_5tupleIJPiS6_EEENSE_IJSB_SB_EEENS0_18inequality_wrapperIN6hipcub16HIPCUB_304000_NS8EqualityEEEPlJS6_EEE10hipError_tPvRmT3_T4_T5_T6_T7_T9_mT8_P12ihipStream_tbDpT10_ENKUlT_T0_E_clISt17integral_constantIbLb0EES17_EEDaS12_S13_EUlS12_E_NS1_11comp_targetILNS1_3genE9ELNS1_11target_archE1100ELNS1_3gpuE3ELNS1_3repE0EEENS1_30default_config_static_selectorELNS0_4arch9wavefront6targetE0EEEvT1_.num_named_barrier, 0
	.set _ZN7rocprim17ROCPRIM_400000_NS6detail17trampoline_kernelINS0_14default_configENS1_25partition_config_selectorILNS1_17partition_subalgoE8EiNS0_10empty_typeEbEEZZNS1_14partition_implILS5_8ELb0ES3_jPKiPS6_PKS6_NS0_5tupleIJPiS6_EEENSE_IJSB_SB_EEENS0_18inequality_wrapperIN6hipcub16HIPCUB_304000_NS8EqualityEEEPlJS6_EEE10hipError_tPvRmT3_T4_T5_T6_T7_T9_mT8_P12ihipStream_tbDpT10_ENKUlT_T0_E_clISt17integral_constantIbLb0EES17_EEDaS12_S13_EUlS12_E_NS1_11comp_targetILNS1_3genE9ELNS1_11target_archE1100ELNS1_3gpuE3ELNS1_3repE0EEENS1_30default_config_static_selectorELNS0_4arch9wavefront6targetE0EEEvT1_.private_seg_size, 0
	.set _ZN7rocprim17ROCPRIM_400000_NS6detail17trampoline_kernelINS0_14default_configENS1_25partition_config_selectorILNS1_17partition_subalgoE8EiNS0_10empty_typeEbEEZZNS1_14partition_implILS5_8ELb0ES3_jPKiPS6_PKS6_NS0_5tupleIJPiS6_EEENSE_IJSB_SB_EEENS0_18inequality_wrapperIN6hipcub16HIPCUB_304000_NS8EqualityEEEPlJS6_EEE10hipError_tPvRmT3_T4_T5_T6_T7_T9_mT8_P12ihipStream_tbDpT10_ENKUlT_T0_E_clISt17integral_constantIbLb0EES17_EEDaS12_S13_EUlS12_E_NS1_11comp_targetILNS1_3genE9ELNS1_11target_archE1100ELNS1_3gpuE3ELNS1_3repE0EEENS1_30default_config_static_selectorELNS0_4arch9wavefront6targetE0EEEvT1_.uses_vcc, 0
	.set _ZN7rocprim17ROCPRIM_400000_NS6detail17trampoline_kernelINS0_14default_configENS1_25partition_config_selectorILNS1_17partition_subalgoE8EiNS0_10empty_typeEbEEZZNS1_14partition_implILS5_8ELb0ES3_jPKiPS6_PKS6_NS0_5tupleIJPiS6_EEENSE_IJSB_SB_EEENS0_18inequality_wrapperIN6hipcub16HIPCUB_304000_NS8EqualityEEEPlJS6_EEE10hipError_tPvRmT3_T4_T5_T6_T7_T9_mT8_P12ihipStream_tbDpT10_ENKUlT_T0_E_clISt17integral_constantIbLb0EES17_EEDaS12_S13_EUlS12_E_NS1_11comp_targetILNS1_3genE9ELNS1_11target_archE1100ELNS1_3gpuE3ELNS1_3repE0EEENS1_30default_config_static_selectorELNS0_4arch9wavefront6targetE0EEEvT1_.uses_flat_scratch, 0
	.set _ZN7rocprim17ROCPRIM_400000_NS6detail17trampoline_kernelINS0_14default_configENS1_25partition_config_selectorILNS1_17partition_subalgoE8EiNS0_10empty_typeEbEEZZNS1_14partition_implILS5_8ELb0ES3_jPKiPS6_PKS6_NS0_5tupleIJPiS6_EEENSE_IJSB_SB_EEENS0_18inequality_wrapperIN6hipcub16HIPCUB_304000_NS8EqualityEEEPlJS6_EEE10hipError_tPvRmT3_T4_T5_T6_T7_T9_mT8_P12ihipStream_tbDpT10_ENKUlT_T0_E_clISt17integral_constantIbLb0EES17_EEDaS12_S13_EUlS12_E_NS1_11comp_targetILNS1_3genE9ELNS1_11target_archE1100ELNS1_3gpuE3ELNS1_3repE0EEENS1_30default_config_static_selectorELNS0_4arch9wavefront6targetE0EEEvT1_.has_dyn_sized_stack, 0
	.set _ZN7rocprim17ROCPRIM_400000_NS6detail17trampoline_kernelINS0_14default_configENS1_25partition_config_selectorILNS1_17partition_subalgoE8EiNS0_10empty_typeEbEEZZNS1_14partition_implILS5_8ELb0ES3_jPKiPS6_PKS6_NS0_5tupleIJPiS6_EEENSE_IJSB_SB_EEENS0_18inequality_wrapperIN6hipcub16HIPCUB_304000_NS8EqualityEEEPlJS6_EEE10hipError_tPvRmT3_T4_T5_T6_T7_T9_mT8_P12ihipStream_tbDpT10_ENKUlT_T0_E_clISt17integral_constantIbLb0EES17_EEDaS12_S13_EUlS12_E_NS1_11comp_targetILNS1_3genE9ELNS1_11target_archE1100ELNS1_3gpuE3ELNS1_3repE0EEENS1_30default_config_static_selectorELNS0_4arch9wavefront6targetE0EEEvT1_.has_recursion, 0
	.set _ZN7rocprim17ROCPRIM_400000_NS6detail17trampoline_kernelINS0_14default_configENS1_25partition_config_selectorILNS1_17partition_subalgoE8EiNS0_10empty_typeEbEEZZNS1_14partition_implILS5_8ELb0ES3_jPKiPS6_PKS6_NS0_5tupleIJPiS6_EEENSE_IJSB_SB_EEENS0_18inequality_wrapperIN6hipcub16HIPCUB_304000_NS8EqualityEEEPlJS6_EEE10hipError_tPvRmT3_T4_T5_T6_T7_T9_mT8_P12ihipStream_tbDpT10_ENKUlT_T0_E_clISt17integral_constantIbLb0EES17_EEDaS12_S13_EUlS12_E_NS1_11comp_targetILNS1_3genE9ELNS1_11target_archE1100ELNS1_3gpuE3ELNS1_3repE0EEENS1_30default_config_static_selectorELNS0_4arch9wavefront6targetE0EEEvT1_.has_indirect_call, 0
	.section	.AMDGPU.csdata,"",@progbits
; Kernel info:
; codeLenInByte = 0
; TotalNumSgprs: 0
; NumVgprs: 0
; ScratchSize: 0
; MemoryBound: 0
; FloatMode: 240
; IeeeMode: 1
; LDSByteSize: 0 bytes/workgroup (compile time only)
; SGPRBlocks: 0
; VGPRBlocks: 0
; NumSGPRsForWavesPerEU: 1
; NumVGPRsForWavesPerEU: 1
; Occupancy: 16
; WaveLimiterHint : 0
; COMPUTE_PGM_RSRC2:SCRATCH_EN: 0
; COMPUTE_PGM_RSRC2:USER_SGPR: 6
; COMPUTE_PGM_RSRC2:TRAP_HANDLER: 0
; COMPUTE_PGM_RSRC2:TGID_X_EN: 1
; COMPUTE_PGM_RSRC2:TGID_Y_EN: 0
; COMPUTE_PGM_RSRC2:TGID_Z_EN: 0
; COMPUTE_PGM_RSRC2:TIDIG_COMP_CNT: 0
	.section	.text._ZN7rocprim17ROCPRIM_400000_NS6detail17trampoline_kernelINS0_14default_configENS1_25partition_config_selectorILNS1_17partition_subalgoE8EiNS0_10empty_typeEbEEZZNS1_14partition_implILS5_8ELb0ES3_jPKiPS6_PKS6_NS0_5tupleIJPiS6_EEENSE_IJSB_SB_EEENS0_18inequality_wrapperIN6hipcub16HIPCUB_304000_NS8EqualityEEEPlJS6_EEE10hipError_tPvRmT3_T4_T5_T6_T7_T9_mT8_P12ihipStream_tbDpT10_ENKUlT_T0_E_clISt17integral_constantIbLb0EES17_EEDaS12_S13_EUlS12_E_NS1_11comp_targetILNS1_3genE8ELNS1_11target_archE1030ELNS1_3gpuE2ELNS1_3repE0EEENS1_30default_config_static_selectorELNS0_4arch9wavefront6targetE0EEEvT1_,"axG",@progbits,_ZN7rocprim17ROCPRIM_400000_NS6detail17trampoline_kernelINS0_14default_configENS1_25partition_config_selectorILNS1_17partition_subalgoE8EiNS0_10empty_typeEbEEZZNS1_14partition_implILS5_8ELb0ES3_jPKiPS6_PKS6_NS0_5tupleIJPiS6_EEENSE_IJSB_SB_EEENS0_18inequality_wrapperIN6hipcub16HIPCUB_304000_NS8EqualityEEEPlJS6_EEE10hipError_tPvRmT3_T4_T5_T6_T7_T9_mT8_P12ihipStream_tbDpT10_ENKUlT_T0_E_clISt17integral_constantIbLb0EES17_EEDaS12_S13_EUlS12_E_NS1_11comp_targetILNS1_3genE8ELNS1_11target_archE1030ELNS1_3gpuE2ELNS1_3repE0EEENS1_30default_config_static_selectorELNS0_4arch9wavefront6targetE0EEEvT1_,comdat
	.protected	_ZN7rocprim17ROCPRIM_400000_NS6detail17trampoline_kernelINS0_14default_configENS1_25partition_config_selectorILNS1_17partition_subalgoE8EiNS0_10empty_typeEbEEZZNS1_14partition_implILS5_8ELb0ES3_jPKiPS6_PKS6_NS0_5tupleIJPiS6_EEENSE_IJSB_SB_EEENS0_18inequality_wrapperIN6hipcub16HIPCUB_304000_NS8EqualityEEEPlJS6_EEE10hipError_tPvRmT3_T4_T5_T6_T7_T9_mT8_P12ihipStream_tbDpT10_ENKUlT_T0_E_clISt17integral_constantIbLb0EES17_EEDaS12_S13_EUlS12_E_NS1_11comp_targetILNS1_3genE8ELNS1_11target_archE1030ELNS1_3gpuE2ELNS1_3repE0EEENS1_30default_config_static_selectorELNS0_4arch9wavefront6targetE0EEEvT1_ ; -- Begin function _ZN7rocprim17ROCPRIM_400000_NS6detail17trampoline_kernelINS0_14default_configENS1_25partition_config_selectorILNS1_17partition_subalgoE8EiNS0_10empty_typeEbEEZZNS1_14partition_implILS5_8ELb0ES3_jPKiPS6_PKS6_NS0_5tupleIJPiS6_EEENSE_IJSB_SB_EEENS0_18inequality_wrapperIN6hipcub16HIPCUB_304000_NS8EqualityEEEPlJS6_EEE10hipError_tPvRmT3_T4_T5_T6_T7_T9_mT8_P12ihipStream_tbDpT10_ENKUlT_T0_E_clISt17integral_constantIbLb0EES17_EEDaS12_S13_EUlS12_E_NS1_11comp_targetILNS1_3genE8ELNS1_11target_archE1030ELNS1_3gpuE2ELNS1_3repE0EEENS1_30default_config_static_selectorELNS0_4arch9wavefront6targetE0EEEvT1_
	.globl	_ZN7rocprim17ROCPRIM_400000_NS6detail17trampoline_kernelINS0_14default_configENS1_25partition_config_selectorILNS1_17partition_subalgoE8EiNS0_10empty_typeEbEEZZNS1_14partition_implILS5_8ELb0ES3_jPKiPS6_PKS6_NS0_5tupleIJPiS6_EEENSE_IJSB_SB_EEENS0_18inequality_wrapperIN6hipcub16HIPCUB_304000_NS8EqualityEEEPlJS6_EEE10hipError_tPvRmT3_T4_T5_T6_T7_T9_mT8_P12ihipStream_tbDpT10_ENKUlT_T0_E_clISt17integral_constantIbLb0EES17_EEDaS12_S13_EUlS12_E_NS1_11comp_targetILNS1_3genE8ELNS1_11target_archE1030ELNS1_3gpuE2ELNS1_3repE0EEENS1_30default_config_static_selectorELNS0_4arch9wavefront6targetE0EEEvT1_
	.p2align	8
	.type	_ZN7rocprim17ROCPRIM_400000_NS6detail17trampoline_kernelINS0_14default_configENS1_25partition_config_selectorILNS1_17partition_subalgoE8EiNS0_10empty_typeEbEEZZNS1_14partition_implILS5_8ELb0ES3_jPKiPS6_PKS6_NS0_5tupleIJPiS6_EEENSE_IJSB_SB_EEENS0_18inequality_wrapperIN6hipcub16HIPCUB_304000_NS8EqualityEEEPlJS6_EEE10hipError_tPvRmT3_T4_T5_T6_T7_T9_mT8_P12ihipStream_tbDpT10_ENKUlT_T0_E_clISt17integral_constantIbLb0EES17_EEDaS12_S13_EUlS12_E_NS1_11comp_targetILNS1_3genE8ELNS1_11target_archE1030ELNS1_3gpuE2ELNS1_3repE0EEENS1_30default_config_static_selectorELNS0_4arch9wavefront6targetE0EEEvT1_,@function
_ZN7rocprim17ROCPRIM_400000_NS6detail17trampoline_kernelINS0_14default_configENS1_25partition_config_selectorILNS1_17partition_subalgoE8EiNS0_10empty_typeEbEEZZNS1_14partition_implILS5_8ELb0ES3_jPKiPS6_PKS6_NS0_5tupleIJPiS6_EEENSE_IJSB_SB_EEENS0_18inequality_wrapperIN6hipcub16HIPCUB_304000_NS8EqualityEEEPlJS6_EEE10hipError_tPvRmT3_T4_T5_T6_T7_T9_mT8_P12ihipStream_tbDpT10_ENKUlT_T0_E_clISt17integral_constantIbLb0EES17_EEDaS12_S13_EUlS12_E_NS1_11comp_targetILNS1_3genE8ELNS1_11target_archE1030ELNS1_3gpuE2ELNS1_3repE0EEENS1_30default_config_static_selectorELNS0_4arch9wavefront6targetE0EEEvT1_: ; @_ZN7rocprim17ROCPRIM_400000_NS6detail17trampoline_kernelINS0_14default_configENS1_25partition_config_selectorILNS1_17partition_subalgoE8EiNS0_10empty_typeEbEEZZNS1_14partition_implILS5_8ELb0ES3_jPKiPS6_PKS6_NS0_5tupleIJPiS6_EEENSE_IJSB_SB_EEENS0_18inequality_wrapperIN6hipcub16HIPCUB_304000_NS8EqualityEEEPlJS6_EEE10hipError_tPvRmT3_T4_T5_T6_T7_T9_mT8_P12ihipStream_tbDpT10_ENKUlT_T0_E_clISt17integral_constantIbLb0EES17_EEDaS12_S13_EUlS12_E_NS1_11comp_targetILNS1_3genE8ELNS1_11target_archE1030ELNS1_3gpuE2ELNS1_3repE0EEENS1_30default_config_static_selectorELNS0_4arch9wavefront6targetE0EEEvT1_
; %bb.0:
	s_clause 0x3
	s_load_dwordx4 s[0:3], s[4:5], 0x8
	s_load_dwordx4 s[12:15], s[4:5], 0x40
	s_load_dword s7, s[4:5], 0x68
	s_load_dwordx2 s[8:9], s[4:5], 0x50
	s_mov_b32 s17, 0
	v_lshrrev_b32_e32 v11, 3, v0
	v_or_b32_e32 v14, 0x200, v0
	v_or_b32_e32 v13, 0x400, v0
	;; [unrolled: 1-line block ×7, first 2 shown]
	s_waitcnt lgkmcnt(0)
	s_lshl_b64 s[10:11], s[2:3], 2
	s_load_dwordx2 s[14:15], s[14:15], 0x0
	s_add_u32 s19, s0, s10
	s_addc_u32 s20, s1, s11
	s_add_i32 s10, s7, -1
	s_lshl_b32 s1, s7, 12
	s_lshl_b32 s0, s10, 12
	;; [unrolled: 1-line block ×3, first 2 shown]
	s_add_i32 s7, s2, s0
	s_add_u32 s0, s2, s1
	s_addc_u32 s1, s3, 0
	s_cmp_eq_u32 s6, s10
	v_cmp_le_u64_e64 s0, s[8:9], s[0:1]
	s_cselect_b32 s11, -1, 0
	s_mov_b32 s9, -1
	s_and_b32 s10, s11, s0
	s_lshl_b64 s[0:1], s[16:17], 2
	s_xor_b32 s18, s10, -1
	s_add_u32 s0, s19, s0
	s_addc_u32 s1, s20, s1
	s_and_b32 vcc_lo, exec_lo, s18
	s_cbranch_vccz .LBB185_2
; %bb.1:
	v_lshlrev_b32_e32 v17, 2, v0
	v_lshrrev_b32_e32 v20, 3, v13
	v_lshrrev_b32_e32 v21, 3, v16
	;; [unrolled: 1-line block ×4, first 2 shown]
	v_add_co_u32 v7, s9, s0, v17
	v_add_co_ci_u32_e64 v8, null, s1, 0, s9
	v_lshrrev_b32_e32 v24, 3, v9
	v_add_co_u32 v1, vcc_lo, v7, 0x1000
	v_add_co_ci_u32_e64 v2, null, 0, v8, vcc_lo
	v_add_co_u32 v3, vcc_lo, v7, 0x2000
	v_add_co_ci_u32_e64 v4, null, 0, v8, vcc_lo
	;; [unrolled: 2-line block ×4, first 2 shown]
	s_clause 0x7
	global_load_dword v18, v17, s[0:1]
	global_load_dword v19, v[1:2], off offset:-2048
	global_load_dword v1, v[1:2], off
	global_load_dword v2, v[3:4], off offset:-2048
	global_load_dword v3, v[3:4], off
	;; [unrolled: 2-line block ×3, first 2 shown]
	global_load_dword v6, v[7:8], off
	v_lshrrev_b32_e32 v8, 3, v14
	v_and_b32_e32 v7, 60, v11
	v_lshrrev_b32_e32 v25, 3, v10
	v_and_b32_e32 v20, 0xbc, v20
	v_and_b32_e32 v21, 0xfc, v21
	;; [unrolled: 1-line block ×4, first 2 shown]
	v_add_nc_u32_e32 v7, v7, v17
	v_and_b32_e32 v23, 0x17c, v23
	v_and_b32_e32 v24, 0x1bc, v24
	;; [unrolled: 1-line block ×3, first 2 shown]
	v_add_nc_u32_e32 v8, v8, v17
	v_add_nc_u32_e32 v20, v20, v17
	;; [unrolled: 1-line block ×4, first 2 shown]
	s_mov_b32 s9, 0
	v_add_nc_u32_e32 v23, v23, v17
	v_add_nc_u32_e32 v24, v24, v17
	;; [unrolled: 1-line block ×3, first 2 shown]
	s_waitcnt vmcnt(7)
	ds_write_b32 v7, v18
	s_waitcnt vmcnt(6)
	ds_write_b32 v8, v19 offset:2048
	s_waitcnt vmcnt(5)
	ds_write_b32 v20, v1 offset:4096
	s_waitcnt vmcnt(4)
	ds_write_b32 v21, v2 offset:6144
	s_waitcnt vmcnt(3)
	ds_write_b32 v22, v3 offset:8192
	s_waitcnt vmcnt(2)
	ds_write_b32 v23, v4 offset:10240
	s_waitcnt vmcnt(1)
	ds_write_b32 v24, v5 offset:12288
	s_waitcnt vmcnt(0)
	ds_write_b32 v17, v6 offset:14336
	s_waitcnt lgkmcnt(0)
	s_barrier
.LBB185_2:
	s_andn2_b32 vcc_lo, exec_lo, s9
	s_sub_i32 s19, s8, s7
	s_cbranch_vccnz .LBB185_13
; %bb.3:
	v_mov_b32_e32 v1, 0
	s_mov_b32 s7, exec_lo
	v_mov_b32_e32 v2, v1
	v_mov_b32_e32 v3, v1
	v_mov_b32_e32 v4, v1
	v_mov_b32_e32 v5, v1
	v_mov_b32_e32 v6, v1
	v_mov_b32_e32 v7, v1
	v_mov_b32_e32 v8, v1
	v_cmpx_gt_u32_e64 s19, v0
	s_cbranch_execnz .LBB185_20
; %bb.4:
	s_or_b32 exec_lo, exec_lo, s7
	s_mov_b32 s7, exec_lo
	v_cmpx_gt_u32_e64 s19, v14
	s_cbranch_execnz .LBB185_21
.LBB185_5:
	s_or_b32 exec_lo, exec_lo, s7
	s_mov_b32 s7, exec_lo
	v_cmpx_gt_u32_e64 s19, v13
	s_cbranch_execnz .LBB185_22
.LBB185_6:
	s_or_b32 exec_lo, exec_lo, s7
	s_mov_b32 s7, exec_lo
	v_cmpx_gt_u32_e64 s19, v16
	s_cbranch_execnz .LBB185_23
.LBB185_7:
	s_or_b32 exec_lo, exec_lo, s7
	s_mov_b32 s7, exec_lo
	v_cmpx_gt_u32_e64 s19, v15
	s_cbranch_execnz .LBB185_24
.LBB185_8:
	s_or_b32 exec_lo, exec_lo, s7
	s_mov_b32 s7, exec_lo
	v_cmpx_gt_u32_e64 s19, v12
	s_cbranch_execnz .LBB185_25
.LBB185_9:
	s_or_b32 exec_lo, exec_lo, s7
	s_mov_b32 s7, exec_lo
	v_cmpx_gt_u32_e64 s19, v9
	s_cbranch_execnz .LBB185_26
.LBB185_10:
	s_or_b32 exec_lo, exec_lo, s7
	s_mov_b32 s7, exec_lo
	v_cmpx_gt_u32_e64 s19, v10
	s_cbranch_execz .LBB185_12
.LBB185_11:
	v_lshlrev_b32_e32 v8, 2, v10
	global_load_dword v8, v8, s[0:1]
.LBB185_12:
	s_or_b32 exec_lo, exec_lo, s7
	v_lshrrev_b32_e32 v14, 3, v14
	v_lshrrev_b32_e32 v13, 3, v13
	v_and_b32_e32 v11, 60, v11
	v_lshlrev_b32_e32 v17, 2, v0
	v_lshrrev_b32_e32 v16, 3, v16
	v_and_b32_e32 v14, 0x7c, v14
	v_and_b32_e32 v13, 0xfc, v13
	v_lshrrev_b32_e32 v15, 3, v15
	v_add_nc_u32_e32 v11, v11, v17
	v_lshrrev_b32_e32 v12, 3, v12
	v_add_nc_u32_e32 v14, v14, v17
	v_add_nc_u32_e32 v13, v13, v17
	v_lshrrev_b32_e32 v9, 3, v9
	ds_write_b32 v11, v1
	s_waitcnt vmcnt(0)
	ds_write_b32 v14, v2 offset:2048
	ds_write_b32 v13, v3 offset:4096
	v_lshrrev_b32_e32 v1, 3, v10
	v_and_b32_e32 v2, 0xfc, v16
	v_and_b32_e32 v3, 0x1fc, v15
	;; [unrolled: 1-line block ×5, first 2 shown]
	v_add_nc_u32_e32 v2, v2, v17
	v_add_nc_u32_e32 v3, v3, v17
	;; [unrolled: 1-line block ×5, first 2 shown]
	ds_write_b32 v2, v4 offset:6144
	ds_write_b32 v3, v5 offset:8192
	;; [unrolled: 1-line block ×5, first 2 shown]
	s_waitcnt lgkmcnt(0)
	s_barrier
.LBB185_13:
	v_and_b32_e32 v1, 0x1fc, v0
	s_waitcnt lgkmcnt(0)
	buffer_gl0_inv
	s_cmp_lg_u32 s6, 0
	v_lshlrev_b32_e32 v16, 3, v0
	s_cselect_b32 s20, -1, 0
	v_lshl_add_u32 v9, v0, 5, v1
	s_cmp_lg_u64 s[2:3], 0
	s_mov_b32 s16, 0
	s_cselect_b32 s2, -1, 0
	ds_read2_b32 v[5:6], v9 offset0:2 offset1:3
	ds_read2_b32 v[7:8], v9 offset1:1
	ds_read2_b32 v[3:4], v9 offset0:3 offset1:4
	ds_read2_b32 v[12:13], v9 offset0:1 offset1:2
	;; [unrolled: 1-line block ×3, first 2 shown]
	ds_read_b32 v30, v9 offset:28
	s_or_b32 s2, s20, s2
	s_waitcnt lgkmcnt(0)
	s_and_b32 vcc_lo, exec_lo, s2
	s_barrier
	buffer_gl0_inv
	s_cbranch_vccz .LBB185_18
; %bb.14:
	s_add_u32 s0, s0, -4
	s_addc_u32 s1, s1, -1
	v_lshlrev_b32_e32 v9, 2, v0
	s_load_dword s1, s[0:1], 0x0
	s_and_b32 vcc_lo, exec_lo, s18
	ds_write_b32 v9, v30
	s_cbranch_vccz .LBB185_27
; %bb.15:
	s_waitcnt lgkmcnt(0)
	v_mov_b32_e32 v10, s1
	s_mov_b32 s2, 0
	s_mov_b32 s0, exec_lo
	s_barrier
	buffer_gl0_inv
	v_cmpx_ne_u32_e32 0, v0
; %bb.16:
	v_add_nc_u32_e32 v10, -4, v9
	ds_read_b32 v10, v10
; %bb.17:
	s_or_b32 exec_lo, exec_lo, s0
	v_cmp_ne_u32_e32 vcc_lo, v2, v30
	s_waitcnt lgkmcnt(0)
	v_cmp_ne_u32_e64 s0, v10, v7
	v_cndmask_b32_e64 v11, 0, 1, vcc_lo
	v_cmp_ne_u32_e32 vcc_lo, v1, v2
	v_lshlrev_b16 v11, 8, v11
	v_cndmask_b32_e64 v14, 0, 1, vcc_lo
	v_cmp_ne_u32_e32 vcc_lo, v4, v1
	v_or_b32_sdwa v11, v14, v11 dst_sel:WORD_1 dst_unused:UNUSED_PAD src0_sel:DWORD src1_sel:DWORD
	v_cndmask_b32_e64 v15, 0, 1, vcc_lo
	v_cmp_ne_u32_e32 vcc_lo, v5, v6
	v_lshlrev_b16 v15, 8, v15
	v_cndmask_b32_e64 v17, 0, 1, vcc_lo
	v_cmp_ne_u32_e32 vcc_lo, v6, v4
	v_lshlrev_b16 v17, 8, v17
	v_cndmask_b32_e64 v18, 0, 1, vcc_lo
	v_cmp_ne_u32_e32 vcc_lo, v8, v5
	v_or_b32_e32 v15, v18, v15
	v_cndmask_b32_e64 v19, 0, 1, vcc_lo
	v_cmp_ne_u32_e32 vcc_lo, v7, v8
	v_or_b32_sdwa v15, v15, v11 dst_sel:DWORD dst_unused:UNUSED_PAD src0_sel:WORD_0 src1_sel:DWORD
	v_or_b32_sdwa v17, v19, v17 dst_sel:WORD_1 dst_unused:UNUSED_PAD src0_sel:DWORD src1_sel:DWORD
	v_cndmask_b32_e64 v20, 0, 1, vcc_lo
	v_lshlrev_b16 v19, 8, v20
	v_or_b32_sdwa v14, v19, v17 dst_sel:DWORD dst_unused:UNUSED_PAD src0_sel:WORD_0 src1_sel:DWORD
	s_and_b32 vcc_lo, exec_lo, s2
	s_cbranch_vccnz .LBB185_28
	s_branch .LBB185_31
.LBB185_18:
                                        ; implicit-def: $sgpr0
                                        ; implicit-def: $vgpr15
	s_branch .LBB185_32
.LBB185_19:
                                        ; implicit-def: $vgpr9
                                        ; implicit-def: $vgpr35
                                        ; implicit-def: $vgpr34
                                        ; implicit-def: $vgpr11
                                        ; implicit-def: $vgpr33
                                        ; implicit-def: $vgpr32
                                        ; implicit-def: $vgpr31
	s_branch .LBB185_40
.LBB185_20:
	v_lshlrev_b32_e32 v2, 2, v0
	v_mov_b32_e32 v18, v1
	v_mov_b32_e32 v19, v1
	;; [unrolled: 1-line block ×4, first 2 shown]
	global_load_dword v17, v2, s[0:1]
	v_mov_b32_e32 v22, v1
	v_mov_b32_e32 v23, v1
	;; [unrolled: 1-line block ×3, first 2 shown]
	s_waitcnt vmcnt(0)
	v_mov_b32_e32 v1, v17
	v_mov_b32_e32 v2, v18
	;; [unrolled: 1-line block ×8, first 2 shown]
	s_or_b32 exec_lo, exec_lo, s7
	s_mov_b32 s7, exec_lo
	v_cmpx_gt_u32_e64 s19, v14
	s_cbranch_execz .LBB185_5
.LBB185_21:
	v_lshlrev_b32_e32 v2, 2, v14
	global_load_dword v2, v2, s[0:1]
	s_or_b32 exec_lo, exec_lo, s7
	s_mov_b32 s7, exec_lo
	v_cmpx_gt_u32_e64 s19, v13
	s_cbranch_execz .LBB185_6
.LBB185_22:
	v_lshlrev_b32_e32 v3, 2, v13
	global_load_dword v3, v3, s[0:1]
	s_or_b32 exec_lo, exec_lo, s7
	s_mov_b32 s7, exec_lo
	v_cmpx_gt_u32_e64 s19, v16
	s_cbranch_execz .LBB185_7
.LBB185_23:
	v_lshlrev_b32_e32 v4, 2, v16
	global_load_dword v4, v4, s[0:1]
	s_or_b32 exec_lo, exec_lo, s7
	s_mov_b32 s7, exec_lo
	v_cmpx_gt_u32_e64 s19, v15
	s_cbranch_execz .LBB185_8
.LBB185_24:
	v_lshlrev_b32_e32 v5, 2, v15
	global_load_dword v5, v5, s[0:1]
	s_or_b32 exec_lo, exec_lo, s7
	s_mov_b32 s7, exec_lo
	v_cmpx_gt_u32_e64 s19, v12
	s_cbranch_execz .LBB185_9
.LBB185_25:
	v_lshlrev_b32_e32 v6, 2, v12
	global_load_dword v6, v6, s[0:1]
	s_or_b32 exec_lo, exec_lo, s7
	s_mov_b32 s7, exec_lo
	v_cmpx_gt_u32_e64 s19, v9
	s_cbranch_execz .LBB185_10
.LBB185_26:
	v_lshlrev_b32_e32 v7, 2, v9
	global_load_dword v7, v7, s[0:1]
	s_or_b32 exec_lo, exec_lo, s7
	s_mov_b32 s7, exec_lo
	v_cmpx_gt_u32_e64 s19, v10
	s_cbranch_execnz .LBB185_11
	s_branch .LBB185_12
.LBB185_27:
                                        ; implicit-def: $sgpr0
                                        ; implicit-def: $vgpr15
	s_cbranch_execz .LBB185_31
.LBB185_28:
	s_waitcnt lgkmcnt(0)
	v_mov_b32_e32 v10, s1
	s_mov_b32 s0, exec_lo
	s_barrier
	buffer_gl0_inv
	v_cmpx_ne_u32_e32 0, v0
; %bb.29:
	v_add_nc_u32_e32 v9, -4, v9
	ds_read_b32 v10, v9
; %bb.30:
	s_or_b32 exec_lo, exec_lo, s0
	v_or_b32_e32 v9, 7, v16
	v_or_b32_e32 v11, 6, v16
	v_or_b32_e32 v14, 5, v16
	v_cmp_ne_u32_e32 vcc_lo, v2, v30
	v_cmp_ne_u32_e64 s1, v1, v2
	v_cmp_gt_u32_e64 s0, s19, v9
	v_cmp_gt_u32_e64 s3, s19, v11
	v_cmp_ne_u32_e64 s2, v4, v1
	v_cmp_gt_u32_e64 s7, s19, v14
	v_or_b32_e32 v11, 3, v16
	s_and_b32 s0, s0, vcc_lo
	v_or_b32_e32 v15, 4, v16
	v_cndmask_b32_e64 v9, 0, 1, s0
	s_and_b32 s0, s3, s1
	v_cmp_gt_u32_e32 vcc_lo, s19, v11
	v_cndmask_b32_e64 v14, 0, 1, s0
	s_and_b32 s0, s7, s2
	v_or_b32_e32 v11, 2, v16
	v_cndmask_b32_e64 v17, 0, 1, s0
	v_cmp_ne_u32_e64 s0, v5, v6
	v_cmp_gt_u32_e64 s1, s19, v15
	v_or_b32_e32 v15, 1, v16
	v_cmp_ne_u32_e64 s2, v6, v4
	v_cmp_ne_u32_e64 s7, v7, v8
	s_and_b32 s0, vcc_lo, s0
	v_cmp_gt_u32_e32 vcc_lo, s19, v11
	v_cndmask_b32_e64 v18, 0, 1, s0
	v_cmp_ne_u32_e64 s0, v8, v5
	v_cmp_gt_u32_e64 s3, s19, v15
	s_and_b32 s1, s1, s2
	v_lshlrev_b16 v17, 8, v17
	v_cndmask_b32_e64 v11, 0, 1, s1
	s_and_b32 s0, vcc_lo, s0
	v_lshlrev_b16 v18, 8, v18
	v_cndmask_b32_e64 v15, 0, 1, s0
	s_and_b32 s0, s3, s7
	v_lshlrev_b16 v9, 8, v9
	v_cndmask_b32_e64 v19, 0, 1, s0
	v_or_b32_e32 v11, v11, v17
	v_or_b32_sdwa v15, v15, v18 dst_sel:WORD_1 dst_unused:UNUSED_PAD src0_sel:DWORD src1_sel:DWORD
	v_cmp_gt_u32_e32 vcc_lo, s19, v16
	v_or_b32_sdwa v9, v14, v9 dst_sel:WORD_1 dst_unused:UNUSED_PAD src0_sel:DWORD src1_sel:DWORD
	v_lshlrev_b16 v18, 8, v19
	s_waitcnt lgkmcnt(0)
	v_cmp_ne_u32_e64 s0, v10, v7
	v_or_b32_sdwa v14, v18, v15 dst_sel:DWORD dst_unused:UNUSED_PAD src0_sel:WORD_0 src1_sel:DWORD
	v_or_b32_sdwa v15, v11, v9 dst_sel:DWORD dst_unused:UNUSED_PAD src0_sel:WORD_0 src1_sel:DWORD
	s_and_b32 s0, vcc_lo, s0
.LBB185_31:
	s_waitcnt lgkmcnt(0)
	s_mov_b32 s16, -1
	s_cbranch_execnz .LBB185_19
.LBB185_32:
	v_lshlrev_b32_e32 v17, 2, v0
	v_cmp_ne_u32_e64 s0, v2, v30
	v_cmp_ne_u32_e64 s1, v1, v2
	;; [unrolled: 1-line block ×4, first 2 shown]
	s_and_b32 vcc_lo, exec_lo, s18
	ds_write_b32 v17, v30
	s_cbranch_vccz .LBB185_36
; %bb.33:
	v_cmp_ne_u32_e32 vcc_lo, v5, v6
	v_cndmask_b32_e64 v33, 0, 1, s2
	v_cndmask_b32_e64 v10, 0, 1, s3
	;; [unrolled: 1-line block ×4, first 2 shown]
	v_cndmask_b32_e64 v11, 0, 1, vcc_lo
	v_cmp_ne_u32_e32 vcc_lo, v8, v5
	v_mov_b32_e32 v9, 1
	s_mov_b32 s1, 0
	s_mov_b32 s2, exec_lo
	s_waitcnt lgkmcnt(0)
	v_cndmask_b32_e64 v34, 0, 1, vcc_lo
	v_cmp_ne_u32_e32 vcc_lo, v7, v8
	s_barrier
	buffer_gl0_inv
                                        ; implicit-def: $sgpr0
                                        ; implicit-def: $vgpr15
	v_cndmask_b32_e64 v35, 0, 1, vcc_lo
	v_cmpx_ne_u32_e32 0, v0
	s_xor_b32 s2, exec_lo, s2
	s_cbranch_execz .LBB185_35
; %bb.34:
	v_add_nc_u32_e32 v14, -4, v17
	v_lshlrev_b16 v15, 8, v31
	v_lshlrev_b16 v19, 8, v11
	;; [unrolled: 1-line block ×3, first 2 shown]
	s_or_b32 s16, s16, exec_lo
	ds_read_b32 v18, v14
	v_lshlrev_b16 v14, 8, v33
	v_or_b32_sdwa v15, v32, v15 dst_sel:WORD_1 dst_unused:UNUSED_PAD src0_sel:DWORD src1_sel:DWORD
	v_or_b32_sdwa v19, v34, v19 dst_sel:WORD_1 dst_unused:UNUSED_PAD src0_sel:DWORD src1_sel:DWORD
	v_or_b32_e32 v20, 1, v20
	v_or_b32_e32 v14, v10, v14
	v_or_b32_sdwa v15, v14, v15 dst_sel:DWORD dst_unused:UNUSED_PAD src0_sel:WORD_0 src1_sel:DWORD
	v_or_b32_sdwa v14, v20, v19 dst_sel:DWORD dst_unused:UNUSED_PAD src0_sel:WORD_0 src1_sel:DWORD
	s_waitcnt lgkmcnt(0)
	v_cmp_ne_u32_e64 s0, v18, v7
.LBB185_35:
	s_or_b32 exec_lo, exec_lo, s2
	s_and_b32 vcc_lo, exec_lo, s1
	s_cbranch_vccnz .LBB185_37
	s_branch .LBB185_40
.LBB185_36:
                                        ; implicit-def: $sgpr0
                                        ; implicit-def: $vgpr15
                                        ; implicit-def: $vgpr9
                                        ; implicit-def: $vgpr35
                                        ; implicit-def: $vgpr34
                                        ; implicit-def: $vgpr11
                                        ; implicit-def: $vgpr33
                                        ; implicit-def: $vgpr32
                                        ; implicit-def: $vgpr31
	s_cbranch_execz .LBB185_40
.LBB185_37:
	v_or_b32_e32 v9, 4, v16
	v_cmp_ne_u32_e64 s0, v6, v4
	v_or_b32_e32 v15, 2, v16
	v_cmp_ne_u32_e64 s2, v5, v3
	v_cmp_ne_u32_e64 s7, v8, v13
	v_cmp_gt_u32_e64 s1, s19, v9
	v_or_b32_e32 v9, 3, v16
	v_cmp_gt_u32_e64 s8, s19, v15
	v_or_b32_e32 v11, 6, v16
	v_or_b32_e32 v13, 5, v16
	s_and_b32 s0, s1, s0
	v_or_b32_e32 v10, 7, v16
	v_cndmask_b32_e64 v14, 0, 1, s0
	v_cmp_gt_u32_e64 s0, s19, v9
	v_or_b32_e32 v9, 1, v16
	v_cmp_gt_u32_e64 s1, s19, v11
	v_cmp_ne_u32_e64 s9, v4, v1
	v_lshlrev_b16 v3, 8, v14
	s_and_b32 s0, s0, s2
	s_and_b32 s2, s8, s7
	v_cndmask_b32_e64 v19, 0, 1, s0
	v_cndmask_b32_e64 v18, 0, 1, s2
	v_cmp_ne_u32_e64 s2, v7, v12
	v_cmp_gt_u32_e64 s7, s19, v9
	v_cmp_gt_u32_e64 s8, s19, v13
	v_or_b32_e32 v11, v19, v3
	v_cmp_ne_u32_e32 vcc_lo, v2, v30
	v_cmp_gt_u32_e64 s3, s19, v10
	v_cmp_ne_u32_e64 s0, v1, v2
	s_and_b32 s2, s7, s2
	v_lshlrev_b16 v3, 8, v18
	v_lshlrev_b32_e32 v10, 16, v11
	v_cndmask_b32_e64 v13, 0, 1, s2
	s_and_b32 s2, s8, s9
	s_and_b32 s0, s1, s0
	v_cndmask_b32_e64 v33, 0, 1, s2
	s_and_b32 s2, s3, vcc_lo
	v_or_b32_sdwa v12, v3, v10 dst_sel:DWORD dst_unused:UNUSED_PAD src0_sel:WORD_0 src1_sel:DWORD
	v_mov_b32_e32 v9, 1
	v_cndmask_b32_e64 v31, 0, 1, s2
	v_cndmask_b32_e64 v32, 0, 1, s0
	s_mov_b32 s1, exec_lo
	s_waitcnt lgkmcnt(0)
	s_barrier
	buffer_gl0_inv
                                        ; implicit-def: $sgpr0
                                        ; implicit-def: $vgpr15
	v_cmpx_ne_u32_e32 0, v0
	s_cbranch_execz .LBB185_39
; %bb.38:
	v_add_nc_u32_e32 v15, -4, v17
	v_lshlrev_b16 v17, 8, v19
	v_lshlrev_b16 v19, 8, v13
	;; [unrolled: 1-line block ×4, first 2 shown]
	ds_read_b32 v15, v15
	v_or_b32_sdwa v17, v18, v17 dst_sel:WORD_1 dst_unused:UNUSED_PAD src0_sel:DWORD src1_sel:DWORD
	v_or_b32_e32 v18, 1, v19
	v_or_b32_e32 v19, v14, v20
	v_or_b32_sdwa v20, v32, v21 dst_sel:WORD_1 dst_unused:UNUSED_PAD src0_sel:DWORD src1_sel:DWORD
	v_cmp_gt_u32_e32 vcc_lo, s19, v16
	s_or_b32 s16, s16, exec_lo
	v_or_b32_sdwa v14, v18, v17 dst_sel:DWORD dst_unused:UNUSED_PAD src0_sel:WORD_0 src1_sel:DWORD
	s_waitcnt lgkmcnt(0)
	v_cmp_ne_u32_e64 s0, v15, v7
	v_or_b32_sdwa v15, v19, v20 dst_sel:DWORD dst_unused:UNUSED_PAD src0_sel:WORD_0 src1_sel:DWORD
	s_and_b32 s0, vcc_lo, s0
.LBB185_39:
	s_or_b32 exec_lo, exec_lo, s1
	v_or_b32_e32 v35, v13, v3
	v_lshrrev_b32_e32 v10, 24, v10
	v_lshrrev_b32_e32 v34, 8, v12
.LBB185_40:
	s_and_saveexec_b32 s1, s16
	s_cbranch_execz .LBB185_42
; %bb.41:
	v_lshrrev_b64 v[11:12], 24, v[14:15]
	v_lshrrev_b32_e32 v33, 8, v15
	v_lshrrev_b32_e32 v32, 16, v15
	v_lshrrev_b32_e32 v31, 24, v15
	v_lshrrev_b32_e32 v34, 16, v14
	v_lshrrev_b32_e32 v35, 8, v14
	v_cndmask_b32_e64 v9, 0, 1, s0
	v_mov_b32_e32 v10, v15
.LBB185_42:
	s_or_b32 exec_lo, exec_lo, s1
	s_load_dwordx2 s[16:17], s[4:5], 0x60
	s_andn2_b32 vcc_lo, exec_lo, s10
	s_cbranch_vccnz .LBB185_46
; %bb.43:
	v_perm_b32 v3, v34, v11, 0xc0c0004
	v_perm_b32 v9, v9, v35, 0xc0c0004
	v_cmp_gt_u32_e32 vcc_lo, s19, v16
	v_or_b32_e32 v11, 1, v16
	v_or_b32_e32 v12, 2, v16
	v_lshlrev_b32_e32 v3, 16, v3
	v_perm_b32 v10, v10, v33, 0xc0c0004
	v_or_b32_e32 v9, v9, v3
	v_cndmask_b32_e32 v3, v3, v9, vcc_lo
	v_cmp_gt_u32_e32 vcc_lo, s19, v11
	v_and_b32_e32 v3, 0xffff00ff, v3
	v_cndmask_b32_e32 v3, v3, v9, vcc_lo
	v_cmp_gt_u32_e32 vcc_lo, s19, v12
	v_or_b32_e32 v12, 4, v16
	v_lshrrev_b32_e32 v11, 24, v3
	v_perm_b32 v3, v11, v3, 0x40c0100
	v_perm_b32 v11, v32, v31, 0xc0c0004
	v_cndmask_b32_e32 v3, v3, v9, vcc_lo
	v_lshl_or_b32 v10, v11, 16, v10
	v_or_b32_e32 v11, 3, v16
	v_and_b32_e32 v3, 0xffffff, v3
	v_and_b32_e32 v13, 0xffffff00, v10
	v_cmp_gt_u32_e32 vcc_lo, s19, v11
	v_cndmask_b32_e32 v3, v3, v9, vcc_lo
	v_cmp_gt_u32_e32 vcc_lo, s19, v12
	v_or_b32_e32 v12, 5, v16
	v_cndmask_b32_e32 v11, v13, v10, vcc_lo
	v_cndmask_b32_e32 v3, v3, v9, vcc_lo
	v_cmp_gt_u32_e32 vcc_lo, s19, v12
	v_or_b32_e32 v13, 6, v16
	v_and_b32_e32 v11, 0xffff00ff, v11
	v_cmp_gt_u32_e64 s0, s19, v13
	v_cndmask_b32_e32 v11, v11, v10, vcc_lo
	s_or_b32 vcc_lo, s0, vcc_lo
	v_lshrrev_b32_e32 v12, 24, v11
	v_cndmask_b32_e32 v9, v3, v9, vcc_lo
	v_or_b32_e32 v3, 7, v16
	v_perm_b32 v11, v12, v11, 0x40c0100
	v_lshrrev_b32_e32 v34, 16, v9
	v_lshrrev_b32_e32 v35, 8, v9
	v_cndmask_b32_e64 v10, v11, v10, s0
	s_mov_b32 s0, exec_lo
	v_lshrrev_b64 v[11:12], 24, v[9:10]
	v_lshrrev_b32_e32 v31, 24, v10
	v_lshrrev_b32_e32 v32, 16, v10
	;; [unrolled: 1-line block ×3, first 2 shown]
	v_cmpx_le_u32_e64 s19, v3
; %bb.44:
	v_mov_b32_e32 v31, 0
; %bb.45:
	s_or_b32 exec_lo, exec_lo, s0
.LBB185_46:
	v_and_b32_e32 v3, 0xff, v34
	v_and_b32_e32 v21, 0xff, v11
	v_add_nc_u32_sdwa v12, v35, v9 dst_sel:DWORD dst_unused:UNUSED_PAD src0_sel:BYTE_0 src1_sel:BYTE_0
	v_and_b32_e32 v23, 0xff, v10
	v_and_b32_e32 v25, 0xff, v33
	v_mbcnt_lo_u32_b32 v29, -1, 0
	v_and_b32_e32 v27, 0xff, v32
	v_add3_u32 v12, v12, v3, v21
	v_and_b32_e32 v13, 0xff, v31
	v_lshrrev_b32_e32 v36, 5, v0
	v_and_b32_e32 v14, 15, v29
	s_and_b32 vcc_lo, exec_lo, s20
	v_add3_u32 v12, v12, v23, v25
	s_mov_b32 s9, -1
	s_waitcnt lgkmcnt(0)
	v_cmp_eq_u32_e64 s0, 0, v14
	v_cmp_lt_u32_e64 s2, 1, v14
	v_add3_u32 v37, v12, v27, v13
	v_and_b32_e32 v12, 16, v29
	v_or_b32_e32 v13, 31, v0
	v_cmp_lt_u32_e64 s3, 3, v14
	v_cmp_lt_u32_e64 s1, 7, v14
	s_barrier
	v_cmp_eq_u32_e64 s8, 0, v12
	v_cmp_eq_u32_e64 s7, v0, v13
	buffer_gl0_inv
                                        ; implicit-def: $vgpr14
                                        ; implicit-def: $vgpr16
                                        ; implicit-def: $vgpr18
                                        ; implicit-def: $vgpr20
                                        ; implicit-def: $vgpr22
                                        ; implicit-def: $vgpr24
                                        ; implicit-def: $vgpr26
                                        ; implicit-def: $vgpr28
                                        ; implicit-def: $vgpr13
	s_cbranch_vccz .LBB185_73
; %bb.47:
	v_mov_b32_dpp v12, v37 row_shr:1 row_mask:0xf bank_mask:0xf
	v_cndmask_b32_e64 v12, v12, 0, s0
	v_add_nc_u32_e32 v12, v12, v37
	v_mov_b32_dpp v13, v12 row_shr:2 row_mask:0xf bank_mask:0xf
	v_cndmask_b32_e64 v13, 0, v13, s2
	v_add_nc_u32_e32 v12, v12, v13
	;; [unrolled: 3-line block ×4, first 2 shown]
	ds_swizzle_b32 v13, v12 offset:swizzle(BROADCAST,32,15)
	s_waitcnt lgkmcnt(0)
	v_cndmask_b32_e64 v13, v13, 0, s8
	v_add_nc_u32_e32 v12, v12, v13
	s_and_saveexec_b32 s9, s7
; %bb.48:
	v_lshlrev_b32_e32 v13, 2, v36
	ds_write_b32 v13, v12
; %bb.49:
	s_or_b32 exec_lo, exec_lo, s9
	s_mov_b32 s9, exec_lo
	s_waitcnt lgkmcnt(0)
	s_barrier
	buffer_gl0_inv
	v_cmpx_gt_u32_e32 16, v0
	s_cbranch_execz .LBB185_51
; %bb.50:
	v_lshlrev_b32_e32 v13, 2, v0
	ds_read_b32 v14, v13
	s_waitcnt lgkmcnt(0)
	v_mov_b32_dpp v15, v14 row_shr:1 row_mask:0xf bank_mask:0xf
	v_cndmask_b32_e64 v15, v15, 0, s0
	v_add_nc_u32_e32 v14, v15, v14
	v_mov_b32_dpp v15, v14 row_shr:2 row_mask:0xf bank_mask:0xf
	v_cndmask_b32_e64 v15, 0, v15, s2
	v_add_nc_u32_e32 v14, v14, v15
	;; [unrolled: 3-line block ×4, first 2 shown]
	ds_write_b32 v13, v14
.LBB185_51:
	s_or_b32 exec_lo, exec_lo, s9
	s_mov_b32 s10, exec_lo
	v_cmp_gt_u32_e32 vcc_lo, 32, v0
	s_waitcnt lgkmcnt(0)
	s_barrier
	buffer_gl0_inv
                                        ; implicit-def: $vgpr22
	v_cmpx_lt_u32_e32 31, v0
	s_cbranch_execz .LBB185_53
; %bb.52:
	v_lshl_add_u32 v13, v36, 2, -4
	ds_read_b32 v22, v13
	s_waitcnt lgkmcnt(0)
	v_add_nc_u32_e32 v12, v22, v12
.LBB185_53:
	s_or_b32 exec_lo, exec_lo, s10
	v_sub_co_u32 v13, s9, v29, 1
	v_cmp_gt_i32_e64 s10, 0, v13
	v_cndmask_b32_e64 v13, v13, v29, s10
	v_lshlrev_b32_e32 v13, 2, v13
	ds_bpermute_b32 v24, v13, v12
	s_and_saveexec_b32 s10, vcc_lo
	s_cbranch_execz .LBB185_72
; %bb.54:
	v_mov_b32_e32 v18, 0
	ds_read_b32 v12, v18 offset:60
	s_and_saveexec_b32 s19, s9
	s_cbranch_execz .LBB185_56
; %bb.55:
	s_add_i32 s20, s6, 32
	s_mov_b32 s21, 0
	v_mov_b32_e32 v13, 1
	s_lshl_b64 s[20:21], s[20:21], 3
	s_add_u32 s20, s16, s20
	s_addc_u32 s21, s17, s21
	s_waitcnt lgkmcnt(0)
	global_store_dwordx2 v18, v[12:13], s[20:21]
.LBB185_56:
	s_or_b32 exec_lo, exec_lo, s19
	v_xad_u32 v14, v29, -1, s6
	s_mov_b32 s20, 0
	v_add_nc_u32_e32 v17, 32, v14
	v_lshlrev_b64 v[15:16], 3, v[17:18]
	v_add_co_u32 v19, vcc_lo, s16, v15
	v_add_co_ci_u32_e64 v20, null, s17, v16, vcc_lo
	global_load_dwordx2 v[16:17], v[19:20], off glc dlc
	s_waitcnt vmcnt(0)
	v_cmp_eq_u16_sdwa s21, v17, v18 src0_sel:BYTE_0 src1_sel:DWORD
	s_and_saveexec_b32 s19, s21
	s_cbranch_execz .LBB185_60
; %bb.57:
	v_mov_b32_e32 v13, 0
.LBB185_58:                             ; =>This Inner Loop Header: Depth=1
	global_load_dwordx2 v[16:17], v[19:20], off glc dlc
	s_waitcnt vmcnt(0)
	v_cmp_ne_u16_sdwa s21, v17, v13 src0_sel:BYTE_0 src1_sel:DWORD
	s_or_b32 s20, s21, s20
	s_andn2_b32 exec_lo, exec_lo, s20
	s_cbranch_execnz .LBB185_58
; %bb.59:
	s_or_b32 exec_lo, exec_lo, s20
.LBB185_60:
	s_or_b32 exec_lo, exec_lo, s19
	v_cmp_ne_u32_e32 vcc_lo, 31, v29
	v_mov_b32_e32 v26, 2
	v_lshlrev_b32_e64 v28, v29, -1
	v_add_nc_u32_e32 v39, 2, v29
	v_add_nc_u32_e32 v41, 4, v29
	v_add_co_ci_u32_e64 v13, null, 0, v29, vcc_lo
	v_cmp_eq_u16_sdwa s19, v17, v26 src0_sel:BYTE_0 src1_sel:DWORD
	v_cmp_gt_u32_e32 vcc_lo, 30, v29
	v_add_nc_u32_e32 v43, 8, v29
	v_lshlrev_b32_e32 v20, 2, v13
	v_lshl_or_b32 v44, v29, 2, 64
	v_and_or_b32 v15, s19, v28, 0x80000000
	v_cndmask_b32_e64 v18, 0, 2, vcc_lo
	v_add_nc_u32_e32 v45, 16, v29
	ds_bpermute_b32 v13, v20, v16
	v_ffbl_b32_e32 v15, v15
	v_add_lshl_u32 v38, v18, v29, 2
	v_cmp_lt_u32_e32 vcc_lo, v29, v15
	s_waitcnt lgkmcnt(0)
	v_cndmask_b32_e32 v13, 0, v13, vcc_lo
	v_cmp_gt_u32_e32 vcc_lo, 28, v29
	v_add_nc_u32_e32 v13, v13, v16
	v_cndmask_b32_e64 v18, 0, 4, vcc_lo
	v_cmp_le_u32_e32 vcc_lo, v39, v15
	ds_bpermute_b32 v16, v38, v13
	v_add_lshl_u32 v40, v18, v29, 2
	s_waitcnt lgkmcnt(0)
	v_cndmask_b32_e32 v16, 0, v16, vcc_lo
	v_cmp_gt_u32_e32 vcc_lo, 24, v29
	v_add_nc_u32_e32 v13, v13, v16
	v_cndmask_b32_e64 v18, 0, 8, vcc_lo
	v_cmp_le_u32_e32 vcc_lo, v41, v15
	ds_bpermute_b32 v16, v40, v13
	v_add_lshl_u32 v42, v18, v29, 2
	s_waitcnt lgkmcnt(0)
	v_cndmask_b32_e32 v16, 0, v16, vcc_lo
	v_cmp_le_u32_e32 vcc_lo, v43, v15
	v_add_nc_u32_e32 v13, v13, v16
	ds_bpermute_b32 v16, v42, v13
	s_waitcnt lgkmcnt(0)
	v_cndmask_b32_e32 v16, 0, v16, vcc_lo
	v_cmp_le_u32_e32 vcc_lo, v45, v15
	v_add_nc_u32_e32 v13, v13, v16
	ds_bpermute_b32 v16, v44, v13
	s_waitcnt lgkmcnt(0)
	v_cndmask_b32_e32 v15, 0, v16, vcc_lo
	v_add_nc_u32_e32 v16, v13, v15
	v_mov_b32_e32 v15, 0
	s_branch .LBB185_63
.LBB185_61:                             ;   in Loop: Header=BB185_63 Depth=1
	s_or_b32 exec_lo, exec_lo, s19
	ds_bpermute_b32 v18, v20, v16
	v_cmp_eq_u16_sdwa s19, v17, v26 src0_sel:BYTE_0 src1_sel:DWORD
	v_subrev_nc_u32_e32 v14, 32, v14
	v_and_or_b32 v19, s19, v28, 0x80000000
	s_mov_b32 s19, 0
	v_ffbl_b32_e32 v19, v19
	v_cmp_lt_u32_e32 vcc_lo, v29, v19
	s_waitcnt lgkmcnt(0)
	v_cndmask_b32_e32 v18, 0, v18, vcc_lo
	v_cmp_le_u32_e32 vcc_lo, v39, v19
	v_add_nc_u32_e32 v16, v18, v16
	ds_bpermute_b32 v18, v38, v16
	s_waitcnt lgkmcnt(0)
	v_cndmask_b32_e32 v18, 0, v18, vcc_lo
	v_cmp_le_u32_e32 vcc_lo, v41, v19
	v_add_nc_u32_e32 v16, v16, v18
	ds_bpermute_b32 v18, v40, v16
	;; [unrolled: 5-line block ×4, first 2 shown]
	s_waitcnt lgkmcnt(0)
	v_cndmask_b32_e32 v18, 0, v18, vcc_lo
	v_add3_u32 v16, v18, v13, v16
.LBB185_62:                             ;   in Loop: Header=BB185_63 Depth=1
	s_and_b32 vcc_lo, exec_lo, s19
	s_cbranch_vccnz .LBB185_68
.LBB185_63:                             ; =>This Loop Header: Depth=1
                                        ;     Child Loop BB185_66 Depth 2
	v_cmp_ne_u16_sdwa s19, v17, v26 src0_sel:BYTE_0 src1_sel:DWORD
	v_mov_b32_e32 v13, v16
                                        ; implicit-def: $vgpr16
                                        ; implicit-def: $vgpr17
	s_cmp_lg_u32 s19, exec_lo
	s_mov_b32 s19, -1
	s_cbranch_scc1 .LBB185_62
; %bb.64:                               ;   in Loop: Header=BB185_63 Depth=1
	v_lshlrev_b64 v[16:17], 3, v[14:15]
	v_add_co_u32 v18, vcc_lo, s16, v16
	v_add_co_ci_u32_e64 v19, null, s17, v17, vcc_lo
	global_load_dwordx2 v[16:17], v[18:19], off glc dlc
	s_waitcnt vmcnt(0)
	v_cmp_eq_u16_sdwa s20, v17, v15 src0_sel:BYTE_0 src1_sel:DWORD
	s_and_saveexec_b32 s19, s20
	s_cbranch_execz .LBB185_61
; %bb.65:                               ;   in Loop: Header=BB185_63 Depth=1
	s_mov_b32 s20, 0
.LBB185_66:                             ;   Parent Loop BB185_63 Depth=1
                                        ; =>  This Inner Loop Header: Depth=2
	global_load_dwordx2 v[16:17], v[18:19], off glc dlc
	s_waitcnt vmcnt(0)
	v_cmp_ne_u16_sdwa s21, v17, v15 src0_sel:BYTE_0 src1_sel:DWORD
	s_or_b32 s20, s21, s20
	s_andn2_b32 exec_lo, exec_lo, s20
	s_cbranch_execnz .LBB185_66
; %bb.67:                               ;   in Loop: Header=BB185_63 Depth=1
	s_or_b32 exec_lo, exec_lo, s20
	s_branch .LBB185_61
.LBB185_68:
	s_and_saveexec_b32 s19, s9
	s_cbranch_execz .LBB185_70
; %bb.69:
	s_add_i32 s20, s6, 32
	s_mov_b32 s21, 0
	v_add_nc_u32_e32 v14, v13, v12
	v_mov_b32_e32 v15, 2
	s_lshl_b64 s[20:21], s[20:21], 3
	v_mov_b32_e32 v16, 0
	s_add_u32 s20, s16, s20
	s_addc_u32 s21, s17, s21
	global_store_dwordx2 v16, v[14:15], s[20:21]
	ds_write_b64 v16, v[12:13] offset:16896
.LBB185_70:
	s_or_b32 exec_lo, exec_lo, s19
	v_cmp_eq_u32_e32 vcc_lo, 0, v0
	s_and_b32 exec_lo, exec_lo, vcc_lo
; %bb.71:
	v_mov_b32_e32 v12, 0
	ds_write_b32 v12, v13 offset:60
.LBB185_72:
	s_or_b32 exec_lo, exec_lo, s10
	v_mov_b32_e32 v12, 0
	s_waitcnt lgkmcnt(0)
	s_waitcnt_vscnt null, 0x0
	s_barrier
	buffer_gl0_inv
	v_cndmask_b32_e64 v14, v24, v22, s9
	ds_read_b32 v13, v12 offset:60
	v_cmp_ne_u32_e32 vcc_lo, 0, v0
	s_waitcnt lgkmcnt(0)
	s_barrier
	buffer_gl0_inv
	s_mov_b32 s9, 0
	v_cndmask_b32_e32 v14, 0, v14, vcc_lo
	v_add_nc_u32_e32 v28, v13, v14
	ds_read_b64 v[12:13], v12 offset:16896
	v_add_nc_u32_sdwa v26, v28, v9 dst_sel:DWORD dst_unused:UNUSED_PAD src0_sel:DWORD src1_sel:BYTE_0
	v_add_nc_u32_sdwa v24, v26, v35 dst_sel:DWORD dst_unused:UNUSED_PAD src0_sel:DWORD src1_sel:BYTE_0
	v_add_nc_u32_e32 v22, v24, v3
	v_add_nc_u32_e32 v20, v22, v21
	;; [unrolled: 1-line block ×5, first 2 shown]
.LBB185_73:
	s_load_dwordx2 s[4:5], s[4:5], 0x28
	s_and_b32 vcc_lo, exec_lo, s9
	s_cbranch_vccz .LBB185_83
; %bb.74:
	s_waitcnt lgkmcnt(0)
	v_mov_b32_dpp v12, v37 row_shr:1 row_mask:0xf bank_mask:0xf
	v_cndmask_b32_e64 v12, v12, 0, s0
	v_add_nc_u32_e32 v12, v12, v37
	v_mov_b32_dpp v13, v12 row_shr:2 row_mask:0xf bank_mask:0xf
	v_cndmask_b32_e64 v13, 0, v13, s2
	v_add_nc_u32_e32 v12, v12, v13
	v_mov_b32_dpp v13, v12 row_shr:4 row_mask:0xf bank_mask:0xf
	v_cndmask_b32_e64 v13, 0, v13, s3
	v_add_nc_u32_e32 v12, v12, v13
	v_mov_b32_dpp v13, v12 row_shr:8 row_mask:0xf bank_mask:0xf
	v_cndmask_b32_e64 v13, 0, v13, s1
	v_add_nc_u32_e32 v12, v12, v13
	ds_swizzle_b32 v13, v12 offset:swizzle(BROADCAST,32,15)
	s_waitcnt lgkmcnt(0)
	v_cndmask_b32_e64 v13, v13, 0, s8
	v_add_nc_u32_e32 v12, v12, v13
	s_and_saveexec_b32 s6, s7
; %bb.75:
	v_lshlrev_b32_e32 v13, 2, v36
	ds_write_b32 v13, v12
; %bb.76:
	s_or_b32 exec_lo, exec_lo, s6
	s_mov_b32 s6, exec_lo
	s_waitcnt lgkmcnt(0)
	s_barrier
	buffer_gl0_inv
	v_cmpx_gt_u32_e32 16, v0
	s_cbranch_execz .LBB185_78
; %bb.77:
	v_lshlrev_b32_e32 v13, 2, v0
	ds_read_b32 v14, v13
	s_waitcnt lgkmcnt(0)
	v_mov_b32_dpp v15, v14 row_shr:1 row_mask:0xf bank_mask:0xf
	v_cndmask_b32_e64 v15, v15, 0, s0
	v_add_nc_u32_e32 v14, v15, v14
	v_mov_b32_dpp v15, v14 row_shr:2 row_mask:0xf bank_mask:0xf
	v_cndmask_b32_e64 v15, 0, v15, s2
	v_add_nc_u32_e32 v14, v14, v15
	v_mov_b32_dpp v15, v14 row_shr:4 row_mask:0xf bank_mask:0xf
	v_cndmask_b32_e64 v15, 0, v15, s3
	v_add_nc_u32_e32 v14, v14, v15
	v_mov_b32_dpp v15, v14 row_shr:8 row_mask:0xf bank_mask:0xf
	v_cndmask_b32_e64 v15, 0, v15, s1
	v_add_nc_u32_e32 v14, v14, v15
	ds_write_b32 v13, v14
.LBB185_78:
	s_or_b32 exec_lo, exec_lo, s6
	v_mov_b32_e32 v13, 0
	v_mov_b32_e32 v14, 0
	s_mov_b32 s0, exec_lo
	s_waitcnt lgkmcnt(0)
	s_barrier
	buffer_gl0_inv
	v_cmpx_lt_u32_e32 31, v0
; %bb.79:
	v_lshl_add_u32 v14, v36, 2, -4
	ds_read_b32 v14, v14
; %bb.80:
	s_or_b32 exec_lo, exec_lo, s0
	v_sub_co_u32 v15, vcc_lo, v29, 1
	s_waitcnt lgkmcnt(0)
	v_add_nc_u32_e32 v12, v14, v12
	v_cmp_gt_i32_e64 s0, 0, v15
	v_cndmask_b32_e64 v15, v15, v29, s0
	v_cmp_eq_u32_e64 s0, 0, v0
	v_lshlrev_b32_e32 v15, 2, v15
	ds_bpermute_b32 v15, v15, v12
	ds_read_b32 v12, v13 offset:60
	s_and_saveexec_b32 s1, s0
	s_cbranch_execz .LBB185_82
; %bb.81:
	v_mov_b32_e32 v16, 0
	v_mov_b32_e32 v13, 2
	s_waitcnt lgkmcnt(0)
	global_store_dwordx2 v16, v[12:13], s[16:17] offset:256
.LBB185_82:
	s_or_b32 exec_lo, exec_lo, s1
	s_waitcnt lgkmcnt(1)
	v_cndmask_b32_e32 v13, v15, v14, vcc_lo
	s_waitcnt lgkmcnt(0)
	s_waitcnt_vscnt null, 0x0
	s_barrier
	buffer_gl0_inv
	v_cndmask_b32_e64 v28, v13, 0, s0
	v_mov_b32_e32 v13, 0
	v_add_nc_u32_sdwa v26, v28, v9 dst_sel:DWORD dst_unused:UNUSED_PAD src0_sel:DWORD src1_sel:BYTE_0
	v_add_nc_u32_sdwa v24, v26, v35 dst_sel:DWORD dst_unused:UNUSED_PAD src0_sel:DWORD src1_sel:BYTE_0
	v_add_nc_u32_e32 v22, v24, v3
	v_add_nc_u32_e32 v20, v22, v21
	;; [unrolled: 1-line block ×5, first 2 shown]
.LBB185_83:
	v_and_b32_e32 v3, 1, v9
	s_waitcnt lgkmcnt(0)
	v_cmp_gt_u32_e32 vcc_lo, 0x201, v12
	s_mov_b32 s1, -1
	v_cmp_eq_u32_e64 s0, 1, v3
	s_cbranch_vccnz .LBB185_87
; %bb.84:
	s_and_b32 vcc_lo, exec_lo, s1
	s_cbranch_vccnz .LBB185_104
.LBB185_85:
	v_cmp_eq_u32_e32 vcc_lo, 0, v0
	s_and_b32 s0, vcc_lo, s11
	s_and_saveexec_b32 s1, s0
	s_cbranch_execnz .LBB185_124
.LBB185_86:
	s_endpgm
.LBB185_87:
	v_add_nc_u32_e32 v9, v13, v12
	s_lshl_b64 s[2:3], s[14:15], 2
	s_add_u32 s1, s4, s2
	s_addc_u32 s2, s5, s3
	v_cmp_lt_u32_e32 vcc_lo, v28, v9
	s_or_b32 s3, s18, vcc_lo
	s_and_b32 s3, s3, s0
	s_and_saveexec_b32 s0, s3
	s_cbranch_execz .LBB185_89
; %bb.88:
	v_mov_b32_e32 v29, 0
	v_lshlrev_b64 v[36:37], 2, v[28:29]
	v_add_co_u32 v36, vcc_lo, s1, v36
	v_add_co_ci_u32_e64 v37, null, s2, v37, vcc_lo
	global_store_dword v[36:37], v7, off
.LBB185_89:
	s_or_b32 exec_lo, exec_lo, s0
	v_and_b32_e32 v15, 1, v35
	v_cmp_lt_u32_e32 vcc_lo, v26, v9
	v_cmp_eq_u32_e64 s0, 1, v15
	s_or_b32 s3, s18, vcc_lo
	s_and_b32 s3, s3, s0
	s_and_saveexec_b32 s0, s3
	s_cbranch_execz .LBB185_91
; %bb.90:
	v_mov_b32_e32 v27, 0
	v_lshlrev_b64 v[36:37], 2, v[26:27]
	v_add_co_u32 v36, vcc_lo, s1, v36
	v_add_co_ci_u32_e64 v37, null, s2, v37, vcc_lo
	global_store_dword v[36:37], v8, off
.LBB185_91:
	s_or_b32 exec_lo, exec_lo, s0
	v_and_b32_e32 v15, 1, v34
	v_cmp_lt_u32_e32 vcc_lo, v24, v9
	v_cmp_eq_u32_e64 s0, 1, v15
	;; [unrolled: 15-line block ×7, first 2 shown]
	s_or_b32 s3, s18, vcc_lo
	s_and_b32 s3, s3, s0
	s_and_saveexec_b32 s0, s3
	s_cbranch_execz .LBB185_103
; %bb.102:
	v_mov_b32_e32 v15, 0
	v_lshlrev_b64 v[36:37], 2, v[14:15]
	v_add_co_u32 v36, vcc_lo, s1, v36
	v_add_co_ci_u32_e64 v37, null, s2, v37, vcc_lo
	global_store_dword v[36:37], v30, off
.LBB185_103:
	s_or_b32 exec_lo, exec_lo, s0
	s_branch .LBB185_85
.LBB185_104:
	s_mov_b32 s0, exec_lo
	v_cmpx_eq_u32_e32 1, v3
; %bb.105:
	v_sub_nc_u32_e32 v3, v28, v13
	v_lshlrev_b32_e32 v3, 2, v3
	ds_write_b32 v3, v7
; %bb.106:
	s_or_b32 exec_lo, exec_lo, s0
	v_and_b32_e32 v3, 1, v35
	s_mov_b32 s0, exec_lo
	v_cmpx_eq_u32_e32 1, v3
; %bb.107:
	v_sub_nc_u32_e32 v3, v26, v13
	v_lshlrev_b32_e32 v3, 2, v3
	ds_write_b32 v3, v8
; %bb.108:
	s_or_b32 exec_lo, exec_lo, s0
	v_and_b32_e32 v3, 1, v34
	;; [unrolled: 9-line block ×7, first 2 shown]
	s_mov_b32 s0, exec_lo
	v_cmpx_eq_u32_e32 1, v1
; %bb.119:
	v_sub_nc_u32_e32 v1, v14, v13
	v_lshlrev_b32_e32 v1, 2, v1
	ds_write_b32 v1, v30
; %bb.120:
	s_or_b32 exec_lo, exec_lo, s0
	s_mov_b32 s1, exec_lo
	s_waitcnt lgkmcnt(0)
	s_waitcnt_vscnt null, 0x0
	s_barrier
	buffer_gl0_inv
	v_cmpx_lt_u32_e64 v0, v12
	s_cbranch_execz .LBB185_123
; %bb.121:
	v_mov_b32_e32 v2, 0
	v_mov_b32_e32 v1, v13
	s_lshl_b64 s[2:3], s[14:15], 2
	v_lshlrev_b32_e32 v3, 2, v0
	v_mov_b32_e32 v4, v0
	v_lshlrev_b64 v[1:2], 2, v[1:2]
	v_add_co_u32 v1, vcc_lo, s2, v1
	v_add_co_ci_u32_e64 v2, null, s3, v2, vcc_lo
	s_mov_b32 s2, 0
	v_add_co_u32 v1, vcc_lo, s4, v1
	v_add_co_ci_u32_e64 v2, null, s5, v2, vcc_lo
	v_add_co_u32 v1, vcc_lo, v1, v3
	v_add_co_ci_u32_e64 v2, null, 0, v2, vcc_lo
	.p2align	6
.LBB185_122:                            ; =>This Inner Loop Header: Depth=1
	ds_read_b32 v5, v3
	v_add_nc_u32_e32 v4, 0x200, v4
	v_add_nc_u32_e32 v3, 0x800, v3
	v_cmp_ge_u32_e32 vcc_lo, v4, v12
	s_or_b32 s2, vcc_lo, s2
	s_waitcnt lgkmcnt(0)
	global_store_dword v[1:2], v5, off
	v_add_co_u32 v1, s0, 0x800, v1
	v_add_co_ci_u32_e64 v2, null, 0, v2, s0
	s_andn2_b32 exec_lo, exec_lo, s2
	s_cbranch_execnz .LBB185_122
.LBB185_123:
	s_or_b32 exec_lo, exec_lo, s1
	v_cmp_eq_u32_e32 vcc_lo, 0, v0
	s_and_b32 s0, vcc_lo, s11
	s_and_saveexec_b32 s1, s0
	s_cbranch_execz .LBB185_86
.LBB185_124:
	v_add_co_u32 v0, s0, s14, v12
	v_add_co_ci_u32_e64 v1, null, s15, 0, s0
	v_mov_b32_e32 v2, 0
	v_add_co_u32 v0, vcc_lo, v0, v13
	v_add_co_ci_u32_e64 v1, null, 0, v1, vcc_lo
	global_store_dwordx2 v2, v[0:1], s[12:13]
	s_endpgm
	.section	.rodata,"a",@progbits
	.p2align	6, 0x0
	.amdhsa_kernel _ZN7rocprim17ROCPRIM_400000_NS6detail17trampoline_kernelINS0_14default_configENS1_25partition_config_selectorILNS1_17partition_subalgoE8EiNS0_10empty_typeEbEEZZNS1_14partition_implILS5_8ELb0ES3_jPKiPS6_PKS6_NS0_5tupleIJPiS6_EEENSE_IJSB_SB_EEENS0_18inequality_wrapperIN6hipcub16HIPCUB_304000_NS8EqualityEEEPlJS6_EEE10hipError_tPvRmT3_T4_T5_T6_T7_T9_mT8_P12ihipStream_tbDpT10_ENKUlT_T0_E_clISt17integral_constantIbLb0EES17_EEDaS12_S13_EUlS12_E_NS1_11comp_targetILNS1_3genE8ELNS1_11target_archE1030ELNS1_3gpuE2ELNS1_3repE0EEENS1_30default_config_static_selectorELNS0_4arch9wavefront6targetE0EEEvT1_
		.amdhsa_group_segment_fixed_size 16904
		.amdhsa_private_segment_fixed_size 0
		.amdhsa_kernarg_size 112
		.amdhsa_user_sgpr_count 6
		.amdhsa_user_sgpr_private_segment_buffer 1
		.amdhsa_user_sgpr_dispatch_ptr 0
		.amdhsa_user_sgpr_queue_ptr 0
		.amdhsa_user_sgpr_kernarg_segment_ptr 1
		.amdhsa_user_sgpr_dispatch_id 0
		.amdhsa_user_sgpr_flat_scratch_init 0
		.amdhsa_user_sgpr_private_segment_size 0
		.amdhsa_wavefront_size32 1
		.amdhsa_uses_dynamic_stack 0
		.amdhsa_system_sgpr_private_segment_wavefront_offset 0
		.amdhsa_system_sgpr_workgroup_id_x 1
		.amdhsa_system_sgpr_workgroup_id_y 0
		.amdhsa_system_sgpr_workgroup_id_z 0
		.amdhsa_system_sgpr_workgroup_info 0
		.amdhsa_system_vgpr_workitem_id 0
		.amdhsa_next_free_vgpr 46
		.amdhsa_next_free_sgpr 22
		.amdhsa_reserve_vcc 1
		.amdhsa_reserve_flat_scratch 0
		.amdhsa_float_round_mode_32 0
		.amdhsa_float_round_mode_16_64 0
		.amdhsa_float_denorm_mode_32 3
		.amdhsa_float_denorm_mode_16_64 3
		.amdhsa_dx10_clamp 1
		.amdhsa_ieee_mode 1
		.amdhsa_fp16_overflow 0
		.amdhsa_workgroup_processor_mode 1
		.amdhsa_memory_ordered 1
		.amdhsa_forward_progress 1
		.amdhsa_shared_vgpr_count 0
		.amdhsa_exception_fp_ieee_invalid_op 0
		.amdhsa_exception_fp_denorm_src 0
		.amdhsa_exception_fp_ieee_div_zero 0
		.amdhsa_exception_fp_ieee_overflow 0
		.amdhsa_exception_fp_ieee_underflow 0
		.amdhsa_exception_fp_ieee_inexact 0
		.amdhsa_exception_int_div_zero 0
	.end_amdhsa_kernel
	.section	.text._ZN7rocprim17ROCPRIM_400000_NS6detail17trampoline_kernelINS0_14default_configENS1_25partition_config_selectorILNS1_17partition_subalgoE8EiNS0_10empty_typeEbEEZZNS1_14partition_implILS5_8ELb0ES3_jPKiPS6_PKS6_NS0_5tupleIJPiS6_EEENSE_IJSB_SB_EEENS0_18inequality_wrapperIN6hipcub16HIPCUB_304000_NS8EqualityEEEPlJS6_EEE10hipError_tPvRmT3_T4_T5_T6_T7_T9_mT8_P12ihipStream_tbDpT10_ENKUlT_T0_E_clISt17integral_constantIbLb0EES17_EEDaS12_S13_EUlS12_E_NS1_11comp_targetILNS1_3genE8ELNS1_11target_archE1030ELNS1_3gpuE2ELNS1_3repE0EEENS1_30default_config_static_selectorELNS0_4arch9wavefront6targetE0EEEvT1_,"axG",@progbits,_ZN7rocprim17ROCPRIM_400000_NS6detail17trampoline_kernelINS0_14default_configENS1_25partition_config_selectorILNS1_17partition_subalgoE8EiNS0_10empty_typeEbEEZZNS1_14partition_implILS5_8ELb0ES3_jPKiPS6_PKS6_NS0_5tupleIJPiS6_EEENSE_IJSB_SB_EEENS0_18inequality_wrapperIN6hipcub16HIPCUB_304000_NS8EqualityEEEPlJS6_EEE10hipError_tPvRmT3_T4_T5_T6_T7_T9_mT8_P12ihipStream_tbDpT10_ENKUlT_T0_E_clISt17integral_constantIbLb0EES17_EEDaS12_S13_EUlS12_E_NS1_11comp_targetILNS1_3genE8ELNS1_11target_archE1030ELNS1_3gpuE2ELNS1_3repE0EEENS1_30default_config_static_selectorELNS0_4arch9wavefront6targetE0EEEvT1_,comdat
.Lfunc_end185:
	.size	_ZN7rocprim17ROCPRIM_400000_NS6detail17trampoline_kernelINS0_14default_configENS1_25partition_config_selectorILNS1_17partition_subalgoE8EiNS0_10empty_typeEbEEZZNS1_14partition_implILS5_8ELb0ES3_jPKiPS6_PKS6_NS0_5tupleIJPiS6_EEENSE_IJSB_SB_EEENS0_18inequality_wrapperIN6hipcub16HIPCUB_304000_NS8EqualityEEEPlJS6_EEE10hipError_tPvRmT3_T4_T5_T6_T7_T9_mT8_P12ihipStream_tbDpT10_ENKUlT_T0_E_clISt17integral_constantIbLb0EES17_EEDaS12_S13_EUlS12_E_NS1_11comp_targetILNS1_3genE8ELNS1_11target_archE1030ELNS1_3gpuE2ELNS1_3repE0EEENS1_30default_config_static_selectorELNS0_4arch9wavefront6targetE0EEEvT1_, .Lfunc_end185-_ZN7rocprim17ROCPRIM_400000_NS6detail17trampoline_kernelINS0_14default_configENS1_25partition_config_selectorILNS1_17partition_subalgoE8EiNS0_10empty_typeEbEEZZNS1_14partition_implILS5_8ELb0ES3_jPKiPS6_PKS6_NS0_5tupleIJPiS6_EEENSE_IJSB_SB_EEENS0_18inequality_wrapperIN6hipcub16HIPCUB_304000_NS8EqualityEEEPlJS6_EEE10hipError_tPvRmT3_T4_T5_T6_T7_T9_mT8_P12ihipStream_tbDpT10_ENKUlT_T0_E_clISt17integral_constantIbLb0EES17_EEDaS12_S13_EUlS12_E_NS1_11comp_targetILNS1_3genE8ELNS1_11target_archE1030ELNS1_3gpuE2ELNS1_3repE0EEENS1_30default_config_static_selectorELNS0_4arch9wavefront6targetE0EEEvT1_
                                        ; -- End function
	.set _ZN7rocprim17ROCPRIM_400000_NS6detail17trampoline_kernelINS0_14default_configENS1_25partition_config_selectorILNS1_17partition_subalgoE8EiNS0_10empty_typeEbEEZZNS1_14partition_implILS5_8ELb0ES3_jPKiPS6_PKS6_NS0_5tupleIJPiS6_EEENSE_IJSB_SB_EEENS0_18inequality_wrapperIN6hipcub16HIPCUB_304000_NS8EqualityEEEPlJS6_EEE10hipError_tPvRmT3_T4_T5_T6_T7_T9_mT8_P12ihipStream_tbDpT10_ENKUlT_T0_E_clISt17integral_constantIbLb0EES17_EEDaS12_S13_EUlS12_E_NS1_11comp_targetILNS1_3genE8ELNS1_11target_archE1030ELNS1_3gpuE2ELNS1_3repE0EEENS1_30default_config_static_selectorELNS0_4arch9wavefront6targetE0EEEvT1_.num_vgpr, 46
	.set _ZN7rocprim17ROCPRIM_400000_NS6detail17trampoline_kernelINS0_14default_configENS1_25partition_config_selectorILNS1_17partition_subalgoE8EiNS0_10empty_typeEbEEZZNS1_14partition_implILS5_8ELb0ES3_jPKiPS6_PKS6_NS0_5tupleIJPiS6_EEENSE_IJSB_SB_EEENS0_18inequality_wrapperIN6hipcub16HIPCUB_304000_NS8EqualityEEEPlJS6_EEE10hipError_tPvRmT3_T4_T5_T6_T7_T9_mT8_P12ihipStream_tbDpT10_ENKUlT_T0_E_clISt17integral_constantIbLb0EES17_EEDaS12_S13_EUlS12_E_NS1_11comp_targetILNS1_3genE8ELNS1_11target_archE1030ELNS1_3gpuE2ELNS1_3repE0EEENS1_30default_config_static_selectorELNS0_4arch9wavefront6targetE0EEEvT1_.num_agpr, 0
	.set _ZN7rocprim17ROCPRIM_400000_NS6detail17trampoline_kernelINS0_14default_configENS1_25partition_config_selectorILNS1_17partition_subalgoE8EiNS0_10empty_typeEbEEZZNS1_14partition_implILS5_8ELb0ES3_jPKiPS6_PKS6_NS0_5tupleIJPiS6_EEENSE_IJSB_SB_EEENS0_18inequality_wrapperIN6hipcub16HIPCUB_304000_NS8EqualityEEEPlJS6_EEE10hipError_tPvRmT3_T4_T5_T6_T7_T9_mT8_P12ihipStream_tbDpT10_ENKUlT_T0_E_clISt17integral_constantIbLb0EES17_EEDaS12_S13_EUlS12_E_NS1_11comp_targetILNS1_3genE8ELNS1_11target_archE1030ELNS1_3gpuE2ELNS1_3repE0EEENS1_30default_config_static_selectorELNS0_4arch9wavefront6targetE0EEEvT1_.numbered_sgpr, 22
	.set _ZN7rocprim17ROCPRIM_400000_NS6detail17trampoline_kernelINS0_14default_configENS1_25partition_config_selectorILNS1_17partition_subalgoE8EiNS0_10empty_typeEbEEZZNS1_14partition_implILS5_8ELb0ES3_jPKiPS6_PKS6_NS0_5tupleIJPiS6_EEENSE_IJSB_SB_EEENS0_18inequality_wrapperIN6hipcub16HIPCUB_304000_NS8EqualityEEEPlJS6_EEE10hipError_tPvRmT3_T4_T5_T6_T7_T9_mT8_P12ihipStream_tbDpT10_ENKUlT_T0_E_clISt17integral_constantIbLb0EES17_EEDaS12_S13_EUlS12_E_NS1_11comp_targetILNS1_3genE8ELNS1_11target_archE1030ELNS1_3gpuE2ELNS1_3repE0EEENS1_30default_config_static_selectorELNS0_4arch9wavefront6targetE0EEEvT1_.num_named_barrier, 0
	.set _ZN7rocprim17ROCPRIM_400000_NS6detail17trampoline_kernelINS0_14default_configENS1_25partition_config_selectorILNS1_17partition_subalgoE8EiNS0_10empty_typeEbEEZZNS1_14partition_implILS5_8ELb0ES3_jPKiPS6_PKS6_NS0_5tupleIJPiS6_EEENSE_IJSB_SB_EEENS0_18inequality_wrapperIN6hipcub16HIPCUB_304000_NS8EqualityEEEPlJS6_EEE10hipError_tPvRmT3_T4_T5_T6_T7_T9_mT8_P12ihipStream_tbDpT10_ENKUlT_T0_E_clISt17integral_constantIbLb0EES17_EEDaS12_S13_EUlS12_E_NS1_11comp_targetILNS1_3genE8ELNS1_11target_archE1030ELNS1_3gpuE2ELNS1_3repE0EEENS1_30default_config_static_selectorELNS0_4arch9wavefront6targetE0EEEvT1_.private_seg_size, 0
	.set _ZN7rocprim17ROCPRIM_400000_NS6detail17trampoline_kernelINS0_14default_configENS1_25partition_config_selectorILNS1_17partition_subalgoE8EiNS0_10empty_typeEbEEZZNS1_14partition_implILS5_8ELb0ES3_jPKiPS6_PKS6_NS0_5tupleIJPiS6_EEENSE_IJSB_SB_EEENS0_18inequality_wrapperIN6hipcub16HIPCUB_304000_NS8EqualityEEEPlJS6_EEE10hipError_tPvRmT3_T4_T5_T6_T7_T9_mT8_P12ihipStream_tbDpT10_ENKUlT_T0_E_clISt17integral_constantIbLb0EES17_EEDaS12_S13_EUlS12_E_NS1_11comp_targetILNS1_3genE8ELNS1_11target_archE1030ELNS1_3gpuE2ELNS1_3repE0EEENS1_30default_config_static_selectorELNS0_4arch9wavefront6targetE0EEEvT1_.uses_vcc, 1
	.set _ZN7rocprim17ROCPRIM_400000_NS6detail17trampoline_kernelINS0_14default_configENS1_25partition_config_selectorILNS1_17partition_subalgoE8EiNS0_10empty_typeEbEEZZNS1_14partition_implILS5_8ELb0ES3_jPKiPS6_PKS6_NS0_5tupleIJPiS6_EEENSE_IJSB_SB_EEENS0_18inequality_wrapperIN6hipcub16HIPCUB_304000_NS8EqualityEEEPlJS6_EEE10hipError_tPvRmT3_T4_T5_T6_T7_T9_mT8_P12ihipStream_tbDpT10_ENKUlT_T0_E_clISt17integral_constantIbLb0EES17_EEDaS12_S13_EUlS12_E_NS1_11comp_targetILNS1_3genE8ELNS1_11target_archE1030ELNS1_3gpuE2ELNS1_3repE0EEENS1_30default_config_static_selectorELNS0_4arch9wavefront6targetE0EEEvT1_.uses_flat_scratch, 0
	.set _ZN7rocprim17ROCPRIM_400000_NS6detail17trampoline_kernelINS0_14default_configENS1_25partition_config_selectorILNS1_17partition_subalgoE8EiNS0_10empty_typeEbEEZZNS1_14partition_implILS5_8ELb0ES3_jPKiPS6_PKS6_NS0_5tupleIJPiS6_EEENSE_IJSB_SB_EEENS0_18inequality_wrapperIN6hipcub16HIPCUB_304000_NS8EqualityEEEPlJS6_EEE10hipError_tPvRmT3_T4_T5_T6_T7_T9_mT8_P12ihipStream_tbDpT10_ENKUlT_T0_E_clISt17integral_constantIbLb0EES17_EEDaS12_S13_EUlS12_E_NS1_11comp_targetILNS1_3genE8ELNS1_11target_archE1030ELNS1_3gpuE2ELNS1_3repE0EEENS1_30default_config_static_selectorELNS0_4arch9wavefront6targetE0EEEvT1_.has_dyn_sized_stack, 0
	.set _ZN7rocprim17ROCPRIM_400000_NS6detail17trampoline_kernelINS0_14default_configENS1_25partition_config_selectorILNS1_17partition_subalgoE8EiNS0_10empty_typeEbEEZZNS1_14partition_implILS5_8ELb0ES3_jPKiPS6_PKS6_NS0_5tupleIJPiS6_EEENSE_IJSB_SB_EEENS0_18inequality_wrapperIN6hipcub16HIPCUB_304000_NS8EqualityEEEPlJS6_EEE10hipError_tPvRmT3_T4_T5_T6_T7_T9_mT8_P12ihipStream_tbDpT10_ENKUlT_T0_E_clISt17integral_constantIbLb0EES17_EEDaS12_S13_EUlS12_E_NS1_11comp_targetILNS1_3genE8ELNS1_11target_archE1030ELNS1_3gpuE2ELNS1_3repE0EEENS1_30default_config_static_selectorELNS0_4arch9wavefront6targetE0EEEvT1_.has_recursion, 0
	.set _ZN7rocprim17ROCPRIM_400000_NS6detail17trampoline_kernelINS0_14default_configENS1_25partition_config_selectorILNS1_17partition_subalgoE8EiNS0_10empty_typeEbEEZZNS1_14partition_implILS5_8ELb0ES3_jPKiPS6_PKS6_NS0_5tupleIJPiS6_EEENSE_IJSB_SB_EEENS0_18inequality_wrapperIN6hipcub16HIPCUB_304000_NS8EqualityEEEPlJS6_EEE10hipError_tPvRmT3_T4_T5_T6_T7_T9_mT8_P12ihipStream_tbDpT10_ENKUlT_T0_E_clISt17integral_constantIbLb0EES17_EEDaS12_S13_EUlS12_E_NS1_11comp_targetILNS1_3genE8ELNS1_11target_archE1030ELNS1_3gpuE2ELNS1_3repE0EEENS1_30default_config_static_selectorELNS0_4arch9wavefront6targetE0EEEvT1_.has_indirect_call, 0
	.section	.AMDGPU.csdata,"",@progbits
; Kernel info:
; codeLenInByte = 6220
; TotalNumSgprs: 24
; NumVgprs: 46
; ScratchSize: 0
; MemoryBound: 0
; FloatMode: 240
; IeeeMode: 1
; LDSByteSize: 16904 bytes/workgroup (compile time only)
; SGPRBlocks: 0
; VGPRBlocks: 5
; NumSGPRsForWavesPerEU: 24
; NumVGPRsForWavesPerEU: 46
; Occupancy: 16
; WaveLimiterHint : 1
; COMPUTE_PGM_RSRC2:SCRATCH_EN: 0
; COMPUTE_PGM_RSRC2:USER_SGPR: 6
; COMPUTE_PGM_RSRC2:TRAP_HANDLER: 0
; COMPUTE_PGM_RSRC2:TGID_X_EN: 1
; COMPUTE_PGM_RSRC2:TGID_Y_EN: 0
; COMPUTE_PGM_RSRC2:TGID_Z_EN: 0
; COMPUTE_PGM_RSRC2:TIDIG_COMP_CNT: 0
	.section	.text._ZN7rocprim17ROCPRIM_400000_NS6detail17trampoline_kernelINS0_14default_configENS1_25transform_config_selectorImLb1EEEZNS1_14transform_implILb1ES3_S5_PmPlNS0_8identityIvEEEE10hipError_tT2_T3_mT4_P12ihipStream_tbEUlT_E_NS1_11comp_targetILNS1_3genE0ELNS1_11target_archE4294967295ELNS1_3gpuE0ELNS1_3repE0EEENS1_30default_config_static_selectorELNS0_4arch9wavefront6targetE0EEEvT1_,"axG",@progbits,_ZN7rocprim17ROCPRIM_400000_NS6detail17trampoline_kernelINS0_14default_configENS1_25transform_config_selectorImLb1EEEZNS1_14transform_implILb1ES3_S5_PmPlNS0_8identityIvEEEE10hipError_tT2_T3_mT4_P12ihipStream_tbEUlT_E_NS1_11comp_targetILNS1_3genE0ELNS1_11target_archE4294967295ELNS1_3gpuE0ELNS1_3repE0EEENS1_30default_config_static_selectorELNS0_4arch9wavefront6targetE0EEEvT1_,comdat
	.protected	_ZN7rocprim17ROCPRIM_400000_NS6detail17trampoline_kernelINS0_14default_configENS1_25transform_config_selectorImLb1EEEZNS1_14transform_implILb1ES3_S5_PmPlNS0_8identityIvEEEE10hipError_tT2_T3_mT4_P12ihipStream_tbEUlT_E_NS1_11comp_targetILNS1_3genE0ELNS1_11target_archE4294967295ELNS1_3gpuE0ELNS1_3repE0EEENS1_30default_config_static_selectorELNS0_4arch9wavefront6targetE0EEEvT1_ ; -- Begin function _ZN7rocprim17ROCPRIM_400000_NS6detail17trampoline_kernelINS0_14default_configENS1_25transform_config_selectorImLb1EEEZNS1_14transform_implILb1ES3_S5_PmPlNS0_8identityIvEEEE10hipError_tT2_T3_mT4_P12ihipStream_tbEUlT_E_NS1_11comp_targetILNS1_3genE0ELNS1_11target_archE4294967295ELNS1_3gpuE0ELNS1_3repE0EEENS1_30default_config_static_selectorELNS0_4arch9wavefront6targetE0EEEvT1_
	.globl	_ZN7rocprim17ROCPRIM_400000_NS6detail17trampoline_kernelINS0_14default_configENS1_25transform_config_selectorImLb1EEEZNS1_14transform_implILb1ES3_S5_PmPlNS0_8identityIvEEEE10hipError_tT2_T3_mT4_P12ihipStream_tbEUlT_E_NS1_11comp_targetILNS1_3genE0ELNS1_11target_archE4294967295ELNS1_3gpuE0ELNS1_3repE0EEENS1_30default_config_static_selectorELNS0_4arch9wavefront6targetE0EEEvT1_
	.p2align	8
	.type	_ZN7rocprim17ROCPRIM_400000_NS6detail17trampoline_kernelINS0_14default_configENS1_25transform_config_selectorImLb1EEEZNS1_14transform_implILb1ES3_S5_PmPlNS0_8identityIvEEEE10hipError_tT2_T3_mT4_P12ihipStream_tbEUlT_E_NS1_11comp_targetILNS1_3genE0ELNS1_11target_archE4294967295ELNS1_3gpuE0ELNS1_3repE0EEENS1_30default_config_static_selectorELNS0_4arch9wavefront6targetE0EEEvT1_,@function
_ZN7rocprim17ROCPRIM_400000_NS6detail17trampoline_kernelINS0_14default_configENS1_25transform_config_selectorImLb1EEEZNS1_14transform_implILb1ES3_S5_PmPlNS0_8identityIvEEEE10hipError_tT2_T3_mT4_P12ihipStream_tbEUlT_E_NS1_11comp_targetILNS1_3genE0ELNS1_11target_archE4294967295ELNS1_3gpuE0ELNS1_3repE0EEENS1_30default_config_static_selectorELNS0_4arch9wavefront6targetE0EEEvT1_: ; @_ZN7rocprim17ROCPRIM_400000_NS6detail17trampoline_kernelINS0_14default_configENS1_25transform_config_selectorImLb1EEEZNS1_14transform_implILb1ES3_S5_PmPlNS0_8identityIvEEEE10hipError_tT2_T3_mT4_P12ihipStream_tbEUlT_E_NS1_11comp_targetILNS1_3genE0ELNS1_11target_archE4294967295ELNS1_3gpuE0ELNS1_3repE0EEENS1_30default_config_static_selectorELNS0_4arch9wavefront6targetE0EEEvT1_
; %bb.0:
	.section	.rodata,"a",@progbits
	.p2align	6, 0x0
	.amdhsa_kernel _ZN7rocprim17ROCPRIM_400000_NS6detail17trampoline_kernelINS0_14default_configENS1_25transform_config_selectorImLb1EEEZNS1_14transform_implILb1ES3_S5_PmPlNS0_8identityIvEEEE10hipError_tT2_T3_mT4_P12ihipStream_tbEUlT_E_NS1_11comp_targetILNS1_3genE0ELNS1_11target_archE4294967295ELNS1_3gpuE0ELNS1_3repE0EEENS1_30default_config_static_selectorELNS0_4arch9wavefront6targetE0EEEvT1_
		.amdhsa_group_segment_fixed_size 0
		.amdhsa_private_segment_fixed_size 0
		.amdhsa_kernarg_size 40
		.amdhsa_user_sgpr_count 6
		.amdhsa_user_sgpr_private_segment_buffer 1
		.amdhsa_user_sgpr_dispatch_ptr 0
		.amdhsa_user_sgpr_queue_ptr 0
		.amdhsa_user_sgpr_kernarg_segment_ptr 1
		.amdhsa_user_sgpr_dispatch_id 0
		.amdhsa_user_sgpr_flat_scratch_init 0
		.amdhsa_user_sgpr_private_segment_size 0
		.amdhsa_wavefront_size32 1
		.amdhsa_uses_dynamic_stack 0
		.amdhsa_system_sgpr_private_segment_wavefront_offset 0
		.amdhsa_system_sgpr_workgroup_id_x 1
		.amdhsa_system_sgpr_workgroup_id_y 0
		.amdhsa_system_sgpr_workgroup_id_z 0
		.amdhsa_system_sgpr_workgroup_info 0
		.amdhsa_system_vgpr_workitem_id 0
		.amdhsa_next_free_vgpr 1
		.amdhsa_next_free_sgpr 1
		.amdhsa_reserve_vcc 0
		.amdhsa_reserve_flat_scratch 0
		.amdhsa_float_round_mode_32 0
		.amdhsa_float_round_mode_16_64 0
		.amdhsa_float_denorm_mode_32 3
		.amdhsa_float_denorm_mode_16_64 3
		.amdhsa_dx10_clamp 1
		.amdhsa_ieee_mode 1
		.amdhsa_fp16_overflow 0
		.amdhsa_workgroup_processor_mode 1
		.amdhsa_memory_ordered 1
		.amdhsa_forward_progress 1
		.amdhsa_shared_vgpr_count 0
		.amdhsa_exception_fp_ieee_invalid_op 0
		.amdhsa_exception_fp_denorm_src 0
		.amdhsa_exception_fp_ieee_div_zero 0
		.amdhsa_exception_fp_ieee_overflow 0
		.amdhsa_exception_fp_ieee_underflow 0
		.amdhsa_exception_fp_ieee_inexact 0
		.amdhsa_exception_int_div_zero 0
	.end_amdhsa_kernel
	.section	.text._ZN7rocprim17ROCPRIM_400000_NS6detail17trampoline_kernelINS0_14default_configENS1_25transform_config_selectorImLb1EEEZNS1_14transform_implILb1ES3_S5_PmPlNS0_8identityIvEEEE10hipError_tT2_T3_mT4_P12ihipStream_tbEUlT_E_NS1_11comp_targetILNS1_3genE0ELNS1_11target_archE4294967295ELNS1_3gpuE0ELNS1_3repE0EEENS1_30default_config_static_selectorELNS0_4arch9wavefront6targetE0EEEvT1_,"axG",@progbits,_ZN7rocprim17ROCPRIM_400000_NS6detail17trampoline_kernelINS0_14default_configENS1_25transform_config_selectorImLb1EEEZNS1_14transform_implILb1ES3_S5_PmPlNS0_8identityIvEEEE10hipError_tT2_T3_mT4_P12ihipStream_tbEUlT_E_NS1_11comp_targetILNS1_3genE0ELNS1_11target_archE4294967295ELNS1_3gpuE0ELNS1_3repE0EEENS1_30default_config_static_selectorELNS0_4arch9wavefront6targetE0EEEvT1_,comdat
.Lfunc_end186:
	.size	_ZN7rocprim17ROCPRIM_400000_NS6detail17trampoline_kernelINS0_14default_configENS1_25transform_config_selectorImLb1EEEZNS1_14transform_implILb1ES3_S5_PmPlNS0_8identityIvEEEE10hipError_tT2_T3_mT4_P12ihipStream_tbEUlT_E_NS1_11comp_targetILNS1_3genE0ELNS1_11target_archE4294967295ELNS1_3gpuE0ELNS1_3repE0EEENS1_30default_config_static_selectorELNS0_4arch9wavefront6targetE0EEEvT1_, .Lfunc_end186-_ZN7rocprim17ROCPRIM_400000_NS6detail17trampoline_kernelINS0_14default_configENS1_25transform_config_selectorImLb1EEEZNS1_14transform_implILb1ES3_S5_PmPlNS0_8identityIvEEEE10hipError_tT2_T3_mT4_P12ihipStream_tbEUlT_E_NS1_11comp_targetILNS1_3genE0ELNS1_11target_archE4294967295ELNS1_3gpuE0ELNS1_3repE0EEENS1_30default_config_static_selectorELNS0_4arch9wavefront6targetE0EEEvT1_
                                        ; -- End function
	.set _ZN7rocprim17ROCPRIM_400000_NS6detail17trampoline_kernelINS0_14default_configENS1_25transform_config_selectorImLb1EEEZNS1_14transform_implILb1ES3_S5_PmPlNS0_8identityIvEEEE10hipError_tT2_T3_mT4_P12ihipStream_tbEUlT_E_NS1_11comp_targetILNS1_3genE0ELNS1_11target_archE4294967295ELNS1_3gpuE0ELNS1_3repE0EEENS1_30default_config_static_selectorELNS0_4arch9wavefront6targetE0EEEvT1_.num_vgpr, 0
	.set _ZN7rocprim17ROCPRIM_400000_NS6detail17trampoline_kernelINS0_14default_configENS1_25transform_config_selectorImLb1EEEZNS1_14transform_implILb1ES3_S5_PmPlNS0_8identityIvEEEE10hipError_tT2_T3_mT4_P12ihipStream_tbEUlT_E_NS1_11comp_targetILNS1_3genE0ELNS1_11target_archE4294967295ELNS1_3gpuE0ELNS1_3repE0EEENS1_30default_config_static_selectorELNS0_4arch9wavefront6targetE0EEEvT1_.num_agpr, 0
	.set _ZN7rocprim17ROCPRIM_400000_NS6detail17trampoline_kernelINS0_14default_configENS1_25transform_config_selectorImLb1EEEZNS1_14transform_implILb1ES3_S5_PmPlNS0_8identityIvEEEE10hipError_tT2_T3_mT4_P12ihipStream_tbEUlT_E_NS1_11comp_targetILNS1_3genE0ELNS1_11target_archE4294967295ELNS1_3gpuE0ELNS1_3repE0EEENS1_30default_config_static_selectorELNS0_4arch9wavefront6targetE0EEEvT1_.numbered_sgpr, 0
	.set _ZN7rocprim17ROCPRIM_400000_NS6detail17trampoline_kernelINS0_14default_configENS1_25transform_config_selectorImLb1EEEZNS1_14transform_implILb1ES3_S5_PmPlNS0_8identityIvEEEE10hipError_tT2_T3_mT4_P12ihipStream_tbEUlT_E_NS1_11comp_targetILNS1_3genE0ELNS1_11target_archE4294967295ELNS1_3gpuE0ELNS1_3repE0EEENS1_30default_config_static_selectorELNS0_4arch9wavefront6targetE0EEEvT1_.num_named_barrier, 0
	.set _ZN7rocprim17ROCPRIM_400000_NS6detail17trampoline_kernelINS0_14default_configENS1_25transform_config_selectorImLb1EEEZNS1_14transform_implILb1ES3_S5_PmPlNS0_8identityIvEEEE10hipError_tT2_T3_mT4_P12ihipStream_tbEUlT_E_NS1_11comp_targetILNS1_3genE0ELNS1_11target_archE4294967295ELNS1_3gpuE0ELNS1_3repE0EEENS1_30default_config_static_selectorELNS0_4arch9wavefront6targetE0EEEvT1_.private_seg_size, 0
	.set _ZN7rocprim17ROCPRIM_400000_NS6detail17trampoline_kernelINS0_14default_configENS1_25transform_config_selectorImLb1EEEZNS1_14transform_implILb1ES3_S5_PmPlNS0_8identityIvEEEE10hipError_tT2_T3_mT4_P12ihipStream_tbEUlT_E_NS1_11comp_targetILNS1_3genE0ELNS1_11target_archE4294967295ELNS1_3gpuE0ELNS1_3repE0EEENS1_30default_config_static_selectorELNS0_4arch9wavefront6targetE0EEEvT1_.uses_vcc, 0
	.set _ZN7rocprim17ROCPRIM_400000_NS6detail17trampoline_kernelINS0_14default_configENS1_25transform_config_selectorImLb1EEEZNS1_14transform_implILb1ES3_S5_PmPlNS0_8identityIvEEEE10hipError_tT2_T3_mT4_P12ihipStream_tbEUlT_E_NS1_11comp_targetILNS1_3genE0ELNS1_11target_archE4294967295ELNS1_3gpuE0ELNS1_3repE0EEENS1_30default_config_static_selectorELNS0_4arch9wavefront6targetE0EEEvT1_.uses_flat_scratch, 0
	.set _ZN7rocprim17ROCPRIM_400000_NS6detail17trampoline_kernelINS0_14default_configENS1_25transform_config_selectorImLb1EEEZNS1_14transform_implILb1ES3_S5_PmPlNS0_8identityIvEEEE10hipError_tT2_T3_mT4_P12ihipStream_tbEUlT_E_NS1_11comp_targetILNS1_3genE0ELNS1_11target_archE4294967295ELNS1_3gpuE0ELNS1_3repE0EEENS1_30default_config_static_selectorELNS0_4arch9wavefront6targetE0EEEvT1_.has_dyn_sized_stack, 0
	.set _ZN7rocprim17ROCPRIM_400000_NS6detail17trampoline_kernelINS0_14default_configENS1_25transform_config_selectorImLb1EEEZNS1_14transform_implILb1ES3_S5_PmPlNS0_8identityIvEEEE10hipError_tT2_T3_mT4_P12ihipStream_tbEUlT_E_NS1_11comp_targetILNS1_3genE0ELNS1_11target_archE4294967295ELNS1_3gpuE0ELNS1_3repE0EEENS1_30default_config_static_selectorELNS0_4arch9wavefront6targetE0EEEvT1_.has_recursion, 0
	.set _ZN7rocprim17ROCPRIM_400000_NS6detail17trampoline_kernelINS0_14default_configENS1_25transform_config_selectorImLb1EEEZNS1_14transform_implILb1ES3_S5_PmPlNS0_8identityIvEEEE10hipError_tT2_T3_mT4_P12ihipStream_tbEUlT_E_NS1_11comp_targetILNS1_3genE0ELNS1_11target_archE4294967295ELNS1_3gpuE0ELNS1_3repE0EEENS1_30default_config_static_selectorELNS0_4arch9wavefront6targetE0EEEvT1_.has_indirect_call, 0
	.section	.AMDGPU.csdata,"",@progbits
; Kernel info:
; codeLenInByte = 0
; TotalNumSgprs: 0
; NumVgprs: 0
; ScratchSize: 0
; MemoryBound: 0
; FloatMode: 240
; IeeeMode: 1
; LDSByteSize: 0 bytes/workgroup (compile time only)
; SGPRBlocks: 0
; VGPRBlocks: 0
; NumSGPRsForWavesPerEU: 1
; NumVGPRsForWavesPerEU: 1
; Occupancy: 16
; WaveLimiterHint : 0
; COMPUTE_PGM_RSRC2:SCRATCH_EN: 0
; COMPUTE_PGM_RSRC2:USER_SGPR: 6
; COMPUTE_PGM_RSRC2:TRAP_HANDLER: 0
; COMPUTE_PGM_RSRC2:TGID_X_EN: 1
; COMPUTE_PGM_RSRC2:TGID_Y_EN: 0
; COMPUTE_PGM_RSRC2:TGID_Z_EN: 0
; COMPUTE_PGM_RSRC2:TIDIG_COMP_CNT: 0
	.section	.text._ZN7rocprim17ROCPRIM_400000_NS6detail17trampoline_kernelINS0_14default_configENS1_25transform_config_selectorImLb1EEEZNS1_14transform_implILb1ES3_S5_PmPlNS0_8identityIvEEEE10hipError_tT2_T3_mT4_P12ihipStream_tbEUlT_E_NS1_11comp_targetILNS1_3genE10ELNS1_11target_archE1201ELNS1_3gpuE5ELNS1_3repE0EEENS1_30default_config_static_selectorELNS0_4arch9wavefront6targetE0EEEvT1_,"axG",@progbits,_ZN7rocprim17ROCPRIM_400000_NS6detail17trampoline_kernelINS0_14default_configENS1_25transform_config_selectorImLb1EEEZNS1_14transform_implILb1ES3_S5_PmPlNS0_8identityIvEEEE10hipError_tT2_T3_mT4_P12ihipStream_tbEUlT_E_NS1_11comp_targetILNS1_3genE10ELNS1_11target_archE1201ELNS1_3gpuE5ELNS1_3repE0EEENS1_30default_config_static_selectorELNS0_4arch9wavefront6targetE0EEEvT1_,comdat
	.protected	_ZN7rocprim17ROCPRIM_400000_NS6detail17trampoline_kernelINS0_14default_configENS1_25transform_config_selectorImLb1EEEZNS1_14transform_implILb1ES3_S5_PmPlNS0_8identityIvEEEE10hipError_tT2_T3_mT4_P12ihipStream_tbEUlT_E_NS1_11comp_targetILNS1_3genE10ELNS1_11target_archE1201ELNS1_3gpuE5ELNS1_3repE0EEENS1_30default_config_static_selectorELNS0_4arch9wavefront6targetE0EEEvT1_ ; -- Begin function _ZN7rocprim17ROCPRIM_400000_NS6detail17trampoline_kernelINS0_14default_configENS1_25transform_config_selectorImLb1EEEZNS1_14transform_implILb1ES3_S5_PmPlNS0_8identityIvEEEE10hipError_tT2_T3_mT4_P12ihipStream_tbEUlT_E_NS1_11comp_targetILNS1_3genE10ELNS1_11target_archE1201ELNS1_3gpuE5ELNS1_3repE0EEENS1_30default_config_static_selectorELNS0_4arch9wavefront6targetE0EEEvT1_
	.globl	_ZN7rocprim17ROCPRIM_400000_NS6detail17trampoline_kernelINS0_14default_configENS1_25transform_config_selectorImLb1EEEZNS1_14transform_implILb1ES3_S5_PmPlNS0_8identityIvEEEE10hipError_tT2_T3_mT4_P12ihipStream_tbEUlT_E_NS1_11comp_targetILNS1_3genE10ELNS1_11target_archE1201ELNS1_3gpuE5ELNS1_3repE0EEENS1_30default_config_static_selectorELNS0_4arch9wavefront6targetE0EEEvT1_
	.p2align	8
	.type	_ZN7rocprim17ROCPRIM_400000_NS6detail17trampoline_kernelINS0_14default_configENS1_25transform_config_selectorImLb1EEEZNS1_14transform_implILb1ES3_S5_PmPlNS0_8identityIvEEEE10hipError_tT2_T3_mT4_P12ihipStream_tbEUlT_E_NS1_11comp_targetILNS1_3genE10ELNS1_11target_archE1201ELNS1_3gpuE5ELNS1_3repE0EEENS1_30default_config_static_selectorELNS0_4arch9wavefront6targetE0EEEvT1_,@function
_ZN7rocprim17ROCPRIM_400000_NS6detail17trampoline_kernelINS0_14default_configENS1_25transform_config_selectorImLb1EEEZNS1_14transform_implILb1ES3_S5_PmPlNS0_8identityIvEEEE10hipError_tT2_T3_mT4_P12ihipStream_tbEUlT_E_NS1_11comp_targetILNS1_3genE10ELNS1_11target_archE1201ELNS1_3gpuE5ELNS1_3repE0EEENS1_30default_config_static_selectorELNS0_4arch9wavefront6targetE0EEEvT1_: ; @_ZN7rocprim17ROCPRIM_400000_NS6detail17trampoline_kernelINS0_14default_configENS1_25transform_config_selectorImLb1EEEZNS1_14transform_implILb1ES3_S5_PmPlNS0_8identityIvEEEE10hipError_tT2_T3_mT4_P12ihipStream_tbEUlT_E_NS1_11comp_targetILNS1_3genE10ELNS1_11target_archE1201ELNS1_3gpuE5ELNS1_3repE0EEENS1_30default_config_static_selectorELNS0_4arch9wavefront6targetE0EEEvT1_
; %bb.0:
	.section	.rodata,"a",@progbits
	.p2align	6, 0x0
	.amdhsa_kernel _ZN7rocprim17ROCPRIM_400000_NS6detail17trampoline_kernelINS0_14default_configENS1_25transform_config_selectorImLb1EEEZNS1_14transform_implILb1ES3_S5_PmPlNS0_8identityIvEEEE10hipError_tT2_T3_mT4_P12ihipStream_tbEUlT_E_NS1_11comp_targetILNS1_3genE10ELNS1_11target_archE1201ELNS1_3gpuE5ELNS1_3repE0EEENS1_30default_config_static_selectorELNS0_4arch9wavefront6targetE0EEEvT1_
		.amdhsa_group_segment_fixed_size 0
		.amdhsa_private_segment_fixed_size 0
		.amdhsa_kernarg_size 40
		.amdhsa_user_sgpr_count 6
		.amdhsa_user_sgpr_private_segment_buffer 1
		.amdhsa_user_sgpr_dispatch_ptr 0
		.amdhsa_user_sgpr_queue_ptr 0
		.amdhsa_user_sgpr_kernarg_segment_ptr 1
		.amdhsa_user_sgpr_dispatch_id 0
		.amdhsa_user_sgpr_flat_scratch_init 0
		.amdhsa_user_sgpr_private_segment_size 0
		.amdhsa_wavefront_size32 1
		.amdhsa_uses_dynamic_stack 0
		.amdhsa_system_sgpr_private_segment_wavefront_offset 0
		.amdhsa_system_sgpr_workgroup_id_x 1
		.amdhsa_system_sgpr_workgroup_id_y 0
		.amdhsa_system_sgpr_workgroup_id_z 0
		.amdhsa_system_sgpr_workgroup_info 0
		.amdhsa_system_vgpr_workitem_id 0
		.amdhsa_next_free_vgpr 1
		.amdhsa_next_free_sgpr 1
		.amdhsa_reserve_vcc 0
		.amdhsa_reserve_flat_scratch 0
		.amdhsa_float_round_mode_32 0
		.amdhsa_float_round_mode_16_64 0
		.amdhsa_float_denorm_mode_32 3
		.amdhsa_float_denorm_mode_16_64 3
		.amdhsa_dx10_clamp 1
		.amdhsa_ieee_mode 1
		.amdhsa_fp16_overflow 0
		.amdhsa_workgroup_processor_mode 1
		.amdhsa_memory_ordered 1
		.amdhsa_forward_progress 1
		.amdhsa_shared_vgpr_count 0
		.amdhsa_exception_fp_ieee_invalid_op 0
		.amdhsa_exception_fp_denorm_src 0
		.amdhsa_exception_fp_ieee_div_zero 0
		.amdhsa_exception_fp_ieee_overflow 0
		.amdhsa_exception_fp_ieee_underflow 0
		.amdhsa_exception_fp_ieee_inexact 0
		.amdhsa_exception_int_div_zero 0
	.end_amdhsa_kernel
	.section	.text._ZN7rocprim17ROCPRIM_400000_NS6detail17trampoline_kernelINS0_14default_configENS1_25transform_config_selectorImLb1EEEZNS1_14transform_implILb1ES3_S5_PmPlNS0_8identityIvEEEE10hipError_tT2_T3_mT4_P12ihipStream_tbEUlT_E_NS1_11comp_targetILNS1_3genE10ELNS1_11target_archE1201ELNS1_3gpuE5ELNS1_3repE0EEENS1_30default_config_static_selectorELNS0_4arch9wavefront6targetE0EEEvT1_,"axG",@progbits,_ZN7rocprim17ROCPRIM_400000_NS6detail17trampoline_kernelINS0_14default_configENS1_25transform_config_selectorImLb1EEEZNS1_14transform_implILb1ES3_S5_PmPlNS0_8identityIvEEEE10hipError_tT2_T3_mT4_P12ihipStream_tbEUlT_E_NS1_11comp_targetILNS1_3genE10ELNS1_11target_archE1201ELNS1_3gpuE5ELNS1_3repE0EEENS1_30default_config_static_selectorELNS0_4arch9wavefront6targetE0EEEvT1_,comdat
.Lfunc_end187:
	.size	_ZN7rocprim17ROCPRIM_400000_NS6detail17trampoline_kernelINS0_14default_configENS1_25transform_config_selectorImLb1EEEZNS1_14transform_implILb1ES3_S5_PmPlNS0_8identityIvEEEE10hipError_tT2_T3_mT4_P12ihipStream_tbEUlT_E_NS1_11comp_targetILNS1_3genE10ELNS1_11target_archE1201ELNS1_3gpuE5ELNS1_3repE0EEENS1_30default_config_static_selectorELNS0_4arch9wavefront6targetE0EEEvT1_, .Lfunc_end187-_ZN7rocprim17ROCPRIM_400000_NS6detail17trampoline_kernelINS0_14default_configENS1_25transform_config_selectorImLb1EEEZNS1_14transform_implILb1ES3_S5_PmPlNS0_8identityIvEEEE10hipError_tT2_T3_mT4_P12ihipStream_tbEUlT_E_NS1_11comp_targetILNS1_3genE10ELNS1_11target_archE1201ELNS1_3gpuE5ELNS1_3repE0EEENS1_30default_config_static_selectorELNS0_4arch9wavefront6targetE0EEEvT1_
                                        ; -- End function
	.set _ZN7rocprim17ROCPRIM_400000_NS6detail17trampoline_kernelINS0_14default_configENS1_25transform_config_selectorImLb1EEEZNS1_14transform_implILb1ES3_S5_PmPlNS0_8identityIvEEEE10hipError_tT2_T3_mT4_P12ihipStream_tbEUlT_E_NS1_11comp_targetILNS1_3genE10ELNS1_11target_archE1201ELNS1_3gpuE5ELNS1_3repE0EEENS1_30default_config_static_selectorELNS0_4arch9wavefront6targetE0EEEvT1_.num_vgpr, 0
	.set _ZN7rocprim17ROCPRIM_400000_NS6detail17trampoline_kernelINS0_14default_configENS1_25transform_config_selectorImLb1EEEZNS1_14transform_implILb1ES3_S5_PmPlNS0_8identityIvEEEE10hipError_tT2_T3_mT4_P12ihipStream_tbEUlT_E_NS1_11comp_targetILNS1_3genE10ELNS1_11target_archE1201ELNS1_3gpuE5ELNS1_3repE0EEENS1_30default_config_static_selectorELNS0_4arch9wavefront6targetE0EEEvT1_.num_agpr, 0
	.set _ZN7rocprim17ROCPRIM_400000_NS6detail17trampoline_kernelINS0_14default_configENS1_25transform_config_selectorImLb1EEEZNS1_14transform_implILb1ES3_S5_PmPlNS0_8identityIvEEEE10hipError_tT2_T3_mT4_P12ihipStream_tbEUlT_E_NS1_11comp_targetILNS1_3genE10ELNS1_11target_archE1201ELNS1_3gpuE5ELNS1_3repE0EEENS1_30default_config_static_selectorELNS0_4arch9wavefront6targetE0EEEvT1_.numbered_sgpr, 0
	.set _ZN7rocprim17ROCPRIM_400000_NS6detail17trampoline_kernelINS0_14default_configENS1_25transform_config_selectorImLb1EEEZNS1_14transform_implILb1ES3_S5_PmPlNS0_8identityIvEEEE10hipError_tT2_T3_mT4_P12ihipStream_tbEUlT_E_NS1_11comp_targetILNS1_3genE10ELNS1_11target_archE1201ELNS1_3gpuE5ELNS1_3repE0EEENS1_30default_config_static_selectorELNS0_4arch9wavefront6targetE0EEEvT1_.num_named_barrier, 0
	.set _ZN7rocprim17ROCPRIM_400000_NS6detail17trampoline_kernelINS0_14default_configENS1_25transform_config_selectorImLb1EEEZNS1_14transform_implILb1ES3_S5_PmPlNS0_8identityIvEEEE10hipError_tT2_T3_mT4_P12ihipStream_tbEUlT_E_NS1_11comp_targetILNS1_3genE10ELNS1_11target_archE1201ELNS1_3gpuE5ELNS1_3repE0EEENS1_30default_config_static_selectorELNS0_4arch9wavefront6targetE0EEEvT1_.private_seg_size, 0
	.set _ZN7rocprim17ROCPRIM_400000_NS6detail17trampoline_kernelINS0_14default_configENS1_25transform_config_selectorImLb1EEEZNS1_14transform_implILb1ES3_S5_PmPlNS0_8identityIvEEEE10hipError_tT2_T3_mT4_P12ihipStream_tbEUlT_E_NS1_11comp_targetILNS1_3genE10ELNS1_11target_archE1201ELNS1_3gpuE5ELNS1_3repE0EEENS1_30default_config_static_selectorELNS0_4arch9wavefront6targetE0EEEvT1_.uses_vcc, 0
	.set _ZN7rocprim17ROCPRIM_400000_NS6detail17trampoline_kernelINS0_14default_configENS1_25transform_config_selectorImLb1EEEZNS1_14transform_implILb1ES3_S5_PmPlNS0_8identityIvEEEE10hipError_tT2_T3_mT4_P12ihipStream_tbEUlT_E_NS1_11comp_targetILNS1_3genE10ELNS1_11target_archE1201ELNS1_3gpuE5ELNS1_3repE0EEENS1_30default_config_static_selectorELNS0_4arch9wavefront6targetE0EEEvT1_.uses_flat_scratch, 0
	.set _ZN7rocprim17ROCPRIM_400000_NS6detail17trampoline_kernelINS0_14default_configENS1_25transform_config_selectorImLb1EEEZNS1_14transform_implILb1ES3_S5_PmPlNS0_8identityIvEEEE10hipError_tT2_T3_mT4_P12ihipStream_tbEUlT_E_NS1_11comp_targetILNS1_3genE10ELNS1_11target_archE1201ELNS1_3gpuE5ELNS1_3repE0EEENS1_30default_config_static_selectorELNS0_4arch9wavefront6targetE0EEEvT1_.has_dyn_sized_stack, 0
	.set _ZN7rocprim17ROCPRIM_400000_NS6detail17trampoline_kernelINS0_14default_configENS1_25transform_config_selectorImLb1EEEZNS1_14transform_implILb1ES3_S5_PmPlNS0_8identityIvEEEE10hipError_tT2_T3_mT4_P12ihipStream_tbEUlT_E_NS1_11comp_targetILNS1_3genE10ELNS1_11target_archE1201ELNS1_3gpuE5ELNS1_3repE0EEENS1_30default_config_static_selectorELNS0_4arch9wavefront6targetE0EEEvT1_.has_recursion, 0
	.set _ZN7rocprim17ROCPRIM_400000_NS6detail17trampoline_kernelINS0_14default_configENS1_25transform_config_selectorImLb1EEEZNS1_14transform_implILb1ES3_S5_PmPlNS0_8identityIvEEEE10hipError_tT2_T3_mT4_P12ihipStream_tbEUlT_E_NS1_11comp_targetILNS1_3genE10ELNS1_11target_archE1201ELNS1_3gpuE5ELNS1_3repE0EEENS1_30default_config_static_selectorELNS0_4arch9wavefront6targetE0EEEvT1_.has_indirect_call, 0
	.section	.AMDGPU.csdata,"",@progbits
; Kernel info:
; codeLenInByte = 0
; TotalNumSgprs: 0
; NumVgprs: 0
; ScratchSize: 0
; MemoryBound: 0
; FloatMode: 240
; IeeeMode: 1
; LDSByteSize: 0 bytes/workgroup (compile time only)
; SGPRBlocks: 0
; VGPRBlocks: 0
; NumSGPRsForWavesPerEU: 1
; NumVGPRsForWavesPerEU: 1
; Occupancy: 16
; WaveLimiterHint : 0
; COMPUTE_PGM_RSRC2:SCRATCH_EN: 0
; COMPUTE_PGM_RSRC2:USER_SGPR: 6
; COMPUTE_PGM_RSRC2:TRAP_HANDLER: 0
; COMPUTE_PGM_RSRC2:TGID_X_EN: 1
; COMPUTE_PGM_RSRC2:TGID_Y_EN: 0
; COMPUTE_PGM_RSRC2:TGID_Z_EN: 0
; COMPUTE_PGM_RSRC2:TIDIG_COMP_CNT: 0
	.section	.text._ZN7rocprim17ROCPRIM_400000_NS6detail17trampoline_kernelINS0_14default_configENS1_25transform_config_selectorImLb1EEEZNS1_14transform_implILb1ES3_S5_PmPlNS0_8identityIvEEEE10hipError_tT2_T3_mT4_P12ihipStream_tbEUlT_E_NS1_11comp_targetILNS1_3genE5ELNS1_11target_archE942ELNS1_3gpuE9ELNS1_3repE0EEENS1_30default_config_static_selectorELNS0_4arch9wavefront6targetE0EEEvT1_,"axG",@progbits,_ZN7rocprim17ROCPRIM_400000_NS6detail17trampoline_kernelINS0_14default_configENS1_25transform_config_selectorImLb1EEEZNS1_14transform_implILb1ES3_S5_PmPlNS0_8identityIvEEEE10hipError_tT2_T3_mT4_P12ihipStream_tbEUlT_E_NS1_11comp_targetILNS1_3genE5ELNS1_11target_archE942ELNS1_3gpuE9ELNS1_3repE0EEENS1_30default_config_static_selectorELNS0_4arch9wavefront6targetE0EEEvT1_,comdat
	.protected	_ZN7rocprim17ROCPRIM_400000_NS6detail17trampoline_kernelINS0_14default_configENS1_25transform_config_selectorImLb1EEEZNS1_14transform_implILb1ES3_S5_PmPlNS0_8identityIvEEEE10hipError_tT2_T3_mT4_P12ihipStream_tbEUlT_E_NS1_11comp_targetILNS1_3genE5ELNS1_11target_archE942ELNS1_3gpuE9ELNS1_3repE0EEENS1_30default_config_static_selectorELNS0_4arch9wavefront6targetE0EEEvT1_ ; -- Begin function _ZN7rocprim17ROCPRIM_400000_NS6detail17trampoline_kernelINS0_14default_configENS1_25transform_config_selectorImLb1EEEZNS1_14transform_implILb1ES3_S5_PmPlNS0_8identityIvEEEE10hipError_tT2_T3_mT4_P12ihipStream_tbEUlT_E_NS1_11comp_targetILNS1_3genE5ELNS1_11target_archE942ELNS1_3gpuE9ELNS1_3repE0EEENS1_30default_config_static_selectorELNS0_4arch9wavefront6targetE0EEEvT1_
	.globl	_ZN7rocprim17ROCPRIM_400000_NS6detail17trampoline_kernelINS0_14default_configENS1_25transform_config_selectorImLb1EEEZNS1_14transform_implILb1ES3_S5_PmPlNS0_8identityIvEEEE10hipError_tT2_T3_mT4_P12ihipStream_tbEUlT_E_NS1_11comp_targetILNS1_3genE5ELNS1_11target_archE942ELNS1_3gpuE9ELNS1_3repE0EEENS1_30default_config_static_selectorELNS0_4arch9wavefront6targetE0EEEvT1_
	.p2align	8
	.type	_ZN7rocprim17ROCPRIM_400000_NS6detail17trampoline_kernelINS0_14default_configENS1_25transform_config_selectorImLb1EEEZNS1_14transform_implILb1ES3_S5_PmPlNS0_8identityIvEEEE10hipError_tT2_T3_mT4_P12ihipStream_tbEUlT_E_NS1_11comp_targetILNS1_3genE5ELNS1_11target_archE942ELNS1_3gpuE9ELNS1_3repE0EEENS1_30default_config_static_selectorELNS0_4arch9wavefront6targetE0EEEvT1_,@function
_ZN7rocprim17ROCPRIM_400000_NS6detail17trampoline_kernelINS0_14default_configENS1_25transform_config_selectorImLb1EEEZNS1_14transform_implILb1ES3_S5_PmPlNS0_8identityIvEEEE10hipError_tT2_T3_mT4_P12ihipStream_tbEUlT_E_NS1_11comp_targetILNS1_3genE5ELNS1_11target_archE942ELNS1_3gpuE9ELNS1_3repE0EEENS1_30default_config_static_selectorELNS0_4arch9wavefront6targetE0EEEvT1_: ; @_ZN7rocprim17ROCPRIM_400000_NS6detail17trampoline_kernelINS0_14default_configENS1_25transform_config_selectorImLb1EEEZNS1_14transform_implILb1ES3_S5_PmPlNS0_8identityIvEEEE10hipError_tT2_T3_mT4_P12ihipStream_tbEUlT_E_NS1_11comp_targetILNS1_3genE5ELNS1_11target_archE942ELNS1_3gpuE9ELNS1_3repE0EEENS1_30default_config_static_selectorELNS0_4arch9wavefront6targetE0EEEvT1_
; %bb.0:
	.section	.rodata,"a",@progbits
	.p2align	6, 0x0
	.amdhsa_kernel _ZN7rocprim17ROCPRIM_400000_NS6detail17trampoline_kernelINS0_14default_configENS1_25transform_config_selectorImLb1EEEZNS1_14transform_implILb1ES3_S5_PmPlNS0_8identityIvEEEE10hipError_tT2_T3_mT4_P12ihipStream_tbEUlT_E_NS1_11comp_targetILNS1_3genE5ELNS1_11target_archE942ELNS1_3gpuE9ELNS1_3repE0EEENS1_30default_config_static_selectorELNS0_4arch9wavefront6targetE0EEEvT1_
		.amdhsa_group_segment_fixed_size 0
		.amdhsa_private_segment_fixed_size 0
		.amdhsa_kernarg_size 40
		.amdhsa_user_sgpr_count 6
		.amdhsa_user_sgpr_private_segment_buffer 1
		.amdhsa_user_sgpr_dispatch_ptr 0
		.amdhsa_user_sgpr_queue_ptr 0
		.amdhsa_user_sgpr_kernarg_segment_ptr 1
		.amdhsa_user_sgpr_dispatch_id 0
		.amdhsa_user_sgpr_flat_scratch_init 0
		.amdhsa_user_sgpr_private_segment_size 0
		.amdhsa_wavefront_size32 1
		.amdhsa_uses_dynamic_stack 0
		.amdhsa_system_sgpr_private_segment_wavefront_offset 0
		.amdhsa_system_sgpr_workgroup_id_x 1
		.amdhsa_system_sgpr_workgroup_id_y 0
		.amdhsa_system_sgpr_workgroup_id_z 0
		.amdhsa_system_sgpr_workgroup_info 0
		.amdhsa_system_vgpr_workitem_id 0
		.amdhsa_next_free_vgpr 1
		.amdhsa_next_free_sgpr 1
		.amdhsa_reserve_vcc 0
		.amdhsa_reserve_flat_scratch 0
		.amdhsa_float_round_mode_32 0
		.amdhsa_float_round_mode_16_64 0
		.amdhsa_float_denorm_mode_32 3
		.amdhsa_float_denorm_mode_16_64 3
		.amdhsa_dx10_clamp 1
		.amdhsa_ieee_mode 1
		.amdhsa_fp16_overflow 0
		.amdhsa_workgroup_processor_mode 1
		.amdhsa_memory_ordered 1
		.amdhsa_forward_progress 1
		.amdhsa_shared_vgpr_count 0
		.amdhsa_exception_fp_ieee_invalid_op 0
		.amdhsa_exception_fp_denorm_src 0
		.amdhsa_exception_fp_ieee_div_zero 0
		.amdhsa_exception_fp_ieee_overflow 0
		.amdhsa_exception_fp_ieee_underflow 0
		.amdhsa_exception_fp_ieee_inexact 0
		.amdhsa_exception_int_div_zero 0
	.end_amdhsa_kernel
	.section	.text._ZN7rocprim17ROCPRIM_400000_NS6detail17trampoline_kernelINS0_14default_configENS1_25transform_config_selectorImLb1EEEZNS1_14transform_implILb1ES3_S5_PmPlNS0_8identityIvEEEE10hipError_tT2_T3_mT4_P12ihipStream_tbEUlT_E_NS1_11comp_targetILNS1_3genE5ELNS1_11target_archE942ELNS1_3gpuE9ELNS1_3repE0EEENS1_30default_config_static_selectorELNS0_4arch9wavefront6targetE0EEEvT1_,"axG",@progbits,_ZN7rocprim17ROCPRIM_400000_NS6detail17trampoline_kernelINS0_14default_configENS1_25transform_config_selectorImLb1EEEZNS1_14transform_implILb1ES3_S5_PmPlNS0_8identityIvEEEE10hipError_tT2_T3_mT4_P12ihipStream_tbEUlT_E_NS1_11comp_targetILNS1_3genE5ELNS1_11target_archE942ELNS1_3gpuE9ELNS1_3repE0EEENS1_30default_config_static_selectorELNS0_4arch9wavefront6targetE0EEEvT1_,comdat
.Lfunc_end188:
	.size	_ZN7rocprim17ROCPRIM_400000_NS6detail17trampoline_kernelINS0_14default_configENS1_25transform_config_selectorImLb1EEEZNS1_14transform_implILb1ES3_S5_PmPlNS0_8identityIvEEEE10hipError_tT2_T3_mT4_P12ihipStream_tbEUlT_E_NS1_11comp_targetILNS1_3genE5ELNS1_11target_archE942ELNS1_3gpuE9ELNS1_3repE0EEENS1_30default_config_static_selectorELNS0_4arch9wavefront6targetE0EEEvT1_, .Lfunc_end188-_ZN7rocprim17ROCPRIM_400000_NS6detail17trampoline_kernelINS0_14default_configENS1_25transform_config_selectorImLb1EEEZNS1_14transform_implILb1ES3_S5_PmPlNS0_8identityIvEEEE10hipError_tT2_T3_mT4_P12ihipStream_tbEUlT_E_NS1_11comp_targetILNS1_3genE5ELNS1_11target_archE942ELNS1_3gpuE9ELNS1_3repE0EEENS1_30default_config_static_selectorELNS0_4arch9wavefront6targetE0EEEvT1_
                                        ; -- End function
	.set _ZN7rocprim17ROCPRIM_400000_NS6detail17trampoline_kernelINS0_14default_configENS1_25transform_config_selectorImLb1EEEZNS1_14transform_implILb1ES3_S5_PmPlNS0_8identityIvEEEE10hipError_tT2_T3_mT4_P12ihipStream_tbEUlT_E_NS1_11comp_targetILNS1_3genE5ELNS1_11target_archE942ELNS1_3gpuE9ELNS1_3repE0EEENS1_30default_config_static_selectorELNS0_4arch9wavefront6targetE0EEEvT1_.num_vgpr, 0
	.set _ZN7rocprim17ROCPRIM_400000_NS6detail17trampoline_kernelINS0_14default_configENS1_25transform_config_selectorImLb1EEEZNS1_14transform_implILb1ES3_S5_PmPlNS0_8identityIvEEEE10hipError_tT2_T3_mT4_P12ihipStream_tbEUlT_E_NS1_11comp_targetILNS1_3genE5ELNS1_11target_archE942ELNS1_3gpuE9ELNS1_3repE0EEENS1_30default_config_static_selectorELNS0_4arch9wavefront6targetE0EEEvT1_.num_agpr, 0
	.set _ZN7rocprim17ROCPRIM_400000_NS6detail17trampoline_kernelINS0_14default_configENS1_25transform_config_selectorImLb1EEEZNS1_14transform_implILb1ES3_S5_PmPlNS0_8identityIvEEEE10hipError_tT2_T3_mT4_P12ihipStream_tbEUlT_E_NS1_11comp_targetILNS1_3genE5ELNS1_11target_archE942ELNS1_3gpuE9ELNS1_3repE0EEENS1_30default_config_static_selectorELNS0_4arch9wavefront6targetE0EEEvT1_.numbered_sgpr, 0
	.set _ZN7rocprim17ROCPRIM_400000_NS6detail17trampoline_kernelINS0_14default_configENS1_25transform_config_selectorImLb1EEEZNS1_14transform_implILb1ES3_S5_PmPlNS0_8identityIvEEEE10hipError_tT2_T3_mT4_P12ihipStream_tbEUlT_E_NS1_11comp_targetILNS1_3genE5ELNS1_11target_archE942ELNS1_3gpuE9ELNS1_3repE0EEENS1_30default_config_static_selectorELNS0_4arch9wavefront6targetE0EEEvT1_.num_named_barrier, 0
	.set _ZN7rocprim17ROCPRIM_400000_NS6detail17trampoline_kernelINS0_14default_configENS1_25transform_config_selectorImLb1EEEZNS1_14transform_implILb1ES3_S5_PmPlNS0_8identityIvEEEE10hipError_tT2_T3_mT4_P12ihipStream_tbEUlT_E_NS1_11comp_targetILNS1_3genE5ELNS1_11target_archE942ELNS1_3gpuE9ELNS1_3repE0EEENS1_30default_config_static_selectorELNS0_4arch9wavefront6targetE0EEEvT1_.private_seg_size, 0
	.set _ZN7rocprim17ROCPRIM_400000_NS6detail17trampoline_kernelINS0_14default_configENS1_25transform_config_selectorImLb1EEEZNS1_14transform_implILb1ES3_S5_PmPlNS0_8identityIvEEEE10hipError_tT2_T3_mT4_P12ihipStream_tbEUlT_E_NS1_11comp_targetILNS1_3genE5ELNS1_11target_archE942ELNS1_3gpuE9ELNS1_3repE0EEENS1_30default_config_static_selectorELNS0_4arch9wavefront6targetE0EEEvT1_.uses_vcc, 0
	.set _ZN7rocprim17ROCPRIM_400000_NS6detail17trampoline_kernelINS0_14default_configENS1_25transform_config_selectorImLb1EEEZNS1_14transform_implILb1ES3_S5_PmPlNS0_8identityIvEEEE10hipError_tT2_T3_mT4_P12ihipStream_tbEUlT_E_NS1_11comp_targetILNS1_3genE5ELNS1_11target_archE942ELNS1_3gpuE9ELNS1_3repE0EEENS1_30default_config_static_selectorELNS0_4arch9wavefront6targetE0EEEvT1_.uses_flat_scratch, 0
	.set _ZN7rocprim17ROCPRIM_400000_NS6detail17trampoline_kernelINS0_14default_configENS1_25transform_config_selectorImLb1EEEZNS1_14transform_implILb1ES3_S5_PmPlNS0_8identityIvEEEE10hipError_tT2_T3_mT4_P12ihipStream_tbEUlT_E_NS1_11comp_targetILNS1_3genE5ELNS1_11target_archE942ELNS1_3gpuE9ELNS1_3repE0EEENS1_30default_config_static_selectorELNS0_4arch9wavefront6targetE0EEEvT1_.has_dyn_sized_stack, 0
	.set _ZN7rocprim17ROCPRIM_400000_NS6detail17trampoline_kernelINS0_14default_configENS1_25transform_config_selectorImLb1EEEZNS1_14transform_implILb1ES3_S5_PmPlNS0_8identityIvEEEE10hipError_tT2_T3_mT4_P12ihipStream_tbEUlT_E_NS1_11comp_targetILNS1_3genE5ELNS1_11target_archE942ELNS1_3gpuE9ELNS1_3repE0EEENS1_30default_config_static_selectorELNS0_4arch9wavefront6targetE0EEEvT1_.has_recursion, 0
	.set _ZN7rocprim17ROCPRIM_400000_NS6detail17trampoline_kernelINS0_14default_configENS1_25transform_config_selectorImLb1EEEZNS1_14transform_implILb1ES3_S5_PmPlNS0_8identityIvEEEE10hipError_tT2_T3_mT4_P12ihipStream_tbEUlT_E_NS1_11comp_targetILNS1_3genE5ELNS1_11target_archE942ELNS1_3gpuE9ELNS1_3repE0EEENS1_30default_config_static_selectorELNS0_4arch9wavefront6targetE0EEEvT1_.has_indirect_call, 0
	.section	.AMDGPU.csdata,"",@progbits
; Kernel info:
; codeLenInByte = 0
; TotalNumSgprs: 0
; NumVgprs: 0
; ScratchSize: 0
; MemoryBound: 0
; FloatMode: 240
; IeeeMode: 1
; LDSByteSize: 0 bytes/workgroup (compile time only)
; SGPRBlocks: 0
; VGPRBlocks: 0
; NumSGPRsForWavesPerEU: 1
; NumVGPRsForWavesPerEU: 1
; Occupancy: 16
; WaveLimiterHint : 0
; COMPUTE_PGM_RSRC2:SCRATCH_EN: 0
; COMPUTE_PGM_RSRC2:USER_SGPR: 6
; COMPUTE_PGM_RSRC2:TRAP_HANDLER: 0
; COMPUTE_PGM_RSRC2:TGID_X_EN: 1
; COMPUTE_PGM_RSRC2:TGID_Y_EN: 0
; COMPUTE_PGM_RSRC2:TGID_Z_EN: 0
; COMPUTE_PGM_RSRC2:TIDIG_COMP_CNT: 0
	.section	.text._ZN7rocprim17ROCPRIM_400000_NS6detail17trampoline_kernelINS0_14default_configENS1_25transform_config_selectorImLb1EEEZNS1_14transform_implILb1ES3_S5_PmPlNS0_8identityIvEEEE10hipError_tT2_T3_mT4_P12ihipStream_tbEUlT_E_NS1_11comp_targetILNS1_3genE4ELNS1_11target_archE910ELNS1_3gpuE8ELNS1_3repE0EEENS1_30default_config_static_selectorELNS0_4arch9wavefront6targetE0EEEvT1_,"axG",@progbits,_ZN7rocprim17ROCPRIM_400000_NS6detail17trampoline_kernelINS0_14default_configENS1_25transform_config_selectorImLb1EEEZNS1_14transform_implILb1ES3_S5_PmPlNS0_8identityIvEEEE10hipError_tT2_T3_mT4_P12ihipStream_tbEUlT_E_NS1_11comp_targetILNS1_3genE4ELNS1_11target_archE910ELNS1_3gpuE8ELNS1_3repE0EEENS1_30default_config_static_selectorELNS0_4arch9wavefront6targetE0EEEvT1_,comdat
	.protected	_ZN7rocprim17ROCPRIM_400000_NS6detail17trampoline_kernelINS0_14default_configENS1_25transform_config_selectorImLb1EEEZNS1_14transform_implILb1ES3_S5_PmPlNS0_8identityIvEEEE10hipError_tT2_T3_mT4_P12ihipStream_tbEUlT_E_NS1_11comp_targetILNS1_3genE4ELNS1_11target_archE910ELNS1_3gpuE8ELNS1_3repE0EEENS1_30default_config_static_selectorELNS0_4arch9wavefront6targetE0EEEvT1_ ; -- Begin function _ZN7rocprim17ROCPRIM_400000_NS6detail17trampoline_kernelINS0_14default_configENS1_25transform_config_selectorImLb1EEEZNS1_14transform_implILb1ES3_S5_PmPlNS0_8identityIvEEEE10hipError_tT2_T3_mT4_P12ihipStream_tbEUlT_E_NS1_11comp_targetILNS1_3genE4ELNS1_11target_archE910ELNS1_3gpuE8ELNS1_3repE0EEENS1_30default_config_static_selectorELNS0_4arch9wavefront6targetE0EEEvT1_
	.globl	_ZN7rocprim17ROCPRIM_400000_NS6detail17trampoline_kernelINS0_14default_configENS1_25transform_config_selectorImLb1EEEZNS1_14transform_implILb1ES3_S5_PmPlNS0_8identityIvEEEE10hipError_tT2_T3_mT4_P12ihipStream_tbEUlT_E_NS1_11comp_targetILNS1_3genE4ELNS1_11target_archE910ELNS1_3gpuE8ELNS1_3repE0EEENS1_30default_config_static_selectorELNS0_4arch9wavefront6targetE0EEEvT1_
	.p2align	8
	.type	_ZN7rocprim17ROCPRIM_400000_NS6detail17trampoline_kernelINS0_14default_configENS1_25transform_config_selectorImLb1EEEZNS1_14transform_implILb1ES3_S5_PmPlNS0_8identityIvEEEE10hipError_tT2_T3_mT4_P12ihipStream_tbEUlT_E_NS1_11comp_targetILNS1_3genE4ELNS1_11target_archE910ELNS1_3gpuE8ELNS1_3repE0EEENS1_30default_config_static_selectorELNS0_4arch9wavefront6targetE0EEEvT1_,@function
_ZN7rocprim17ROCPRIM_400000_NS6detail17trampoline_kernelINS0_14default_configENS1_25transform_config_selectorImLb1EEEZNS1_14transform_implILb1ES3_S5_PmPlNS0_8identityIvEEEE10hipError_tT2_T3_mT4_P12ihipStream_tbEUlT_E_NS1_11comp_targetILNS1_3genE4ELNS1_11target_archE910ELNS1_3gpuE8ELNS1_3repE0EEENS1_30default_config_static_selectorELNS0_4arch9wavefront6targetE0EEEvT1_: ; @_ZN7rocprim17ROCPRIM_400000_NS6detail17trampoline_kernelINS0_14default_configENS1_25transform_config_selectorImLb1EEEZNS1_14transform_implILb1ES3_S5_PmPlNS0_8identityIvEEEE10hipError_tT2_T3_mT4_P12ihipStream_tbEUlT_E_NS1_11comp_targetILNS1_3genE4ELNS1_11target_archE910ELNS1_3gpuE8ELNS1_3repE0EEENS1_30default_config_static_selectorELNS0_4arch9wavefront6targetE0EEEvT1_
; %bb.0:
	.section	.rodata,"a",@progbits
	.p2align	6, 0x0
	.amdhsa_kernel _ZN7rocprim17ROCPRIM_400000_NS6detail17trampoline_kernelINS0_14default_configENS1_25transform_config_selectorImLb1EEEZNS1_14transform_implILb1ES3_S5_PmPlNS0_8identityIvEEEE10hipError_tT2_T3_mT4_P12ihipStream_tbEUlT_E_NS1_11comp_targetILNS1_3genE4ELNS1_11target_archE910ELNS1_3gpuE8ELNS1_3repE0EEENS1_30default_config_static_selectorELNS0_4arch9wavefront6targetE0EEEvT1_
		.amdhsa_group_segment_fixed_size 0
		.amdhsa_private_segment_fixed_size 0
		.amdhsa_kernarg_size 40
		.amdhsa_user_sgpr_count 6
		.amdhsa_user_sgpr_private_segment_buffer 1
		.amdhsa_user_sgpr_dispatch_ptr 0
		.amdhsa_user_sgpr_queue_ptr 0
		.amdhsa_user_sgpr_kernarg_segment_ptr 1
		.amdhsa_user_sgpr_dispatch_id 0
		.amdhsa_user_sgpr_flat_scratch_init 0
		.amdhsa_user_sgpr_private_segment_size 0
		.amdhsa_wavefront_size32 1
		.amdhsa_uses_dynamic_stack 0
		.amdhsa_system_sgpr_private_segment_wavefront_offset 0
		.amdhsa_system_sgpr_workgroup_id_x 1
		.amdhsa_system_sgpr_workgroup_id_y 0
		.amdhsa_system_sgpr_workgroup_id_z 0
		.amdhsa_system_sgpr_workgroup_info 0
		.amdhsa_system_vgpr_workitem_id 0
		.amdhsa_next_free_vgpr 1
		.amdhsa_next_free_sgpr 1
		.amdhsa_reserve_vcc 0
		.amdhsa_reserve_flat_scratch 0
		.amdhsa_float_round_mode_32 0
		.amdhsa_float_round_mode_16_64 0
		.amdhsa_float_denorm_mode_32 3
		.amdhsa_float_denorm_mode_16_64 3
		.amdhsa_dx10_clamp 1
		.amdhsa_ieee_mode 1
		.amdhsa_fp16_overflow 0
		.amdhsa_workgroup_processor_mode 1
		.amdhsa_memory_ordered 1
		.amdhsa_forward_progress 1
		.amdhsa_shared_vgpr_count 0
		.amdhsa_exception_fp_ieee_invalid_op 0
		.amdhsa_exception_fp_denorm_src 0
		.amdhsa_exception_fp_ieee_div_zero 0
		.amdhsa_exception_fp_ieee_overflow 0
		.amdhsa_exception_fp_ieee_underflow 0
		.amdhsa_exception_fp_ieee_inexact 0
		.amdhsa_exception_int_div_zero 0
	.end_amdhsa_kernel
	.section	.text._ZN7rocprim17ROCPRIM_400000_NS6detail17trampoline_kernelINS0_14default_configENS1_25transform_config_selectorImLb1EEEZNS1_14transform_implILb1ES3_S5_PmPlNS0_8identityIvEEEE10hipError_tT2_T3_mT4_P12ihipStream_tbEUlT_E_NS1_11comp_targetILNS1_3genE4ELNS1_11target_archE910ELNS1_3gpuE8ELNS1_3repE0EEENS1_30default_config_static_selectorELNS0_4arch9wavefront6targetE0EEEvT1_,"axG",@progbits,_ZN7rocprim17ROCPRIM_400000_NS6detail17trampoline_kernelINS0_14default_configENS1_25transform_config_selectorImLb1EEEZNS1_14transform_implILb1ES3_S5_PmPlNS0_8identityIvEEEE10hipError_tT2_T3_mT4_P12ihipStream_tbEUlT_E_NS1_11comp_targetILNS1_3genE4ELNS1_11target_archE910ELNS1_3gpuE8ELNS1_3repE0EEENS1_30default_config_static_selectorELNS0_4arch9wavefront6targetE0EEEvT1_,comdat
.Lfunc_end189:
	.size	_ZN7rocprim17ROCPRIM_400000_NS6detail17trampoline_kernelINS0_14default_configENS1_25transform_config_selectorImLb1EEEZNS1_14transform_implILb1ES3_S5_PmPlNS0_8identityIvEEEE10hipError_tT2_T3_mT4_P12ihipStream_tbEUlT_E_NS1_11comp_targetILNS1_3genE4ELNS1_11target_archE910ELNS1_3gpuE8ELNS1_3repE0EEENS1_30default_config_static_selectorELNS0_4arch9wavefront6targetE0EEEvT1_, .Lfunc_end189-_ZN7rocprim17ROCPRIM_400000_NS6detail17trampoline_kernelINS0_14default_configENS1_25transform_config_selectorImLb1EEEZNS1_14transform_implILb1ES3_S5_PmPlNS0_8identityIvEEEE10hipError_tT2_T3_mT4_P12ihipStream_tbEUlT_E_NS1_11comp_targetILNS1_3genE4ELNS1_11target_archE910ELNS1_3gpuE8ELNS1_3repE0EEENS1_30default_config_static_selectorELNS0_4arch9wavefront6targetE0EEEvT1_
                                        ; -- End function
	.set _ZN7rocprim17ROCPRIM_400000_NS6detail17trampoline_kernelINS0_14default_configENS1_25transform_config_selectorImLb1EEEZNS1_14transform_implILb1ES3_S5_PmPlNS0_8identityIvEEEE10hipError_tT2_T3_mT4_P12ihipStream_tbEUlT_E_NS1_11comp_targetILNS1_3genE4ELNS1_11target_archE910ELNS1_3gpuE8ELNS1_3repE0EEENS1_30default_config_static_selectorELNS0_4arch9wavefront6targetE0EEEvT1_.num_vgpr, 0
	.set _ZN7rocprim17ROCPRIM_400000_NS6detail17trampoline_kernelINS0_14default_configENS1_25transform_config_selectorImLb1EEEZNS1_14transform_implILb1ES3_S5_PmPlNS0_8identityIvEEEE10hipError_tT2_T3_mT4_P12ihipStream_tbEUlT_E_NS1_11comp_targetILNS1_3genE4ELNS1_11target_archE910ELNS1_3gpuE8ELNS1_3repE0EEENS1_30default_config_static_selectorELNS0_4arch9wavefront6targetE0EEEvT1_.num_agpr, 0
	.set _ZN7rocprim17ROCPRIM_400000_NS6detail17trampoline_kernelINS0_14default_configENS1_25transform_config_selectorImLb1EEEZNS1_14transform_implILb1ES3_S5_PmPlNS0_8identityIvEEEE10hipError_tT2_T3_mT4_P12ihipStream_tbEUlT_E_NS1_11comp_targetILNS1_3genE4ELNS1_11target_archE910ELNS1_3gpuE8ELNS1_3repE0EEENS1_30default_config_static_selectorELNS0_4arch9wavefront6targetE0EEEvT1_.numbered_sgpr, 0
	.set _ZN7rocprim17ROCPRIM_400000_NS6detail17trampoline_kernelINS0_14default_configENS1_25transform_config_selectorImLb1EEEZNS1_14transform_implILb1ES3_S5_PmPlNS0_8identityIvEEEE10hipError_tT2_T3_mT4_P12ihipStream_tbEUlT_E_NS1_11comp_targetILNS1_3genE4ELNS1_11target_archE910ELNS1_3gpuE8ELNS1_3repE0EEENS1_30default_config_static_selectorELNS0_4arch9wavefront6targetE0EEEvT1_.num_named_barrier, 0
	.set _ZN7rocprim17ROCPRIM_400000_NS6detail17trampoline_kernelINS0_14default_configENS1_25transform_config_selectorImLb1EEEZNS1_14transform_implILb1ES3_S5_PmPlNS0_8identityIvEEEE10hipError_tT2_T3_mT4_P12ihipStream_tbEUlT_E_NS1_11comp_targetILNS1_3genE4ELNS1_11target_archE910ELNS1_3gpuE8ELNS1_3repE0EEENS1_30default_config_static_selectorELNS0_4arch9wavefront6targetE0EEEvT1_.private_seg_size, 0
	.set _ZN7rocprim17ROCPRIM_400000_NS6detail17trampoline_kernelINS0_14default_configENS1_25transform_config_selectorImLb1EEEZNS1_14transform_implILb1ES3_S5_PmPlNS0_8identityIvEEEE10hipError_tT2_T3_mT4_P12ihipStream_tbEUlT_E_NS1_11comp_targetILNS1_3genE4ELNS1_11target_archE910ELNS1_3gpuE8ELNS1_3repE0EEENS1_30default_config_static_selectorELNS0_4arch9wavefront6targetE0EEEvT1_.uses_vcc, 0
	.set _ZN7rocprim17ROCPRIM_400000_NS6detail17trampoline_kernelINS0_14default_configENS1_25transform_config_selectorImLb1EEEZNS1_14transform_implILb1ES3_S5_PmPlNS0_8identityIvEEEE10hipError_tT2_T3_mT4_P12ihipStream_tbEUlT_E_NS1_11comp_targetILNS1_3genE4ELNS1_11target_archE910ELNS1_3gpuE8ELNS1_3repE0EEENS1_30default_config_static_selectorELNS0_4arch9wavefront6targetE0EEEvT1_.uses_flat_scratch, 0
	.set _ZN7rocprim17ROCPRIM_400000_NS6detail17trampoline_kernelINS0_14default_configENS1_25transform_config_selectorImLb1EEEZNS1_14transform_implILb1ES3_S5_PmPlNS0_8identityIvEEEE10hipError_tT2_T3_mT4_P12ihipStream_tbEUlT_E_NS1_11comp_targetILNS1_3genE4ELNS1_11target_archE910ELNS1_3gpuE8ELNS1_3repE0EEENS1_30default_config_static_selectorELNS0_4arch9wavefront6targetE0EEEvT1_.has_dyn_sized_stack, 0
	.set _ZN7rocprim17ROCPRIM_400000_NS6detail17trampoline_kernelINS0_14default_configENS1_25transform_config_selectorImLb1EEEZNS1_14transform_implILb1ES3_S5_PmPlNS0_8identityIvEEEE10hipError_tT2_T3_mT4_P12ihipStream_tbEUlT_E_NS1_11comp_targetILNS1_3genE4ELNS1_11target_archE910ELNS1_3gpuE8ELNS1_3repE0EEENS1_30default_config_static_selectorELNS0_4arch9wavefront6targetE0EEEvT1_.has_recursion, 0
	.set _ZN7rocprim17ROCPRIM_400000_NS6detail17trampoline_kernelINS0_14default_configENS1_25transform_config_selectorImLb1EEEZNS1_14transform_implILb1ES3_S5_PmPlNS0_8identityIvEEEE10hipError_tT2_T3_mT4_P12ihipStream_tbEUlT_E_NS1_11comp_targetILNS1_3genE4ELNS1_11target_archE910ELNS1_3gpuE8ELNS1_3repE0EEENS1_30default_config_static_selectorELNS0_4arch9wavefront6targetE0EEEvT1_.has_indirect_call, 0
	.section	.AMDGPU.csdata,"",@progbits
; Kernel info:
; codeLenInByte = 0
; TotalNumSgprs: 0
; NumVgprs: 0
; ScratchSize: 0
; MemoryBound: 0
; FloatMode: 240
; IeeeMode: 1
; LDSByteSize: 0 bytes/workgroup (compile time only)
; SGPRBlocks: 0
; VGPRBlocks: 0
; NumSGPRsForWavesPerEU: 1
; NumVGPRsForWavesPerEU: 1
; Occupancy: 16
; WaveLimiterHint : 0
; COMPUTE_PGM_RSRC2:SCRATCH_EN: 0
; COMPUTE_PGM_RSRC2:USER_SGPR: 6
; COMPUTE_PGM_RSRC2:TRAP_HANDLER: 0
; COMPUTE_PGM_RSRC2:TGID_X_EN: 1
; COMPUTE_PGM_RSRC2:TGID_Y_EN: 0
; COMPUTE_PGM_RSRC2:TGID_Z_EN: 0
; COMPUTE_PGM_RSRC2:TIDIG_COMP_CNT: 0
	.section	.text._ZN7rocprim17ROCPRIM_400000_NS6detail17trampoline_kernelINS0_14default_configENS1_25transform_config_selectorImLb1EEEZNS1_14transform_implILb1ES3_S5_PmPlNS0_8identityIvEEEE10hipError_tT2_T3_mT4_P12ihipStream_tbEUlT_E_NS1_11comp_targetILNS1_3genE3ELNS1_11target_archE908ELNS1_3gpuE7ELNS1_3repE0EEENS1_30default_config_static_selectorELNS0_4arch9wavefront6targetE0EEEvT1_,"axG",@progbits,_ZN7rocprim17ROCPRIM_400000_NS6detail17trampoline_kernelINS0_14default_configENS1_25transform_config_selectorImLb1EEEZNS1_14transform_implILb1ES3_S5_PmPlNS0_8identityIvEEEE10hipError_tT2_T3_mT4_P12ihipStream_tbEUlT_E_NS1_11comp_targetILNS1_3genE3ELNS1_11target_archE908ELNS1_3gpuE7ELNS1_3repE0EEENS1_30default_config_static_selectorELNS0_4arch9wavefront6targetE0EEEvT1_,comdat
	.protected	_ZN7rocprim17ROCPRIM_400000_NS6detail17trampoline_kernelINS0_14default_configENS1_25transform_config_selectorImLb1EEEZNS1_14transform_implILb1ES3_S5_PmPlNS0_8identityIvEEEE10hipError_tT2_T3_mT4_P12ihipStream_tbEUlT_E_NS1_11comp_targetILNS1_3genE3ELNS1_11target_archE908ELNS1_3gpuE7ELNS1_3repE0EEENS1_30default_config_static_selectorELNS0_4arch9wavefront6targetE0EEEvT1_ ; -- Begin function _ZN7rocprim17ROCPRIM_400000_NS6detail17trampoline_kernelINS0_14default_configENS1_25transform_config_selectorImLb1EEEZNS1_14transform_implILb1ES3_S5_PmPlNS0_8identityIvEEEE10hipError_tT2_T3_mT4_P12ihipStream_tbEUlT_E_NS1_11comp_targetILNS1_3genE3ELNS1_11target_archE908ELNS1_3gpuE7ELNS1_3repE0EEENS1_30default_config_static_selectorELNS0_4arch9wavefront6targetE0EEEvT1_
	.globl	_ZN7rocprim17ROCPRIM_400000_NS6detail17trampoline_kernelINS0_14default_configENS1_25transform_config_selectorImLb1EEEZNS1_14transform_implILb1ES3_S5_PmPlNS0_8identityIvEEEE10hipError_tT2_T3_mT4_P12ihipStream_tbEUlT_E_NS1_11comp_targetILNS1_3genE3ELNS1_11target_archE908ELNS1_3gpuE7ELNS1_3repE0EEENS1_30default_config_static_selectorELNS0_4arch9wavefront6targetE0EEEvT1_
	.p2align	8
	.type	_ZN7rocprim17ROCPRIM_400000_NS6detail17trampoline_kernelINS0_14default_configENS1_25transform_config_selectorImLb1EEEZNS1_14transform_implILb1ES3_S5_PmPlNS0_8identityIvEEEE10hipError_tT2_T3_mT4_P12ihipStream_tbEUlT_E_NS1_11comp_targetILNS1_3genE3ELNS1_11target_archE908ELNS1_3gpuE7ELNS1_3repE0EEENS1_30default_config_static_selectorELNS0_4arch9wavefront6targetE0EEEvT1_,@function
_ZN7rocprim17ROCPRIM_400000_NS6detail17trampoline_kernelINS0_14default_configENS1_25transform_config_selectorImLb1EEEZNS1_14transform_implILb1ES3_S5_PmPlNS0_8identityIvEEEE10hipError_tT2_T3_mT4_P12ihipStream_tbEUlT_E_NS1_11comp_targetILNS1_3genE3ELNS1_11target_archE908ELNS1_3gpuE7ELNS1_3repE0EEENS1_30default_config_static_selectorELNS0_4arch9wavefront6targetE0EEEvT1_: ; @_ZN7rocprim17ROCPRIM_400000_NS6detail17trampoline_kernelINS0_14default_configENS1_25transform_config_selectorImLb1EEEZNS1_14transform_implILb1ES3_S5_PmPlNS0_8identityIvEEEE10hipError_tT2_T3_mT4_P12ihipStream_tbEUlT_E_NS1_11comp_targetILNS1_3genE3ELNS1_11target_archE908ELNS1_3gpuE7ELNS1_3repE0EEENS1_30default_config_static_selectorELNS0_4arch9wavefront6targetE0EEEvT1_
; %bb.0:
	.section	.rodata,"a",@progbits
	.p2align	6, 0x0
	.amdhsa_kernel _ZN7rocprim17ROCPRIM_400000_NS6detail17trampoline_kernelINS0_14default_configENS1_25transform_config_selectorImLb1EEEZNS1_14transform_implILb1ES3_S5_PmPlNS0_8identityIvEEEE10hipError_tT2_T3_mT4_P12ihipStream_tbEUlT_E_NS1_11comp_targetILNS1_3genE3ELNS1_11target_archE908ELNS1_3gpuE7ELNS1_3repE0EEENS1_30default_config_static_selectorELNS0_4arch9wavefront6targetE0EEEvT1_
		.amdhsa_group_segment_fixed_size 0
		.amdhsa_private_segment_fixed_size 0
		.amdhsa_kernarg_size 40
		.amdhsa_user_sgpr_count 6
		.amdhsa_user_sgpr_private_segment_buffer 1
		.amdhsa_user_sgpr_dispatch_ptr 0
		.amdhsa_user_sgpr_queue_ptr 0
		.amdhsa_user_sgpr_kernarg_segment_ptr 1
		.amdhsa_user_sgpr_dispatch_id 0
		.amdhsa_user_sgpr_flat_scratch_init 0
		.amdhsa_user_sgpr_private_segment_size 0
		.amdhsa_wavefront_size32 1
		.amdhsa_uses_dynamic_stack 0
		.amdhsa_system_sgpr_private_segment_wavefront_offset 0
		.amdhsa_system_sgpr_workgroup_id_x 1
		.amdhsa_system_sgpr_workgroup_id_y 0
		.amdhsa_system_sgpr_workgroup_id_z 0
		.amdhsa_system_sgpr_workgroup_info 0
		.amdhsa_system_vgpr_workitem_id 0
		.amdhsa_next_free_vgpr 1
		.amdhsa_next_free_sgpr 1
		.amdhsa_reserve_vcc 0
		.amdhsa_reserve_flat_scratch 0
		.amdhsa_float_round_mode_32 0
		.amdhsa_float_round_mode_16_64 0
		.amdhsa_float_denorm_mode_32 3
		.amdhsa_float_denorm_mode_16_64 3
		.amdhsa_dx10_clamp 1
		.amdhsa_ieee_mode 1
		.amdhsa_fp16_overflow 0
		.amdhsa_workgroup_processor_mode 1
		.amdhsa_memory_ordered 1
		.amdhsa_forward_progress 1
		.amdhsa_shared_vgpr_count 0
		.amdhsa_exception_fp_ieee_invalid_op 0
		.amdhsa_exception_fp_denorm_src 0
		.amdhsa_exception_fp_ieee_div_zero 0
		.amdhsa_exception_fp_ieee_overflow 0
		.amdhsa_exception_fp_ieee_underflow 0
		.amdhsa_exception_fp_ieee_inexact 0
		.amdhsa_exception_int_div_zero 0
	.end_amdhsa_kernel
	.section	.text._ZN7rocprim17ROCPRIM_400000_NS6detail17trampoline_kernelINS0_14default_configENS1_25transform_config_selectorImLb1EEEZNS1_14transform_implILb1ES3_S5_PmPlNS0_8identityIvEEEE10hipError_tT2_T3_mT4_P12ihipStream_tbEUlT_E_NS1_11comp_targetILNS1_3genE3ELNS1_11target_archE908ELNS1_3gpuE7ELNS1_3repE0EEENS1_30default_config_static_selectorELNS0_4arch9wavefront6targetE0EEEvT1_,"axG",@progbits,_ZN7rocprim17ROCPRIM_400000_NS6detail17trampoline_kernelINS0_14default_configENS1_25transform_config_selectorImLb1EEEZNS1_14transform_implILb1ES3_S5_PmPlNS0_8identityIvEEEE10hipError_tT2_T3_mT4_P12ihipStream_tbEUlT_E_NS1_11comp_targetILNS1_3genE3ELNS1_11target_archE908ELNS1_3gpuE7ELNS1_3repE0EEENS1_30default_config_static_selectorELNS0_4arch9wavefront6targetE0EEEvT1_,comdat
.Lfunc_end190:
	.size	_ZN7rocprim17ROCPRIM_400000_NS6detail17trampoline_kernelINS0_14default_configENS1_25transform_config_selectorImLb1EEEZNS1_14transform_implILb1ES3_S5_PmPlNS0_8identityIvEEEE10hipError_tT2_T3_mT4_P12ihipStream_tbEUlT_E_NS1_11comp_targetILNS1_3genE3ELNS1_11target_archE908ELNS1_3gpuE7ELNS1_3repE0EEENS1_30default_config_static_selectorELNS0_4arch9wavefront6targetE0EEEvT1_, .Lfunc_end190-_ZN7rocprim17ROCPRIM_400000_NS6detail17trampoline_kernelINS0_14default_configENS1_25transform_config_selectorImLb1EEEZNS1_14transform_implILb1ES3_S5_PmPlNS0_8identityIvEEEE10hipError_tT2_T3_mT4_P12ihipStream_tbEUlT_E_NS1_11comp_targetILNS1_3genE3ELNS1_11target_archE908ELNS1_3gpuE7ELNS1_3repE0EEENS1_30default_config_static_selectorELNS0_4arch9wavefront6targetE0EEEvT1_
                                        ; -- End function
	.set _ZN7rocprim17ROCPRIM_400000_NS6detail17trampoline_kernelINS0_14default_configENS1_25transform_config_selectorImLb1EEEZNS1_14transform_implILb1ES3_S5_PmPlNS0_8identityIvEEEE10hipError_tT2_T3_mT4_P12ihipStream_tbEUlT_E_NS1_11comp_targetILNS1_3genE3ELNS1_11target_archE908ELNS1_3gpuE7ELNS1_3repE0EEENS1_30default_config_static_selectorELNS0_4arch9wavefront6targetE0EEEvT1_.num_vgpr, 0
	.set _ZN7rocprim17ROCPRIM_400000_NS6detail17trampoline_kernelINS0_14default_configENS1_25transform_config_selectorImLb1EEEZNS1_14transform_implILb1ES3_S5_PmPlNS0_8identityIvEEEE10hipError_tT2_T3_mT4_P12ihipStream_tbEUlT_E_NS1_11comp_targetILNS1_3genE3ELNS1_11target_archE908ELNS1_3gpuE7ELNS1_3repE0EEENS1_30default_config_static_selectorELNS0_4arch9wavefront6targetE0EEEvT1_.num_agpr, 0
	.set _ZN7rocprim17ROCPRIM_400000_NS6detail17trampoline_kernelINS0_14default_configENS1_25transform_config_selectorImLb1EEEZNS1_14transform_implILb1ES3_S5_PmPlNS0_8identityIvEEEE10hipError_tT2_T3_mT4_P12ihipStream_tbEUlT_E_NS1_11comp_targetILNS1_3genE3ELNS1_11target_archE908ELNS1_3gpuE7ELNS1_3repE0EEENS1_30default_config_static_selectorELNS0_4arch9wavefront6targetE0EEEvT1_.numbered_sgpr, 0
	.set _ZN7rocprim17ROCPRIM_400000_NS6detail17trampoline_kernelINS0_14default_configENS1_25transform_config_selectorImLb1EEEZNS1_14transform_implILb1ES3_S5_PmPlNS0_8identityIvEEEE10hipError_tT2_T3_mT4_P12ihipStream_tbEUlT_E_NS1_11comp_targetILNS1_3genE3ELNS1_11target_archE908ELNS1_3gpuE7ELNS1_3repE0EEENS1_30default_config_static_selectorELNS0_4arch9wavefront6targetE0EEEvT1_.num_named_barrier, 0
	.set _ZN7rocprim17ROCPRIM_400000_NS6detail17trampoline_kernelINS0_14default_configENS1_25transform_config_selectorImLb1EEEZNS1_14transform_implILb1ES3_S5_PmPlNS0_8identityIvEEEE10hipError_tT2_T3_mT4_P12ihipStream_tbEUlT_E_NS1_11comp_targetILNS1_3genE3ELNS1_11target_archE908ELNS1_3gpuE7ELNS1_3repE0EEENS1_30default_config_static_selectorELNS0_4arch9wavefront6targetE0EEEvT1_.private_seg_size, 0
	.set _ZN7rocprim17ROCPRIM_400000_NS6detail17trampoline_kernelINS0_14default_configENS1_25transform_config_selectorImLb1EEEZNS1_14transform_implILb1ES3_S5_PmPlNS0_8identityIvEEEE10hipError_tT2_T3_mT4_P12ihipStream_tbEUlT_E_NS1_11comp_targetILNS1_3genE3ELNS1_11target_archE908ELNS1_3gpuE7ELNS1_3repE0EEENS1_30default_config_static_selectorELNS0_4arch9wavefront6targetE0EEEvT1_.uses_vcc, 0
	.set _ZN7rocprim17ROCPRIM_400000_NS6detail17trampoline_kernelINS0_14default_configENS1_25transform_config_selectorImLb1EEEZNS1_14transform_implILb1ES3_S5_PmPlNS0_8identityIvEEEE10hipError_tT2_T3_mT4_P12ihipStream_tbEUlT_E_NS1_11comp_targetILNS1_3genE3ELNS1_11target_archE908ELNS1_3gpuE7ELNS1_3repE0EEENS1_30default_config_static_selectorELNS0_4arch9wavefront6targetE0EEEvT1_.uses_flat_scratch, 0
	.set _ZN7rocprim17ROCPRIM_400000_NS6detail17trampoline_kernelINS0_14default_configENS1_25transform_config_selectorImLb1EEEZNS1_14transform_implILb1ES3_S5_PmPlNS0_8identityIvEEEE10hipError_tT2_T3_mT4_P12ihipStream_tbEUlT_E_NS1_11comp_targetILNS1_3genE3ELNS1_11target_archE908ELNS1_3gpuE7ELNS1_3repE0EEENS1_30default_config_static_selectorELNS0_4arch9wavefront6targetE0EEEvT1_.has_dyn_sized_stack, 0
	.set _ZN7rocprim17ROCPRIM_400000_NS6detail17trampoline_kernelINS0_14default_configENS1_25transform_config_selectorImLb1EEEZNS1_14transform_implILb1ES3_S5_PmPlNS0_8identityIvEEEE10hipError_tT2_T3_mT4_P12ihipStream_tbEUlT_E_NS1_11comp_targetILNS1_3genE3ELNS1_11target_archE908ELNS1_3gpuE7ELNS1_3repE0EEENS1_30default_config_static_selectorELNS0_4arch9wavefront6targetE0EEEvT1_.has_recursion, 0
	.set _ZN7rocprim17ROCPRIM_400000_NS6detail17trampoline_kernelINS0_14default_configENS1_25transform_config_selectorImLb1EEEZNS1_14transform_implILb1ES3_S5_PmPlNS0_8identityIvEEEE10hipError_tT2_T3_mT4_P12ihipStream_tbEUlT_E_NS1_11comp_targetILNS1_3genE3ELNS1_11target_archE908ELNS1_3gpuE7ELNS1_3repE0EEENS1_30default_config_static_selectorELNS0_4arch9wavefront6targetE0EEEvT1_.has_indirect_call, 0
	.section	.AMDGPU.csdata,"",@progbits
; Kernel info:
; codeLenInByte = 0
; TotalNumSgprs: 0
; NumVgprs: 0
; ScratchSize: 0
; MemoryBound: 0
; FloatMode: 240
; IeeeMode: 1
; LDSByteSize: 0 bytes/workgroup (compile time only)
; SGPRBlocks: 0
; VGPRBlocks: 0
; NumSGPRsForWavesPerEU: 1
; NumVGPRsForWavesPerEU: 1
; Occupancy: 16
; WaveLimiterHint : 0
; COMPUTE_PGM_RSRC2:SCRATCH_EN: 0
; COMPUTE_PGM_RSRC2:USER_SGPR: 6
; COMPUTE_PGM_RSRC2:TRAP_HANDLER: 0
; COMPUTE_PGM_RSRC2:TGID_X_EN: 1
; COMPUTE_PGM_RSRC2:TGID_Y_EN: 0
; COMPUTE_PGM_RSRC2:TGID_Z_EN: 0
; COMPUTE_PGM_RSRC2:TIDIG_COMP_CNT: 0
	.section	.text._ZN7rocprim17ROCPRIM_400000_NS6detail17trampoline_kernelINS0_14default_configENS1_25transform_config_selectorImLb1EEEZNS1_14transform_implILb1ES3_S5_PmPlNS0_8identityIvEEEE10hipError_tT2_T3_mT4_P12ihipStream_tbEUlT_E_NS1_11comp_targetILNS1_3genE2ELNS1_11target_archE906ELNS1_3gpuE6ELNS1_3repE0EEENS1_30default_config_static_selectorELNS0_4arch9wavefront6targetE0EEEvT1_,"axG",@progbits,_ZN7rocprim17ROCPRIM_400000_NS6detail17trampoline_kernelINS0_14default_configENS1_25transform_config_selectorImLb1EEEZNS1_14transform_implILb1ES3_S5_PmPlNS0_8identityIvEEEE10hipError_tT2_T3_mT4_P12ihipStream_tbEUlT_E_NS1_11comp_targetILNS1_3genE2ELNS1_11target_archE906ELNS1_3gpuE6ELNS1_3repE0EEENS1_30default_config_static_selectorELNS0_4arch9wavefront6targetE0EEEvT1_,comdat
	.protected	_ZN7rocprim17ROCPRIM_400000_NS6detail17trampoline_kernelINS0_14default_configENS1_25transform_config_selectorImLb1EEEZNS1_14transform_implILb1ES3_S5_PmPlNS0_8identityIvEEEE10hipError_tT2_T3_mT4_P12ihipStream_tbEUlT_E_NS1_11comp_targetILNS1_3genE2ELNS1_11target_archE906ELNS1_3gpuE6ELNS1_3repE0EEENS1_30default_config_static_selectorELNS0_4arch9wavefront6targetE0EEEvT1_ ; -- Begin function _ZN7rocprim17ROCPRIM_400000_NS6detail17trampoline_kernelINS0_14default_configENS1_25transform_config_selectorImLb1EEEZNS1_14transform_implILb1ES3_S5_PmPlNS0_8identityIvEEEE10hipError_tT2_T3_mT4_P12ihipStream_tbEUlT_E_NS1_11comp_targetILNS1_3genE2ELNS1_11target_archE906ELNS1_3gpuE6ELNS1_3repE0EEENS1_30default_config_static_selectorELNS0_4arch9wavefront6targetE0EEEvT1_
	.globl	_ZN7rocprim17ROCPRIM_400000_NS6detail17trampoline_kernelINS0_14default_configENS1_25transform_config_selectorImLb1EEEZNS1_14transform_implILb1ES3_S5_PmPlNS0_8identityIvEEEE10hipError_tT2_T3_mT4_P12ihipStream_tbEUlT_E_NS1_11comp_targetILNS1_3genE2ELNS1_11target_archE906ELNS1_3gpuE6ELNS1_3repE0EEENS1_30default_config_static_selectorELNS0_4arch9wavefront6targetE0EEEvT1_
	.p2align	8
	.type	_ZN7rocprim17ROCPRIM_400000_NS6detail17trampoline_kernelINS0_14default_configENS1_25transform_config_selectorImLb1EEEZNS1_14transform_implILb1ES3_S5_PmPlNS0_8identityIvEEEE10hipError_tT2_T3_mT4_P12ihipStream_tbEUlT_E_NS1_11comp_targetILNS1_3genE2ELNS1_11target_archE906ELNS1_3gpuE6ELNS1_3repE0EEENS1_30default_config_static_selectorELNS0_4arch9wavefront6targetE0EEEvT1_,@function
_ZN7rocprim17ROCPRIM_400000_NS6detail17trampoline_kernelINS0_14default_configENS1_25transform_config_selectorImLb1EEEZNS1_14transform_implILb1ES3_S5_PmPlNS0_8identityIvEEEE10hipError_tT2_T3_mT4_P12ihipStream_tbEUlT_E_NS1_11comp_targetILNS1_3genE2ELNS1_11target_archE906ELNS1_3gpuE6ELNS1_3repE0EEENS1_30default_config_static_selectorELNS0_4arch9wavefront6targetE0EEEvT1_: ; @_ZN7rocprim17ROCPRIM_400000_NS6detail17trampoline_kernelINS0_14default_configENS1_25transform_config_selectorImLb1EEEZNS1_14transform_implILb1ES3_S5_PmPlNS0_8identityIvEEEE10hipError_tT2_T3_mT4_P12ihipStream_tbEUlT_E_NS1_11comp_targetILNS1_3genE2ELNS1_11target_archE906ELNS1_3gpuE6ELNS1_3repE0EEENS1_30default_config_static_selectorELNS0_4arch9wavefront6targetE0EEEvT1_
; %bb.0:
	.section	.rodata,"a",@progbits
	.p2align	6, 0x0
	.amdhsa_kernel _ZN7rocprim17ROCPRIM_400000_NS6detail17trampoline_kernelINS0_14default_configENS1_25transform_config_selectorImLb1EEEZNS1_14transform_implILb1ES3_S5_PmPlNS0_8identityIvEEEE10hipError_tT2_T3_mT4_P12ihipStream_tbEUlT_E_NS1_11comp_targetILNS1_3genE2ELNS1_11target_archE906ELNS1_3gpuE6ELNS1_3repE0EEENS1_30default_config_static_selectorELNS0_4arch9wavefront6targetE0EEEvT1_
		.amdhsa_group_segment_fixed_size 0
		.amdhsa_private_segment_fixed_size 0
		.amdhsa_kernarg_size 40
		.amdhsa_user_sgpr_count 6
		.amdhsa_user_sgpr_private_segment_buffer 1
		.amdhsa_user_sgpr_dispatch_ptr 0
		.amdhsa_user_sgpr_queue_ptr 0
		.amdhsa_user_sgpr_kernarg_segment_ptr 1
		.amdhsa_user_sgpr_dispatch_id 0
		.amdhsa_user_sgpr_flat_scratch_init 0
		.amdhsa_user_sgpr_private_segment_size 0
		.amdhsa_wavefront_size32 1
		.amdhsa_uses_dynamic_stack 0
		.amdhsa_system_sgpr_private_segment_wavefront_offset 0
		.amdhsa_system_sgpr_workgroup_id_x 1
		.amdhsa_system_sgpr_workgroup_id_y 0
		.amdhsa_system_sgpr_workgroup_id_z 0
		.amdhsa_system_sgpr_workgroup_info 0
		.amdhsa_system_vgpr_workitem_id 0
		.amdhsa_next_free_vgpr 1
		.amdhsa_next_free_sgpr 1
		.amdhsa_reserve_vcc 0
		.amdhsa_reserve_flat_scratch 0
		.amdhsa_float_round_mode_32 0
		.amdhsa_float_round_mode_16_64 0
		.amdhsa_float_denorm_mode_32 3
		.amdhsa_float_denorm_mode_16_64 3
		.amdhsa_dx10_clamp 1
		.amdhsa_ieee_mode 1
		.amdhsa_fp16_overflow 0
		.amdhsa_workgroup_processor_mode 1
		.amdhsa_memory_ordered 1
		.amdhsa_forward_progress 1
		.amdhsa_shared_vgpr_count 0
		.amdhsa_exception_fp_ieee_invalid_op 0
		.amdhsa_exception_fp_denorm_src 0
		.amdhsa_exception_fp_ieee_div_zero 0
		.amdhsa_exception_fp_ieee_overflow 0
		.amdhsa_exception_fp_ieee_underflow 0
		.amdhsa_exception_fp_ieee_inexact 0
		.amdhsa_exception_int_div_zero 0
	.end_amdhsa_kernel
	.section	.text._ZN7rocprim17ROCPRIM_400000_NS6detail17trampoline_kernelINS0_14default_configENS1_25transform_config_selectorImLb1EEEZNS1_14transform_implILb1ES3_S5_PmPlNS0_8identityIvEEEE10hipError_tT2_T3_mT4_P12ihipStream_tbEUlT_E_NS1_11comp_targetILNS1_3genE2ELNS1_11target_archE906ELNS1_3gpuE6ELNS1_3repE0EEENS1_30default_config_static_selectorELNS0_4arch9wavefront6targetE0EEEvT1_,"axG",@progbits,_ZN7rocprim17ROCPRIM_400000_NS6detail17trampoline_kernelINS0_14default_configENS1_25transform_config_selectorImLb1EEEZNS1_14transform_implILb1ES3_S5_PmPlNS0_8identityIvEEEE10hipError_tT2_T3_mT4_P12ihipStream_tbEUlT_E_NS1_11comp_targetILNS1_3genE2ELNS1_11target_archE906ELNS1_3gpuE6ELNS1_3repE0EEENS1_30default_config_static_selectorELNS0_4arch9wavefront6targetE0EEEvT1_,comdat
.Lfunc_end191:
	.size	_ZN7rocprim17ROCPRIM_400000_NS6detail17trampoline_kernelINS0_14default_configENS1_25transform_config_selectorImLb1EEEZNS1_14transform_implILb1ES3_S5_PmPlNS0_8identityIvEEEE10hipError_tT2_T3_mT4_P12ihipStream_tbEUlT_E_NS1_11comp_targetILNS1_3genE2ELNS1_11target_archE906ELNS1_3gpuE6ELNS1_3repE0EEENS1_30default_config_static_selectorELNS0_4arch9wavefront6targetE0EEEvT1_, .Lfunc_end191-_ZN7rocprim17ROCPRIM_400000_NS6detail17trampoline_kernelINS0_14default_configENS1_25transform_config_selectorImLb1EEEZNS1_14transform_implILb1ES3_S5_PmPlNS0_8identityIvEEEE10hipError_tT2_T3_mT4_P12ihipStream_tbEUlT_E_NS1_11comp_targetILNS1_3genE2ELNS1_11target_archE906ELNS1_3gpuE6ELNS1_3repE0EEENS1_30default_config_static_selectorELNS0_4arch9wavefront6targetE0EEEvT1_
                                        ; -- End function
	.set _ZN7rocprim17ROCPRIM_400000_NS6detail17trampoline_kernelINS0_14default_configENS1_25transform_config_selectorImLb1EEEZNS1_14transform_implILb1ES3_S5_PmPlNS0_8identityIvEEEE10hipError_tT2_T3_mT4_P12ihipStream_tbEUlT_E_NS1_11comp_targetILNS1_3genE2ELNS1_11target_archE906ELNS1_3gpuE6ELNS1_3repE0EEENS1_30default_config_static_selectorELNS0_4arch9wavefront6targetE0EEEvT1_.num_vgpr, 0
	.set _ZN7rocprim17ROCPRIM_400000_NS6detail17trampoline_kernelINS0_14default_configENS1_25transform_config_selectorImLb1EEEZNS1_14transform_implILb1ES3_S5_PmPlNS0_8identityIvEEEE10hipError_tT2_T3_mT4_P12ihipStream_tbEUlT_E_NS1_11comp_targetILNS1_3genE2ELNS1_11target_archE906ELNS1_3gpuE6ELNS1_3repE0EEENS1_30default_config_static_selectorELNS0_4arch9wavefront6targetE0EEEvT1_.num_agpr, 0
	.set _ZN7rocprim17ROCPRIM_400000_NS6detail17trampoline_kernelINS0_14default_configENS1_25transform_config_selectorImLb1EEEZNS1_14transform_implILb1ES3_S5_PmPlNS0_8identityIvEEEE10hipError_tT2_T3_mT4_P12ihipStream_tbEUlT_E_NS1_11comp_targetILNS1_3genE2ELNS1_11target_archE906ELNS1_3gpuE6ELNS1_3repE0EEENS1_30default_config_static_selectorELNS0_4arch9wavefront6targetE0EEEvT1_.numbered_sgpr, 0
	.set _ZN7rocprim17ROCPRIM_400000_NS6detail17trampoline_kernelINS0_14default_configENS1_25transform_config_selectorImLb1EEEZNS1_14transform_implILb1ES3_S5_PmPlNS0_8identityIvEEEE10hipError_tT2_T3_mT4_P12ihipStream_tbEUlT_E_NS1_11comp_targetILNS1_3genE2ELNS1_11target_archE906ELNS1_3gpuE6ELNS1_3repE0EEENS1_30default_config_static_selectorELNS0_4arch9wavefront6targetE0EEEvT1_.num_named_barrier, 0
	.set _ZN7rocprim17ROCPRIM_400000_NS6detail17trampoline_kernelINS0_14default_configENS1_25transform_config_selectorImLb1EEEZNS1_14transform_implILb1ES3_S5_PmPlNS0_8identityIvEEEE10hipError_tT2_T3_mT4_P12ihipStream_tbEUlT_E_NS1_11comp_targetILNS1_3genE2ELNS1_11target_archE906ELNS1_3gpuE6ELNS1_3repE0EEENS1_30default_config_static_selectorELNS0_4arch9wavefront6targetE0EEEvT1_.private_seg_size, 0
	.set _ZN7rocprim17ROCPRIM_400000_NS6detail17trampoline_kernelINS0_14default_configENS1_25transform_config_selectorImLb1EEEZNS1_14transform_implILb1ES3_S5_PmPlNS0_8identityIvEEEE10hipError_tT2_T3_mT4_P12ihipStream_tbEUlT_E_NS1_11comp_targetILNS1_3genE2ELNS1_11target_archE906ELNS1_3gpuE6ELNS1_3repE0EEENS1_30default_config_static_selectorELNS0_4arch9wavefront6targetE0EEEvT1_.uses_vcc, 0
	.set _ZN7rocprim17ROCPRIM_400000_NS6detail17trampoline_kernelINS0_14default_configENS1_25transform_config_selectorImLb1EEEZNS1_14transform_implILb1ES3_S5_PmPlNS0_8identityIvEEEE10hipError_tT2_T3_mT4_P12ihipStream_tbEUlT_E_NS1_11comp_targetILNS1_3genE2ELNS1_11target_archE906ELNS1_3gpuE6ELNS1_3repE0EEENS1_30default_config_static_selectorELNS0_4arch9wavefront6targetE0EEEvT1_.uses_flat_scratch, 0
	.set _ZN7rocprim17ROCPRIM_400000_NS6detail17trampoline_kernelINS0_14default_configENS1_25transform_config_selectorImLb1EEEZNS1_14transform_implILb1ES3_S5_PmPlNS0_8identityIvEEEE10hipError_tT2_T3_mT4_P12ihipStream_tbEUlT_E_NS1_11comp_targetILNS1_3genE2ELNS1_11target_archE906ELNS1_3gpuE6ELNS1_3repE0EEENS1_30default_config_static_selectorELNS0_4arch9wavefront6targetE0EEEvT1_.has_dyn_sized_stack, 0
	.set _ZN7rocprim17ROCPRIM_400000_NS6detail17trampoline_kernelINS0_14default_configENS1_25transform_config_selectorImLb1EEEZNS1_14transform_implILb1ES3_S5_PmPlNS0_8identityIvEEEE10hipError_tT2_T3_mT4_P12ihipStream_tbEUlT_E_NS1_11comp_targetILNS1_3genE2ELNS1_11target_archE906ELNS1_3gpuE6ELNS1_3repE0EEENS1_30default_config_static_selectorELNS0_4arch9wavefront6targetE0EEEvT1_.has_recursion, 0
	.set _ZN7rocprim17ROCPRIM_400000_NS6detail17trampoline_kernelINS0_14default_configENS1_25transform_config_selectorImLb1EEEZNS1_14transform_implILb1ES3_S5_PmPlNS0_8identityIvEEEE10hipError_tT2_T3_mT4_P12ihipStream_tbEUlT_E_NS1_11comp_targetILNS1_3genE2ELNS1_11target_archE906ELNS1_3gpuE6ELNS1_3repE0EEENS1_30default_config_static_selectorELNS0_4arch9wavefront6targetE0EEEvT1_.has_indirect_call, 0
	.section	.AMDGPU.csdata,"",@progbits
; Kernel info:
; codeLenInByte = 0
; TotalNumSgprs: 0
; NumVgprs: 0
; ScratchSize: 0
; MemoryBound: 0
; FloatMode: 240
; IeeeMode: 1
; LDSByteSize: 0 bytes/workgroup (compile time only)
; SGPRBlocks: 0
; VGPRBlocks: 0
; NumSGPRsForWavesPerEU: 1
; NumVGPRsForWavesPerEU: 1
; Occupancy: 16
; WaveLimiterHint : 0
; COMPUTE_PGM_RSRC2:SCRATCH_EN: 0
; COMPUTE_PGM_RSRC2:USER_SGPR: 6
; COMPUTE_PGM_RSRC2:TRAP_HANDLER: 0
; COMPUTE_PGM_RSRC2:TGID_X_EN: 1
; COMPUTE_PGM_RSRC2:TGID_Y_EN: 0
; COMPUTE_PGM_RSRC2:TGID_Z_EN: 0
; COMPUTE_PGM_RSRC2:TIDIG_COMP_CNT: 0
	.section	.text._ZN7rocprim17ROCPRIM_400000_NS6detail17trampoline_kernelINS0_14default_configENS1_25transform_config_selectorImLb1EEEZNS1_14transform_implILb1ES3_S5_PmPlNS0_8identityIvEEEE10hipError_tT2_T3_mT4_P12ihipStream_tbEUlT_E_NS1_11comp_targetILNS1_3genE9ELNS1_11target_archE1100ELNS1_3gpuE3ELNS1_3repE0EEENS1_30default_config_static_selectorELNS0_4arch9wavefront6targetE0EEEvT1_,"axG",@progbits,_ZN7rocprim17ROCPRIM_400000_NS6detail17trampoline_kernelINS0_14default_configENS1_25transform_config_selectorImLb1EEEZNS1_14transform_implILb1ES3_S5_PmPlNS0_8identityIvEEEE10hipError_tT2_T3_mT4_P12ihipStream_tbEUlT_E_NS1_11comp_targetILNS1_3genE9ELNS1_11target_archE1100ELNS1_3gpuE3ELNS1_3repE0EEENS1_30default_config_static_selectorELNS0_4arch9wavefront6targetE0EEEvT1_,comdat
	.protected	_ZN7rocprim17ROCPRIM_400000_NS6detail17trampoline_kernelINS0_14default_configENS1_25transform_config_selectorImLb1EEEZNS1_14transform_implILb1ES3_S5_PmPlNS0_8identityIvEEEE10hipError_tT2_T3_mT4_P12ihipStream_tbEUlT_E_NS1_11comp_targetILNS1_3genE9ELNS1_11target_archE1100ELNS1_3gpuE3ELNS1_3repE0EEENS1_30default_config_static_selectorELNS0_4arch9wavefront6targetE0EEEvT1_ ; -- Begin function _ZN7rocprim17ROCPRIM_400000_NS6detail17trampoline_kernelINS0_14default_configENS1_25transform_config_selectorImLb1EEEZNS1_14transform_implILb1ES3_S5_PmPlNS0_8identityIvEEEE10hipError_tT2_T3_mT4_P12ihipStream_tbEUlT_E_NS1_11comp_targetILNS1_3genE9ELNS1_11target_archE1100ELNS1_3gpuE3ELNS1_3repE0EEENS1_30default_config_static_selectorELNS0_4arch9wavefront6targetE0EEEvT1_
	.globl	_ZN7rocprim17ROCPRIM_400000_NS6detail17trampoline_kernelINS0_14default_configENS1_25transform_config_selectorImLb1EEEZNS1_14transform_implILb1ES3_S5_PmPlNS0_8identityIvEEEE10hipError_tT2_T3_mT4_P12ihipStream_tbEUlT_E_NS1_11comp_targetILNS1_3genE9ELNS1_11target_archE1100ELNS1_3gpuE3ELNS1_3repE0EEENS1_30default_config_static_selectorELNS0_4arch9wavefront6targetE0EEEvT1_
	.p2align	8
	.type	_ZN7rocprim17ROCPRIM_400000_NS6detail17trampoline_kernelINS0_14default_configENS1_25transform_config_selectorImLb1EEEZNS1_14transform_implILb1ES3_S5_PmPlNS0_8identityIvEEEE10hipError_tT2_T3_mT4_P12ihipStream_tbEUlT_E_NS1_11comp_targetILNS1_3genE9ELNS1_11target_archE1100ELNS1_3gpuE3ELNS1_3repE0EEENS1_30default_config_static_selectorELNS0_4arch9wavefront6targetE0EEEvT1_,@function
_ZN7rocprim17ROCPRIM_400000_NS6detail17trampoline_kernelINS0_14default_configENS1_25transform_config_selectorImLb1EEEZNS1_14transform_implILb1ES3_S5_PmPlNS0_8identityIvEEEE10hipError_tT2_T3_mT4_P12ihipStream_tbEUlT_E_NS1_11comp_targetILNS1_3genE9ELNS1_11target_archE1100ELNS1_3gpuE3ELNS1_3repE0EEENS1_30default_config_static_selectorELNS0_4arch9wavefront6targetE0EEEvT1_: ; @_ZN7rocprim17ROCPRIM_400000_NS6detail17trampoline_kernelINS0_14default_configENS1_25transform_config_selectorImLb1EEEZNS1_14transform_implILb1ES3_S5_PmPlNS0_8identityIvEEEE10hipError_tT2_T3_mT4_P12ihipStream_tbEUlT_E_NS1_11comp_targetILNS1_3genE9ELNS1_11target_archE1100ELNS1_3gpuE3ELNS1_3repE0EEENS1_30default_config_static_selectorELNS0_4arch9wavefront6targetE0EEEvT1_
; %bb.0:
	.section	.rodata,"a",@progbits
	.p2align	6, 0x0
	.amdhsa_kernel _ZN7rocprim17ROCPRIM_400000_NS6detail17trampoline_kernelINS0_14default_configENS1_25transform_config_selectorImLb1EEEZNS1_14transform_implILb1ES3_S5_PmPlNS0_8identityIvEEEE10hipError_tT2_T3_mT4_P12ihipStream_tbEUlT_E_NS1_11comp_targetILNS1_3genE9ELNS1_11target_archE1100ELNS1_3gpuE3ELNS1_3repE0EEENS1_30default_config_static_selectorELNS0_4arch9wavefront6targetE0EEEvT1_
		.amdhsa_group_segment_fixed_size 0
		.amdhsa_private_segment_fixed_size 0
		.amdhsa_kernarg_size 40
		.amdhsa_user_sgpr_count 6
		.amdhsa_user_sgpr_private_segment_buffer 1
		.amdhsa_user_sgpr_dispatch_ptr 0
		.amdhsa_user_sgpr_queue_ptr 0
		.amdhsa_user_sgpr_kernarg_segment_ptr 1
		.amdhsa_user_sgpr_dispatch_id 0
		.amdhsa_user_sgpr_flat_scratch_init 0
		.amdhsa_user_sgpr_private_segment_size 0
		.amdhsa_wavefront_size32 1
		.amdhsa_uses_dynamic_stack 0
		.amdhsa_system_sgpr_private_segment_wavefront_offset 0
		.amdhsa_system_sgpr_workgroup_id_x 1
		.amdhsa_system_sgpr_workgroup_id_y 0
		.amdhsa_system_sgpr_workgroup_id_z 0
		.amdhsa_system_sgpr_workgroup_info 0
		.amdhsa_system_vgpr_workitem_id 0
		.amdhsa_next_free_vgpr 1
		.amdhsa_next_free_sgpr 1
		.amdhsa_reserve_vcc 0
		.amdhsa_reserve_flat_scratch 0
		.amdhsa_float_round_mode_32 0
		.amdhsa_float_round_mode_16_64 0
		.amdhsa_float_denorm_mode_32 3
		.amdhsa_float_denorm_mode_16_64 3
		.amdhsa_dx10_clamp 1
		.amdhsa_ieee_mode 1
		.amdhsa_fp16_overflow 0
		.amdhsa_workgroup_processor_mode 1
		.amdhsa_memory_ordered 1
		.amdhsa_forward_progress 1
		.amdhsa_shared_vgpr_count 0
		.amdhsa_exception_fp_ieee_invalid_op 0
		.amdhsa_exception_fp_denorm_src 0
		.amdhsa_exception_fp_ieee_div_zero 0
		.amdhsa_exception_fp_ieee_overflow 0
		.amdhsa_exception_fp_ieee_underflow 0
		.amdhsa_exception_fp_ieee_inexact 0
		.amdhsa_exception_int_div_zero 0
	.end_amdhsa_kernel
	.section	.text._ZN7rocprim17ROCPRIM_400000_NS6detail17trampoline_kernelINS0_14default_configENS1_25transform_config_selectorImLb1EEEZNS1_14transform_implILb1ES3_S5_PmPlNS0_8identityIvEEEE10hipError_tT2_T3_mT4_P12ihipStream_tbEUlT_E_NS1_11comp_targetILNS1_3genE9ELNS1_11target_archE1100ELNS1_3gpuE3ELNS1_3repE0EEENS1_30default_config_static_selectorELNS0_4arch9wavefront6targetE0EEEvT1_,"axG",@progbits,_ZN7rocprim17ROCPRIM_400000_NS6detail17trampoline_kernelINS0_14default_configENS1_25transform_config_selectorImLb1EEEZNS1_14transform_implILb1ES3_S5_PmPlNS0_8identityIvEEEE10hipError_tT2_T3_mT4_P12ihipStream_tbEUlT_E_NS1_11comp_targetILNS1_3genE9ELNS1_11target_archE1100ELNS1_3gpuE3ELNS1_3repE0EEENS1_30default_config_static_selectorELNS0_4arch9wavefront6targetE0EEEvT1_,comdat
.Lfunc_end192:
	.size	_ZN7rocprim17ROCPRIM_400000_NS6detail17trampoline_kernelINS0_14default_configENS1_25transform_config_selectorImLb1EEEZNS1_14transform_implILb1ES3_S5_PmPlNS0_8identityIvEEEE10hipError_tT2_T3_mT4_P12ihipStream_tbEUlT_E_NS1_11comp_targetILNS1_3genE9ELNS1_11target_archE1100ELNS1_3gpuE3ELNS1_3repE0EEENS1_30default_config_static_selectorELNS0_4arch9wavefront6targetE0EEEvT1_, .Lfunc_end192-_ZN7rocprim17ROCPRIM_400000_NS6detail17trampoline_kernelINS0_14default_configENS1_25transform_config_selectorImLb1EEEZNS1_14transform_implILb1ES3_S5_PmPlNS0_8identityIvEEEE10hipError_tT2_T3_mT4_P12ihipStream_tbEUlT_E_NS1_11comp_targetILNS1_3genE9ELNS1_11target_archE1100ELNS1_3gpuE3ELNS1_3repE0EEENS1_30default_config_static_selectorELNS0_4arch9wavefront6targetE0EEEvT1_
                                        ; -- End function
	.set _ZN7rocprim17ROCPRIM_400000_NS6detail17trampoline_kernelINS0_14default_configENS1_25transform_config_selectorImLb1EEEZNS1_14transform_implILb1ES3_S5_PmPlNS0_8identityIvEEEE10hipError_tT2_T3_mT4_P12ihipStream_tbEUlT_E_NS1_11comp_targetILNS1_3genE9ELNS1_11target_archE1100ELNS1_3gpuE3ELNS1_3repE0EEENS1_30default_config_static_selectorELNS0_4arch9wavefront6targetE0EEEvT1_.num_vgpr, 0
	.set _ZN7rocprim17ROCPRIM_400000_NS6detail17trampoline_kernelINS0_14default_configENS1_25transform_config_selectorImLb1EEEZNS1_14transform_implILb1ES3_S5_PmPlNS0_8identityIvEEEE10hipError_tT2_T3_mT4_P12ihipStream_tbEUlT_E_NS1_11comp_targetILNS1_3genE9ELNS1_11target_archE1100ELNS1_3gpuE3ELNS1_3repE0EEENS1_30default_config_static_selectorELNS0_4arch9wavefront6targetE0EEEvT1_.num_agpr, 0
	.set _ZN7rocprim17ROCPRIM_400000_NS6detail17trampoline_kernelINS0_14default_configENS1_25transform_config_selectorImLb1EEEZNS1_14transform_implILb1ES3_S5_PmPlNS0_8identityIvEEEE10hipError_tT2_T3_mT4_P12ihipStream_tbEUlT_E_NS1_11comp_targetILNS1_3genE9ELNS1_11target_archE1100ELNS1_3gpuE3ELNS1_3repE0EEENS1_30default_config_static_selectorELNS0_4arch9wavefront6targetE0EEEvT1_.numbered_sgpr, 0
	.set _ZN7rocprim17ROCPRIM_400000_NS6detail17trampoline_kernelINS0_14default_configENS1_25transform_config_selectorImLb1EEEZNS1_14transform_implILb1ES3_S5_PmPlNS0_8identityIvEEEE10hipError_tT2_T3_mT4_P12ihipStream_tbEUlT_E_NS1_11comp_targetILNS1_3genE9ELNS1_11target_archE1100ELNS1_3gpuE3ELNS1_3repE0EEENS1_30default_config_static_selectorELNS0_4arch9wavefront6targetE0EEEvT1_.num_named_barrier, 0
	.set _ZN7rocprim17ROCPRIM_400000_NS6detail17trampoline_kernelINS0_14default_configENS1_25transform_config_selectorImLb1EEEZNS1_14transform_implILb1ES3_S5_PmPlNS0_8identityIvEEEE10hipError_tT2_T3_mT4_P12ihipStream_tbEUlT_E_NS1_11comp_targetILNS1_3genE9ELNS1_11target_archE1100ELNS1_3gpuE3ELNS1_3repE0EEENS1_30default_config_static_selectorELNS0_4arch9wavefront6targetE0EEEvT1_.private_seg_size, 0
	.set _ZN7rocprim17ROCPRIM_400000_NS6detail17trampoline_kernelINS0_14default_configENS1_25transform_config_selectorImLb1EEEZNS1_14transform_implILb1ES3_S5_PmPlNS0_8identityIvEEEE10hipError_tT2_T3_mT4_P12ihipStream_tbEUlT_E_NS1_11comp_targetILNS1_3genE9ELNS1_11target_archE1100ELNS1_3gpuE3ELNS1_3repE0EEENS1_30default_config_static_selectorELNS0_4arch9wavefront6targetE0EEEvT1_.uses_vcc, 0
	.set _ZN7rocprim17ROCPRIM_400000_NS6detail17trampoline_kernelINS0_14default_configENS1_25transform_config_selectorImLb1EEEZNS1_14transform_implILb1ES3_S5_PmPlNS0_8identityIvEEEE10hipError_tT2_T3_mT4_P12ihipStream_tbEUlT_E_NS1_11comp_targetILNS1_3genE9ELNS1_11target_archE1100ELNS1_3gpuE3ELNS1_3repE0EEENS1_30default_config_static_selectorELNS0_4arch9wavefront6targetE0EEEvT1_.uses_flat_scratch, 0
	.set _ZN7rocprim17ROCPRIM_400000_NS6detail17trampoline_kernelINS0_14default_configENS1_25transform_config_selectorImLb1EEEZNS1_14transform_implILb1ES3_S5_PmPlNS0_8identityIvEEEE10hipError_tT2_T3_mT4_P12ihipStream_tbEUlT_E_NS1_11comp_targetILNS1_3genE9ELNS1_11target_archE1100ELNS1_3gpuE3ELNS1_3repE0EEENS1_30default_config_static_selectorELNS0_4arch9wavefront6targetE0EEEvT1_.has_dyn_sized_stack, 0
	.set _ZN7rocprim17ROCPRIM_400000_NS6detail17trampoline_kernelINS0_14default_configENS1_25transform_config_selectorImLb1EEEZNS1_14transform_implILb1ES3_S5_PmPlNS0_8identityIvEEEE10hipError_tT2_T3_mT4_P12ihipStream_tbEUlT_E_NS1_11comp_targetILNS1_3genE9ELNS1_11target_archE1100ELNS1_3gpuE3ELNS1_3repE0EEENS1_30default_config_static_selectorELNS0_4arch9wavefront6targetE0EEEvT1_.has_recursion, 0
	.set _ZN7rocprim17ROCPRIM_400000_NS6detail17trampoline_kernelINS0_14default_configENS1_25transform_config_selectorImLb1EEEZNS1_14transform_implILb1ES3_S5_PmPlNS0_8identityIvEEEE10hipError_tT2_T3_mT4_P12ihipStream_tbEUlT_E_NS1_11comp_targetILNS1_3genE9ELNS1_11target_archE1100ELNS1_3gpuE3ELNS1_3repE0EEENS1_30default_config_static_selectorELNS0_4arch9wavefront6targetE0EEEvT1_.has_indirect_call, 0
	.section	.AMDGPU.csdata,"",@progbits
; Kernel info:
; codeLenInByte = 0
; TotalNumSgprs: 0
; NumVgprs: 0
; ScratchSize: 0
; MemoryBound: 0
; FloatMode: 240
; IeeeMode: 1
; LDSByteSize: 0 bytes/workgroup (compile time only)
; SGPRBlocks: 0
; VGPRBlocks: 0
; NumSGPRsForWavesPerEU: 1
; NumVGPRsForWavesPerEU: 1
; Occupancy: 16
; WaveLimiterHint : 0
; COMPUTE_PGM_RSRC2:SCRATCH_EN: 0
; COMPUTE_PGM_RSRC2:USER_SGPR: 6
; COMPUTE_PGM_RSRC2:TRAP_HANDLER: 0
; COMPUTE_PGM_RSRC2:TGID_X_EN: 1
; COMPUTE_PGM_RSRC2:TGID_Y_EN: 0
; COMPUTE_PGM_RSRC2:TGID_Z_EN: 0
; COMPUTE_PGM_RSRC2:TIDIG_COMP_CNT: 0
	.section	.text._ZN7rocprim17ROCPRIM_400000_NS6detail17trampoline_kernelINS0_14default_configENS1_25transform_config_selectorImLb1EEEZNS1_14transform_implILb1ES3_S5_PmPlNS0_8identityIvEEEE10hipError_tT2_T3_mT4_P12ihipStream_tbEUlT_E_NS1_11comp_targetILNS1_3genE8ELNS1_11target_archE1030ELNS1_3gpuE2ELNS1_3repE0EEENS1_30default_config_static_selectorELNS0_4arch9wavefront6targetE0EEEvT1_,"axG",@progbits,_ZN7rocprim17ROCPRIM_400000_NS6detail17trampoline_kernelINS0_14default_configENS1_25transform_config_selectorImLb1EEEZNS1_14transform_implILb1ES3_S5_PmPlNS0_8identityIvEEEE10hipError_tT2_T3_mT4_P12ihipStream_tbEUlT_E_NS1_11comp_targetILNS1_3genE8ELNS1_11target_archE1030ELNS1_3gpuE2ELNS1_3repE0EEENS1_30default_config_static_selectorELNS0_4arch9wavefront6targetE0EEEvT1_,comdat
	.protected	_ZN7rocprim17ROCPRIM_400000_NS6detail17trampoline_kernelINS0_14default_configENS1_25transform_config_selectorImLb1EEEZNS1_14transform_implILb1ES3_S5_PmPlNS0_8identityIvEEEE10hipError_tT2_T3_mT4_P12ihipStream_tbEUlT_E_NS1_11comp_targetILNS1_3genE8ELNS1_11target_archE1030ELNS1_3gpuE2ELNS1_3repE0EEENS1_30default_config_static_selectorELNS0_4arch9wavefront6targetE0EEEvT1_ ; -- Begin function _ZN7rocprim17ROCPRIM_400000_NS6detail17trampoline_kernelINS0_14default_configENS1_25transform_config_selectorImLb1EEEZNS1_14transform_implILb1ES3_S5_PmPlNS0_8identityIvEEEE10hipError_tT2_T3_mT4_P12ihipStream_tbEUlT_E_NS1_11comp_targetILNS1_3genE8ELNS1_11target_archE1030ELNS1_3gpuE2ELNS1_3repE0EEENS1_30default_config_static_selectorELNS0_4arch9wavefront6targetE0EEEvT1_
	.globl	_ZN7rocprim17ROCPRIM_400000_NS6detail17trampoline_kernelINS0_14default_configENS1_25transform_config_selectorImLb1EEEZNS1_14transform_implILb1ES3_S5_PmPlNS0_8identityIvEEEE10hipError_tT2_T3_mT4_P12ihipStream_tbEUlT_E_NS1_11comp_targetILNS1_3genE8ELNS1_11target_archE1030ELNS1_3gpuE2ELNS1_3repE0EEENS1_30default_config_static_selectorELNS0_4arch9wavefront6targetE0EEEvT1_
	.p2align	8
	.type	_ZN7rocprim17ROCPRIM_400000_NS6detail17trampoline_kernelINS0_14default_configENS1_25transform_config_selectorImLb1EEEZNS1_14transform_implILb1ES3_S5_PmPlNS0_8identityIvEEEE10hipError_tT2_T3_mT4_P12ihipStream_tbEUlT_E_NS1_11comp_targetILNS1_3genE8ELNS1_11target_archE1030ELNS1_3gpuE2ELNS1_3repE0EEENS1_30default_config_static_selectorELNS0_4arch9wavefront6targetE0EEEvT1_,@function
_ZN7rocprim17ROCPRIM_400000_NS6detail17trampoline_kernelINS0_14default_configENS1_25transform_config_selectorImLb1EEEZNS1_14transform_implILb1ES3_S5_PmPlNS0_8identityIvEEEE10hipError_tT2_T3_mT4_P12ihipStream_tbEUlT_E_NS1_11comp_targetILNS1_3genE8ELNS1_11target_archE1030ELNS1_3gpuE2ELNS1_3repE0EEENS1_30default_config_static_selectorELNS0_4arch9wavefront6targetE0EEEvT1_: ; @_ZN7rocprim17ROCPRIM_400000_NS6detail17trampoline_kernelINS0_14default_configENS1_25transform_config_selectorImLb1EEEZNS1_14transform_implILb1ES3_S5_PmPlNS0_8identityIvEEEE10hipError_tT2_T3_mT4_P12ihipStream_tbEUlT_E_NS1_11comp_targetILNS1_3genE8ELNS1_11target_archE1030ELNS1_3gpuE2ELNS1_3repE0EEENS1_30default_config_static_selectorELNS0_4arch9wavefront6targetE0EEEvT1_
; %bb.0:
	s_clause 0x1
	s_load_dword s0, s[4:5], 0x28
	s_load_dword s1, s[4:5], 0x10
	s_waitcnt lgkmcnt(0)
	s_add_i32 s2, s0, -1
	s_lshl_b32 s0, s6, 10
	s_cmp_lg_u32 s6, s2
	s_cselect_b32 s2, -1, 0
	s_sub_i32 s1, s1, s0
	v_cmp_gt_u32_e32 vcc_lo, s1, v0
	s_or_b32 s1, vcc_lo, s2
	s_and_saveexec_b32 s2, s1
	s_cbranch_execz .LBB193_2
; %bb.1:
	s_clause 0x1
	s_load_dwordx4 s[8:11], s[4:5], 0x0
	s_load_dwordx2 s[2:3], s[4:5], 0x18
	s_mov_b32 s1, 0
	v_lshlrev_b32_e32 v2, 3, v0
	s_waitcnt lgkmcnt(0)
	s_lshl_b64 s[4:5], s[10:11], 3
	s_add_u32 s6, s8, s4
	s_addc_u32 s7, s9, s5
	s_lshl_b64 s[0:1], s[0:1], 3
	s_add_u32 s6, s6, s0
	s_addc_u32 s7, s7, s1
	s_add_u32 s2, s2, s4
	global_load_dwordx2 v[0:1], v2, s[6:7]
	s_addc_u32 s3, s3, s5
	s_add_u32 s0, s2, s0
	s_addc_u32 s1, s3, s1
	s_waitcnt vmcnt(0)
	global_store_dwordx2 v2, v[0:1], s[0:1]
.LBB193_2:
	s_endpgm
	.section	.rodata,"a",@progbits
	.p2align	6, 0x0
	.amdhsa_kernel _ZN7rocprim17ROCPRIM_400000_NS6detail17trampoline_kernelINS0_14default_configENS1_25transform_config_selectorImLb1EEEZNS1_14transform_implILb1ES3_S5_PmPlNS0_8identityIvEEEE10hipError_tT2_T3_mT4_P12ihipStream_tbEUlT_E_NS1_11comp_targetILNS1_3genE8ELNS1_11target_archE1030ELNS1_3gpuE2ELNS1_3repE0EEENS1_30default_config_static_selectorELNS0_4arch9wavefront6targetE0EEEvT1_
		.amdhsa_group_segment_fixed_size 0
		.amdhsa_private_segment_fixed_size 0
		.amdhsa_kernarg_size 296
		.amdhsa_user_sgpr_count 6
		.amdhsa_user_sgpr_private_segment_buffer 1
		.amdhsa_user_sgpr_dispatch_ptr 0
		.amdhsa_user_sgpr_queue_ptr 0
		.amdhsa_user_sgpr_kernarg_segment_ptr 1
		.amdhsa_user_sgpr_dispatch_id 0
		.amdhsa_user_sgpr_flat_scratch_init 0
		.amdhsa_user_sgpr_private_segment_size 0
		.amdhsa_wavefront_size32 1
		.amdhsa_uses_dynamic_stack 0
		.amdhsa_system_sgpr_private_segment_wavefront_offset 0
		.amdhsa_system_sgpr_workgroup_id_x 1
		.amdhsa_system_sgpr_workgroup_id_y 0
		.amdhsa_system_sgpr_workgroup_id_z 0
		.amdhsa_system_sgpr_workgroup_info 0
		.amdhsa_system_vgpr_workitem_id 0
		.amdhsa_next_free_vgpr 3
		.amdhsa_next_free_sgpr 12
		.amdhsa_reserve_vcc 1
		.amdhsa_reserve_flat_scratch 0
		.amdhsa_float_round_mode_32 0
		.amdhsa_float_round_mode_16_64 0
		.amdhsa_float_denorm_mode_32 3
		.amdhsa_float_denorm_mode_16_64 3
		.amdhsa_dx10_clamp 1
		.amdhsa_ieee_mode 1
		.amdhsa_fp16_overflow 0
		.amdhsa_workgroup_processor_mode 1
		.amdhsa_memory_ordered 1
		.amdhsa_forward_progress 1
		.amdhsa_shared_vgpr_count 0
		.amdhsa_exception_fp_ieee_invalid_op 0
		.amdhsa_exception_fp_denorm_src 0
		.amdhsa_exception_fp_ieee_div_zero 0
		.amdhsa_exception_fp_ieee_overflow 0
		.amdhsa_exception_fp_ieee_underflow 0
		.amdhsa_exception_fp_ieee_inexact 0
		.amdhsa_exception_int_div_zero 0
	.end_amdhsa_kernel
	.section	.text._ZN7rocprim17ROCPRIM_400000_NS6detail17trampoline_kernelINS0_14default_configENS1_25transform_config_selectorImLb1EEEZNS1_14transform_implILb1ES3_S5_PmPlNS0_8identityIvEEEE10hipError_tT2_T3_mT4_P12ihipStream_tbEUlT_E_NS1_11comp_targetILNS1_3genE8ELNS1_11target_archE1030ELNS1_3gpuE2ELNS1_3repE0EEENS1_30default_config_static_selectorELNS0_4arch9wavefront6targetE0EEEvT1_,"axG",@progbits,_ZN7rocprim17ROCPRIM_400000_NS6detail17trampoline_kernelINS0_14default_configENS1_25transform_config_selectorImLb1EEEZNS1_14transform_implILb1ES3_S5_PmPlNS0_8identityIvEEEE10hipError_tT2_T3_mT4_P12ihipStream_tbEUlT_E_NS1_11comp_targetILNS1_3genE8ELNS1_11target_archE1030ELNS1_3gpuE2ELNS1_3repE0EEENS1_30default_config_static_selectorELNS0_4arch9wavefront6targetE0EEEvT1_,comdat
.Lfunc_end193:
	.size	_ZN7rocprim17ROCPRIM_400000_NS6detail17trampoline_kernelINS0_14default_configENS1_25transform_config_selectorImLb1EEEZNS1_14transform_implILb1ES3_S5_PmPlNS0_8identityIvEEEE10hipError_tT2_T3_mT4_P12ihipStream_tbEUlT_E_NS1_11comp_targetILNS1_3genE8ELNS1_11target_archE1030ELNS1_3gpuE2ELNS1_3repE0EEENS1_30default_config_static_selectorELNS0_4arch9wavefront6targetE0EEEvT1_, .Lfunc_end193-_ZN7rocprim17ROCPRIM_400000_NS6detail17trampoline_kernelINS0_14default_configENS1_25transform_config_selectorImLb1EEEZNS1_14transform_implILb1ES3_S5_PmPlNS0_8identityIvEEEE10hipError_tT2_T3_mT4_P12ihipStream_tbEUlT_E_NS1_11comp_targetILNS1_3genE8ELNS1_11target_archE1030ELNS1_3gpuE2ELNS1_3repE0EEENS1_30default_config_static_selectorELNS0_4arch9wavefront6targetE0EEEvT1_
                                        ; -- End function
	.set _ZN7rocprim17ROCPRIM_400000_NS6detail17trampoline_kernelINS0_14default_configENS1_25transform_config_selectorImLb1EEEZNS1_14transform_implILb1ES3_S5_PmPlNS0_8identityIvEEEE10hipError_tT2_T3_mT4_P12ihipStream_tbEUlT_E_NS1_11comp_targetILNS1_3genE8ELNS1_11target_archE1030ELNS1_3gpuE2ELNS1_3repE0EEENS1_30default_config_static_selectorELNS0_4arch9wavefront6targetE0EEEvT1_.num_vgpr, 3
	.set _ZN7rocprim17ROCPRIM_400000_NS6detail17trampoline_kernelINS0_14default_configENS1_25transform_config_selectorImLb1EEEZNS1_14transform_implILb1ES3_S5_PmPlNS0_8identityIvEEEE10hipError_tT2_T3_mT4_P12ihipStream_tbEUlT_E_NS1_11comp_targetILNS1_3genE8ELNS1_11target_archE1030ELNS1_3gpuE2ELNS1_3repE0EEENS1_30default_config_static_selectorELNS0_4arch9wavefront6targetE0EEEvT1_.num_agpr, 0
	.set _ZN7rocprim17ROCPRIM_400000_NS6detail17trampoline_kernelINS0_14default_configENS1_25transform_config_selectorImLb1EEEZNS1_14transform_implILb1ES3_S5_PmPlNS0_8identityIvEEEE10hipError_tT2_T3_mT4_P12ihipStream_tbEUlT_E_NS1_11comp_targetILNS1_3genE8ELNS1_11target_archE1030ELNS1_3gpuE2ELNS1_3repE0EEENS1_30default_config_static_selectorELNS0_4arch9wavefront6targetE0EEEvT1_.numbered_sgpr, 12
	.set _ZN7rocprim17ROCPRIM_400000_NS6detail17trampoline_kernelINS0_14default_configENS1_25transform_config_selectorImLb1EEEZNS1_14transform_implILb1ES3_S5_PmPlNS0_8identityIvEEEE10hipError_tT2_T3_mT4_P12ihipStream_tbEUlT_E_NS1_11comp_targetILNS1_3genE8ELNS1_11target_archE1030ELNS1_3gpuE2ELNS1_3repE0EEENS1_30default_config_static_selectorELNS0_4arch9wavefront6targetE0EEEvT1_.num_named_barrier, 0
	.set _ZN7rocprim17ROCPRIM_400000_NS6detail17trampoline_kernelINS0_14default_configENS1_25transform_config_selectorImLb1EEEZNS1_14transform_implILb1ES3_S5_PmPlNS0_8identityIvEEEE10hipError_tT2_T3_mT4_P12ihipStream_tbEUlT_E_NS1_11comp_targetILNS1_3genE8ELNS1_11target_archE1030ELNS1_3gpuE2ELNS1_3repE0EEENS1_30default_config_static_selectorELNS0_4arch9wavefront6targetE0EEEvT1_.private_seg_size, 0
	.set _ZN7rocprim17ROCPRIM_400000_NS6detail17trampoline_kernelINS0_14default_configENS1_25transform_config_selectorImLb1EEEZNS1_14transform_implILb1ES3_S5_PmPlNS0_8identityIvEEEE10hipError_tT2_T3_mT4_P12ihipStream_tbEUlT_E_NS1_11comp_targetILNS1_3genE8ELNS1_11target_archE1030ELNS1_3gpuE2ELNS1_3repE0EEENS1_30default_config_static_selectorELNS0_4arch9wavefront6targetE0EEEvT1_.uses_vcc, 1
	.set _ZN7rocprim17ROCPRIM_400000_NS6detail17trampoline_kernelINS0_14default_configENS1_25transform_config_selectorImLb1EEEZNS1_14transform_implILb1ES3_S5_PmPlNS0_8identityIvEEEE10hipError_tT2_T3_mT4_P12ihipStream_tbEUlT_E_NS1_11comp_targetILNS1_3genE8ELNS1_11target_archE1030ELNS1_3gpuE2ELNS1_3repE0EEENS1_30default_config_static_selectorELNS0_4arch9wavefront6targetE0EEEvT1_.uses_flat_scratch, 0
	.set _ZN7rocprim17ROCPRIM_400000_NS6detail17trampoline_kernelINS0_14default_configENS1_25transform_config_selectorImLb1EEEZNS1_14transform_implILb1ES3_S5_PmPlNS0_8identityIvEEEE10hipError_tT2_T3_mT4_P12ihipStream_tbEUlT_E_NS1_11comp_targetILNS1_3genE8ELNS1_11target_archE1030ELNS1_3gpuE2ELNS1_3repE0EEENS1_30default_config_static_selectorELNS0_4arch9wavefront6targetE0EEEvT1_.has_dyn_sized_stack, 0
	.set _ZN7rocprim17ROCPRIM_400000_NS6detail17trampoline_kernelINS0_14default_configENS1_25transform_config_selectorImLb1EEEZNS1_14transform_implILb1ES3_S5_PmPlNS0_8identityIvEEEE10hipError_tT2_T3_mT4_P12ihipStream_tbEUlT_E_NS1_11comp_targetILNS1_3genE8ELNS1_11target_archE1030ELNS1_3gpuE2ELNS1_3repE0EEENS1_30default_config_static_selectorELNS0_4arch9wavefront6targetE0EEEvT1_.has_recursion, 0
	.set _ZN7rocprim17ROCPRIM_400000_NS6detail17trampoline_kernelINS0_14default_configENS1_25transform_config_selectorImLb1EEEZNS1_14transform_implILb1ES3_S5_PmPlNS0_8identityIvEEEE10hipError_tT2_T3_mT4_P12ihipStream_tbEUlT_E_NS1_11comp_targetILNS1_3genE8ELNS1_11target_archE1030ELNS1_3gpuE2ELNS1_3repE0EEENS1_30default_config_static_selectorELNS0_4arch9wavefront6targetE0EEEvT1_.has_indirect_call, 0
	.section	.AMDGPU.csdata,"",@progbits
; Kernel info:
; codeLenInByte = 156
; TotalNumSgprs: 14
; NumVgprs: 3
; ScratchSize: 0
; MemoryBound: 0
; FloatMode: 240
; IeeeMode: 1
; LDSByteSize: 0 bytes/workgroup (compile time only)
; SGPRBlocks: 0
; VGPRBlocks: 0
; NumSGPRsForWavesPerEU: 14
; NumVGPRsForWavesPerEU: 3
; Occupancy: 16
; WaveLimiterHint : 0
; COMPUTE_PGM_RSRC2:SCRATCH_EN: 0
; COMPUTE_PGM_RSRC2:USER_SGPR: 6
; COMPUTE_PGM_RSRC2:TRAP_HANDLER: 0
; COMPUTE_PGM_RSRC2:TGID_X_EN: 1
; COMPUTE_PGM_RSRC2:TGID_Y_EN: 0
; COMPUTE_PGM_RSRC2:TGID_Z_EN: 0
; COMPUTE_PGM_RSRC2:TIDIG_COMP_CNT: 0
	.section	.text._ZN7rocprim17ROCPRIM_400000_NS6detail31init_lookback_scan_state_kernelINS1_19lookback_scan_stateIjLb1ELb1EEENS1_16block_id_wrapperIjLb1EEEEEvT_jT0_jPNS7_10value_typeE,"axG",@progbits,_ZN7rocprim17ROCPRIM_400000_NS6detail31init_lookback_scan_state_kernelINS1_19lookback_scan_stateIjLb1ELb1EEENS1_16block_id_wrapperIjLb1EEEEEvT_jT0_jPNS7_10value_typeE,comdat
	.protected	_ZN7rocprim17ROCPRIM_400000_NS6detail31init_lookback_scan_state_kernelINS1_19lookback_scan_stateIjLb1ELb1EEENS1_16block_id_wrapperIjLb1EEEEEvT_jT0_jPNS7_10value_typeE ; -- Begin function _ZN7rocprim17ROCPRIM_400000_NS6detail31init_lookback_scan_state_kernelINS1_19lookback_scan_stateIjLb1ELb1EEENS1_16block_id_wrapperIjLb1EEEEEvT_jT0_jPNS7_10value_typeE
	.globl	_ZN7rocprim17ROCPRIM_400000_NS6detail31init_lookback_scan_state_kernelINS1_19lookback_scan_stateIjLb1ELb1EEENS1_16block_id_wrapperIjLb1EEEEEvT_jT0_jPNS7_10value_typeE
	.p2align	8
	.type	_ZN7rocprim17ROCPRIM_400000_NS6detail31init_lookback_scan_state_kernelINS1_19lookback_scan_stateIjLb1ELb1EEENS1_16block_id_wrapperIjLb1EEEEEvT_jT0_jPNS7_10value_typeE,@function
_ZN7rocprim17ROCPRIM_400000_NS6detail31init_lookback_scan_state_kernelINS1_19lookback_scan_stateIjLb1ELb1EEENS1_16block_id_wrapperIjLb1EEEEEvT_jT0_jPNS7_10value_typeE: ; @_ZN7rocprim17ROCPRIM_400000_NS6detail31init_lookback_scan_state_kernelINS1_19lookback_scan_stateIjLb1ELb1EEENS1_16block_id_wrapperIjLb1EEEEEvT_jT0_jPNS7_10value_typeE
; %bb.0:
	s_clause 0x3
	s_load_dword s7, s[4:5], 0x34
	s_load_dwordx2 s[2:3], s[4:5], 0x20
	s_load_dwordx2 s[0:1], s[4:5], 0x0
	s_load_dword s8, s[4:5], 0x8
	s_waitcnt lgkmcnt(0)
	s_and_b32 s7, s7, 0xffff
	s_cmp_eq_u64 s[2:3], 0
	v_mad_u64_u32 v[0:1], null, s6, s7, v[0:1]
	s_cbranch_scc1 .LBB194_9
; %bb.1:
	s_load_dword s6, s[4:5], 0x18
	s_waitcnt lgkmcnt(0)
	s_cmp_lt_u32 s6, s8
	s_cselect_b32 s7, s6, 0
	v_cmp_eq_u32_e32 vcc_lo, s7, v0
	s_mov_b32 s7, 0
	s_and_saveexec_b32 s9, vcc_lo
	s_cbranch_execz .LBB194_8
; %bb.2:
	s_add_i32 s6, s6, 32
	v_mov_b32_e32 v1, 0
	s_lshl_b64 s[6:7], s[6:7], 3
	s_add_u32 s6, s0, s6
	s_addc_u32 s7, s1, s7
	global_load_dwordx2 v[3:4], v1, s[6:7] glc dlc
	s_waitcnt vmcnt(0)
	v_and_b32_e32 v2, 0xff, v4
	v_cmp_ne_u64_e32 vcc_lo, 0, v[1:2]
	s_cbranch_vccnz .LBB194_7
; %bb.3:
	s_mov_b32 s10, 1
.LBB194_4:                              ; =>This Loop Header: Depth=1
                                        ;     Child Loop BB194_5 Depth 2
	s_mov_b32 s11, s10
.LBB194_5:                              ;   Parent Loop BB194_4 Depth=1
                                        ; =>  This Inner Loop Header: Depth=2
	s_add_i32 s11, s11, -1
	s_sleep 1
	s_cmp_eq_u32 s11, 0
	s_cbranch_scc0 .LBB194_5
; %bb.6:                                ;   in Loop: Header=BB194_4 Depth=1
	global_load_dwordx2 v[3:4], v1, s[6:7] glc dlc
	s_cmp_lt_u32 s10, 32
	s_cselect_b32 s11, -1, 0
	s_cmp_lg_u32 s11, 0
	s_addc_u32 s10, s10, 0
	s_waitcnt vmcnt(0)
	v_and_b32_e32 v2, 0xff, v4
	v_cmp_ne_u64_e32 vcc_lo, 0, v[1:2]
	s_cbranch_vccz .LBB194_4
.LBB194_7:
	v_mov_b32_e32 v1, 0
	global_store_dword v1, v3, s[2:3]
.LBB194_8:
	s_or_b32 exec_lo, exec_lo, s9
.LBB194_9:
	s_mov_b32 s2, exec_lo
	v_cmpx_eq_u32_e32 0, v0
	s_cbranch_execz .LBB194_11
; %bb.10:
	s_load_dwordx2 s[4:5], s[4:5], 0x10
	v_mov_b32_e32 v1, 0
	s_waitcnt lgkmcnt(0)
	global_store_dword v1, v1, s[4:5]
.LBB194_11:
	s_or_b32 exec_lo, exec_lo, s2
	s_mov_b32 s2, exec_lo
	v_cmpx_gt_u32_e64 s8, v0
	s_cbranch_execz .LBB194_13
; %bb.12:
	v_add_nc_u32_e32 v1, 32, v0
	v_mov_b32_e32 v2, 0
	v_lshlrev_b64 v[3:4], 3, v[1:2]
	v_mov_b32_e32 v1, v2
	v_add_co_u32 v3, vcc_lo, s0, v3
	v_add_co_ci_u32_e64 v4, null, s1, v4, vcc_lo
	global_store_dwordx2 v[3:4], v[1:2], off
.LBB194_13:
	s_or_b32 exec_lo, exec_lo, s2
	s_mov_b32 s2, exec_lo
	v_cmpx_gt_u32_e32 32, v0
	s_cbranch_execz .LBB194_15
; %bb.14:
	v_mov_b32_e32 v1, 0
	v_mov_b32_e32 v4, 0xff
	v_lshlrev_b64 v[2:3], 3, v[0:1]
	v_add_co_u32 v5, vcc_lo, s0, v2
	v_add_co_ci_u32_e64 v6, null, s1, v3, vcc_lo
	v_mov_b32_e32 v3, v1
	global_store_dwordx2 v[5:6], v[3:4], off
.LBB194_15:
	s_endpgm
	.section	.rodata,"a",@progbits
	.p2align	6, 0x0
	.amdhsa_kernel _ZN7rocprim17ROCPRIM_400000_NS6detail31init_lookback_scan_state_kernelINS1_19lookback_scan_stateIjLb1ELb1EEENS1_16block_id_wrapperIjLb1EEEEEvT_jT0_jPNS7_10value_typeE
		.amdhsa_group_segment_fixed_size 0
		.amdhsa_private_segment_fixed_size 0
		.amdhsa_kernarg_size 296
		.amdhsa_user_sgpr_count 6
		.amdhsa_user_sgpr_private_segment_buffer 1
		.amdhsa_user_sgpr_dispatch_ptr 0
		.amdhsa_user_sgpr_queue_ptr 0
		.amdhsa_user_sgpr_kernarg_segment_ptr 1
		.amdhsa_user_sgpr_dispatch_id 0
		.amdhsa_user_sgpr_flat_scratch_init 0
		.amdhsa_user_sgpr_private_segment_size 0
		.amdhsa_wavefront_size32 1
		.amdhsa_uses_dynamic_stack 0
		.amdhsa_system_sgpr_private_segment_wavefront_offset 0
		.amdhsa_system_sgpr_workgroup_id_x 1
		.amdhsa_system_sgpr_workgroup_id_y 0
		.amdhsa_system_sgpr_workgroup_id_z 0
		.amdhsa_system_sgpr_workgroup_info 0
		.amdhsa_system_vgpr_workitem_id 0
		.amdhsa_next_free_vgpr 7
		.amdhsa_next_free_sgpr 12
		.amdhsa_reserve_vcc 1
		.amdhsa_reserve_flat_scratch 0
		.amdhsa_float_round_mode_32 0
		.amdhsa_float_round_mode_16_64 0
		.amdhsa_float_denorm_mode_32 3
		.amdhsa_float_denorm_mode_16_64 3
		.amdhsa_dx10_clamp 1
		.amdhsa_ieee_mode 1
		.amdhsa_fp16_overflow 0
		.amdhsa_workgroup_processor_mode 1
		.amdhsa_memory_ordered 1
		.amdhsa_forward_progress 1
		.amdhsa_shared_vgpr_count 0
		.amdhsa_exception_fp_ieee_invalid_op 0
		.amdhsa_exception_fp_denorm_src 0
		.amdhsa_exception_fp_ieee_div_zero 0
		.amdhsa_exception_fp_ieee_overflow 0
		.amdhsa_exception_fp_ieee_underflow 0
		.amdhsa_exception_fp_ieee_inexact 0
		.amdhsa_exception_int_div_zero 0
	.end_amdhsa_kernel
	.section	.text._ZN7rocprim17ROCPRIM_400000_NS6detail31init_lookback_scan_state_kernelINS1_19lookback_scan_stateIjLb1ELb1EEENS1_16block_id_wrapperIjLb1EEEEEvT_jT0_jPNS7_10value_typeE,"axG",@progbits,_ZN7rocprim17ROCPRIM_400000_NS6detail31init_lookback_scan_state_kernelINS1_19lookback_scan_stateIjLb1ELb1EEENS1_16block_id_wrapperIjLb1EEEEEvT_jT0_jPNS7_10value_typeE,comdat
.Lfunc_end194:
	.size	_ZN7rocprim17ROCPRIM_400000_NS6detail31init_lookback_scan_state_kernelINS1_19lookback_scan_stateIjLb1ELb1EEENS1_16block_id_wrapperIjLb1EEEEEvT_jT0_jPNS7_10value_typeE, .Lfunc_end194-_ZN7rocprim17ROCPRIM_400000_NS6detail31init_lookback_scan_state_kernelINS1_19lookback_scan_stateIjLb1ELb1EEENS1_16block_id_wrapperIjLb1EEEEEvT_jT0_jPNS7_10value_typeE
                                        ; -- End function
	.set _ZN7rocprim17ROCPRIM_400000_NS6detail31init_lookback_scan_state_kernelINS1_19lookback_scan_stateIjLb1ELb1EEENS1_16block_id_wrapperIjLb1EEEEEvT_jT0_jPNS7_10value_typeE.num_vgpr, 7
	.set _ZN7rocprim17ROCPRIM_400000_NS6detail31init_lookback_scan_state_kernelINS1_19lookback_scan_stateIjLb1ELb1EEENS1_16block_id_wrapperIjLb1EEEEEvT_jT0_jPNS7_10value_typeE.num_agpr, 0
	.set _ZN7rocprim17ROCPRIM_400000_NS6detail31init_lookback_scan_state_kernelINS1_19lookback_scan_stateIjLb1ELb1EEENS1_16block_id_wrapperIjLb1EEEEEvT_jT0_jPNS7_10value_typeE.numbered_sgpr, 12
	.set _ZN7rocprim17ROCPRIM_400000_NS6detail31init_lookback_scan_state_kernelINS1_19lookback_scan_stateIjLb1ELb1EEENS1_16block_id_wrapperIjLb1EEEEEvT_jT0_jPNS7_10value_typeE.num_named_barrier, 0
	.set _ZN7rocprim17ROCPRIM_400000_NS6detail31init_lookback_scan_state_kernelINS1_19lookback_scan_stateIjLb1ELb1EEENS1_16block_id_wrapperIjLb1EEEEEvT_jT0_jPNS7_10value_typeE.private_seg_size, 0
	.set _ZN7rocprim17ROCPRIM_400000_NS6detail31init_lookback_scan_state_kernelINS1_19lookback_scan_stateIjLb1ELb1EEENS1_16block_id_wrapperIjLb1EEEEEvT_jT0_jPNS7_10value_typeE.uses_vcc, 1
	.set _ZN7rocprim17ROCPRIM_400000_NS6detail31init_lookback_scan_state_kernelINS1_19lookback_scan_stateIjLb1ELb1EEENS1_16block_id_wrapperIjLb1EEEEEvT_jT0_jPNS7_10value_typeE.uses_flat_scratch, 0
	.set _ZN7rocprim17ROCPRIM_400000_NS6detail31init_lookback_scan_state_kernelINS1_19lookback_scan_stateIjLb1ELb1EEENS1_16block_id_wrapperIjLb1EEEEEvT_jT0_jPNS7_10value_typeE.has_dyn_sized_stack, 0
	.set _ZN7rocprim17ROCPRIM_400000_NS6detail31init_lookback_scan_state_kernelINS1_19lookback_scan_stateIjLb1ELb1EEENS1_16block_id_wrapperIjLb1EEEEEvT_jT0_jPNS7_10value_typeE.has_recursion, 0
	.set _ZN7rocprim17ROCPRIM_400000_NS6detail31init_lookback_scan_state_kernelINS1_19lookback_scan_stateIjLb1ELb1EEENS1_16block_id_wrapperIjLb1EEEEEvT_jT0_jPNS7_10value_typeE.has_indirect_call, 0
	.section	.AMDGPU.csdata,"",@progbits
; Kernel info:
; codeLenInByte = 400
; TotalNumSgprs: 14
; NumVgprs: 7
; ScratchSize: 0
; MemoryBound: 0
; FloatMode: 240
; IeeeMode: 1
; LDSByteSize: 0 bytes/workgroup (compile time only)
; SGPRBlocks: 0
; VGPRBlocks: 0
; NumSGPRsForWavesPerEU: 14
; NumVGPRsForWavesPerEU: 7
; Occupancy: 16
; WaveLimiterHint : 0
; COMPUTE_PGM_RSRC2:SCRATCH_EN: 0
; COMPUTE_PGM_RSRC2:USER_SGPR: 6
; COMPUTE_PGM_RSRC2:TRAP_HANDLER: 0
; COMPUTE_PGM_RSRC2:TGID_X_EN: 1
; COMPUTE_PGM_RSRC2:TGID_Y_EN: 0
; COMPUTE_PGM_RSRC2:TGID_Z_EN: 0
; COMPUTE_PGM_RSRC2:TIDIG_COMP_CNT: 0
	.section	.text._ZN7rocprim17ROCPRIM_400000_NS6detail17trampoline_kernelINS0_14default_configENS1_25partition_config_selectorILNS1_17partition_subalgoE8EiNS0_10empty_typeEbEEZZNS1_14partition_implILS5_8ELb0ES3_jPKiPS6_PKS6_NS0_5tupleIJPiS6_EEENSE_IJSB_SB_EEENS0_18inequality_wrapperIN6hipcub16HIPCUB_304000_NS8EqualityEEEPlJS6_EEE10hipError_tPvRmT3_T4_T5_T6_T7_T9_mT8_P12ihipStream_tbDpT10_ENKUlT_T0_E_clISt17integral_constantIbLb1EES17_EEDaS12_S13_EUlS12_E_NS1_11comp_targetILNS1_3genE0ELNS1_11target_archE4294967295ELNS1_3gpuE0ELNS1_3repE0EEENS1_30default_config_static_selectorELNS0_4arch9wavefront6targetE0EEEvT1_,"axG",@progbits,_ZN7rocprim17ROCPRIM_400000_NS6detail17trampoline_kernelINS0_14default_configENS1_25partition_config_selectorILNS1_17partition_subalgoE8EiNS0_10empty_typeEbEEZZNS1_14partition_implILS5_8ELb0ES3_jPKiPS6_PKS6_NS0_5tupleIJPiS6_EEENSE_IJSB_SB_EEENS0_18inequality_wrapperIN6hipcub16HIPCUB_304000_NS8EqualityEEEPlJS6_EEE10hipError_tPvRmT3_T4_T5_T6_T7_T9_mT8_P12ihipStream_tbDpT10_ENKUlT_T0_E_clISt17integral_constantIbLb1EES17_EEDaS12_S13_EUlS12_E_NS1_11comp_targetILNS1_3genE0ELNS1_11target_archE4294967295ELNS1_3gpuE0ELNS1_3repE0EEENS1_30default_config_static_selectorELNS0_4arch9wavefront6targetE0EEEvT1_,comdat
	.protected	_ZN7rocprim17ROCPRIM_400000_NS6detail17trampoline_kernelINS0_14default_configENS1_25partition_config_selectorILNS1_17partition_subalgoE8EiNS0_10empty_typeEbEEZZNS1_14partition_implILS5_8ELb0ES3_jPKiPS6_PKS6_NS0_5tupleIJPiS6_EEENSE_IJSB_SB_EEENS0_18inequality_wrapperIN6hipcub16HIPCUB_304000_NS8EqualityEEEPlJS6_EEE10hipError_tPvRmT3_T4_T5_T6_T7_T9_mT8_P12ihipStream_tbDpT10_ENKUlT_T0_E_clISt17integral_constantIbLb1EES17_EEDaS12_S13_EUlS12_E_NS1_11comp_targetILNS1_3genE0ELNS1_11target_archE4294967295ELNS1_3gpuE0ELNS1_3repE0EEENS1_30default_config_static_selectorELNS0_4arch9wavefront6targetE0EEEvT1_ ; -- Begin function _ZN7rocprim17ROCPRIM_400000_NS6detail17trampoline_kernelINS0_14default_configENS1_25partition_config_selectorILNS1_17partition_subalgoE8EiNS0_10empty_typeEbEEZZNS1_14partition_implILS5_8ELb0ES3_jPKiPS6_PKS6_NS0_5tupleIJPiS6_EEENSE_IJSB_SB_EEENS0_18inequality_wrapperIN6hipcub16HIPCUB_304000_NS8EqualityEEEPlJS6_EEE10hipError_tPvRmT3_T4_T5_T6_T7_T9_mT8_P12ihipStream_tbDpT10_ENKUlT_T0_E_clISt17integral_constantIbLb1EES17_EEDaS12_S13_EUlS12_E_NS1_11comp_targetILNS1_3genE0ELNS1_11target_archE4294967295ELNS1_3gpuE0ELNS1_3repE0EEENS1_30default_config_static_selectorELNS0_4arch9wavefront6targetE0EEEvT1_
	.globl	_ZN7rocprim17ROCPRIM_400000_NS6detail17trampoline_kernelINS0_14default_configENS1_25partition_config_selectorILNS1_17partition_subalgoE8EiNS0_10empty_typeEbEEZZNS1_14partition_implILS5_8ELb0ES3_jPKiPS6_PKS6_NS0_5tupleIJPiS6_EEENSE_IJSB_SB_EEENS0_18inequality_wrapperIN6hipcub16HIPCUB_304000_NS8EqualityEEEPlJS6_EEE10hipError_tPvRmT3_T4_T5_T6_T7_T9_mT8_P12ihipStream_tbDpT10_ENKUlT_T0_E_clISt17integral_constantIbLb1EES17_EEDaS12_S13_EUlS12_E_NS1_11comp_targetILNS1_3genE0ELNS1_11target_archE4294967295ELNS1_3gpuE0ELNS1_3repE0EEENS1_30default_config_static_selectorELNS0_4arch9wavefront6targetE0EEEvT1_
	.p2align	8
	.type	_ZN7rocprim17ROCPRIM_400000_NS6detail17trampoline_kernelINS0_14default_configENS1_25partition_config_selectorILNS1_17partition_subalgoE8EiNS0_10empty_typeEbEEZZNS1_14partition_implILS5_8ELb0ES3_jPKiPS6_PKS6_NS0_5tupleIJPiS6_EEENSE_IJSB_SB_EEENS0_18inequality_wrapperIN6hipcub16HIPCUB_304000_NS8EqualityEEEPlJS6_EEE10hipError_tPvRmT3_T4_T5_T6_T7_T9_mT8_P12ihipStream_tbDpT10_ENKUlT_T0_E_clISt17integral_constantIbLb1EES17_EEDaS12_S13_EUlS12_E_NS1_11comp_targetILNS1_3genE0ELNS1_11target_archE4294967295ELNS1_3gpuE0ELNS1_3repE0EEENS1_30default_config_static_selectorELNS0_4arch9wavefront6targetE0EEEvT1_,@function
_ZN7rocprim17ROCPRIM_400000_NS6detail17trampoline_kernelINS0_14default_configENS1_25partition_config_selectorILNS1_17partition_subalgoE8EiNS0_10empty_typeEbEEZZNS1_14partition_implILS5_8ELb0ES3_jPKiPS6_PKS6_NS0_5tupleIJPiS6_EEENSE_IJSB_SB_EEENS0_18inequality_wrapperIN6hipcub16HIPCUB_304000_NS8EqualityEEEPlJS6_EEE10hipError_tPvRmT3_T4_T5_T6_T7_T9_mT8_P12ihipStream_tbDpT10_ENKUlT_T0_E_clISt17integral_constantIbLb1EES17_EEDaS12_S13_EUlS12_E_NS1_11comp_targetILNS1_3genE0ELNS1_11target_archE4294967295ELNS1_3gpuE0ELNS1_3repE0EEENS1_30default_config_static_selectorELNS0_4arch9wavefront6targetE0EEEvT1_: ; @_ZN7rocprim17ROCPRIM_400000_NS6detail17trampoline_kernelINS0_14default_configENS1_25partition_config_selectorILNS1_17partition_subalgoE8EiNS0_10empty_typeEbEEZZNS1_14partition_implILS5_8ELb0ES3_jPKiPS6_PKS6_NS0_5tupleIJPiS6_EEENSE_IJSB_SB_EEENS0_18inequality_wrapperIN6hipcub16HIPCUB_304000_NS8EqualityEEEPlJS6_EEE10hipError_tPvRmT3_T4_T5_T6_T7_T9_mT8_P12ihipStream_tbDpT10_ENKUlT_T0_E_clISt17integral_constantIbLb1EES17_EEDaS12_S13_EUlS12_E_NS1_11comp_targetILNS1_3genE0ELNS1_11target_archE4294967295ELNS1_3gpuE0ELNS1_3repE0EEENS1_30default_config_static_selectorELNS0_4arch9wavefront6targetE0EEEvT1_
; %bb.0:
	.section	.rodata,"a",@progbits
	.p2align	6, 0x0
	.amdhsa_kernel _ZN7rocprim17ROCPRIM_400000_NS6detail17trampoline_kernelINS0_14default_configENS1_25partition_config_selectorILNS1_17partition_subalgoE8EiNS0_10empty_typeEbEEZZNS1_14partition_implILS5_8ELb0ES3_jPKiPS6_PKS6_NS0_5tupleIJPiS6_EEENSE_IJSB_SB_EEENS0_18inequality_wrapperIN6hipcub16HIPCUB_304000_NS8EqualityEEEPlJS6_EEE10hipError_tPvRmT3_T4_T5_T6_T7_T9_mT8_P12ihipStream_tbDpT10_ENKUlT_T0_E_clISt17integral_constantIbLb1EES17_EEDaS12_S13_EUlS12_E_NS1_11comp_targetILNS1_3genE0ELNS1_11target_archE4294967295ELNS1_3gpuE0ELNS1_3repE0EEENS1_30default_config_static_selectorELNS0_4arch9wavefront6targetE0EEEvT1_
		.amdhsa_group_segment_fixed_size 0
		.amdhsa_private_segment_fixed_size 0
		.amdhsa_kernarg_size 128
		.amdhsa_user_sgpr_count 6
		.amdhsa_user_sgpr_private_segment_buffer 1
		.amdhsa_user_sgpr_dispatch_ptr 0
		.amdhsa_user_sgpr_queue_ptr 0
		.amdhsa_user_sgpr_kernarg_segment_ptr 1
		.amdhsa_user_sgpr_dispatch_id 0
		.amdhsa_user_sgpr_flat_scratch_init 0
		.amdhsa_user_sgpr_private_segment_size 0
		.amdhsa_wavefront_size32 1
		.amdhsa_uses_dynamic_stack 0
		.amdhsa_system_sgpr_private_segment_wavefront_offset 0
		.amdhsa_system_sgpr_workgroup_id_x 1
		.amdhsa_system_sgpr_workgroup_id_y 0
		.amdhsa_system_sgpr_workgroup_id_z 0
		.amdhsa_system_sgpr_workgroup_info 0
		.amdhsa_system_vgpr_workitem_id 0
		.amdhsa_next_free_vgpr 1
		.amdhsa_next_free_sgpr 1
		.amdhsa_reserve_vcc 0
		.amdhsa_reserve_flat_scratch 0
		.amdhsa_float_round_mode_32 0
		.amdhsa_float_round_mode_16_64 0
		.amdhsa_float_denorm_mode_32 3
		.amdhsa_float_denorm_mode_16_64 3
		.amdhsa_dx10_clamp 1
		.amdhsa_ieee_mode 1
		.amdhsa_fp16_overflow 0
		.amdhsa_workgroup_processor_mode 1
		.amdhsa_memory_ordered 1
		.amdhsa_forward_progress 1
		.amdhsa_shared_vgpr_count 0
		.amdhsa_exception_fp_ieee_invalid_op 0
		.amdhsa_exception_fp_denorm_src 0
		.amdhsa_exception_fp_ieee_div_zero 0
		.amdhsa_exception_fp_ieee_overflow 0
		.amdhsa_exception_fp_ieee_underflow 0
		.amdhsa_exception_fp_ieee_inexact 0
		.amdhsa_exception_int_div_zero 0
	.end_amdhsa_kernel
	.section	.text._ZN7rocprim17ROCPRIM_400000_NS6detail17trampoline_kernelINS0_14default_configENS1_25partition_config_selectorILNS1_17partition_subalgoE8EiNS0_10empty_typeEbEEZZNS1_14partition_implILS5_8ELb0ES3_jPKiPS6_PKS6_NS0_5tupleIJPiS6_EEENSE_IJSB_SB_EEENS0_18inequality_wrapperIN6hipcub16HIPCUB_304000_NS8EqualityEEEPlJS6_EEE10hipError_tPvRmT3_T4_T5_T6_T7_T9_mT8_P12ihipStream_tbDpT10_ENKUlT_T0_E_clISt17integral_constantIbLb1EES17_EEDaS12_S13_EUlS12_E_NS1_11comp_targetILNS1_3genE0ELNS1_11target_archE4294967295ELNS1_3gpuE0ELNS1_3repE0EEENS1_30default_config_static_selectorELNS0_4arch9wavefront6targetE0EEEvT1_,"axG",@progbits,_ZN7rocprim17ROCPRIM_400000_NS6detail17trampoline_kernelINS0_14default_configENS1_25partition_config_selectorILNS1_17partition_subalgoE8EiNS0_10empty_typeEbEEZZNS1_14partition_implILS5_8ELb0ES3_jPKiPS6_PKS6_NS0_5tupleIJPiS6_EEENSE_IJSB_SB_EEENS0_18inequality_wrapperIN6hipcub16HIPCUB_304000_NS8EqualityEEEPlJS6_EEE10hipError_tPvRmT3_T4_T5_T6_T7_T9_mT8_P12ihipStream_tbDpT10_ENKUlT_T0_E_clISt17integral_constantIbLb1EES17_EEDaS12_S13_EUlS12_E_NS1_11comp_targetILNS1_3genE0ELNS1_11target_archE4294967295ELNS1_3gpuE0ELNS1_3repE0EEENS1_30default_config_static_selectorELNS0_4arch9wavefront6targetE0EEEvT1_,comdat
.Lfunc_end195:
	.size	_ZN7rocprim17ROCPRIM_400000_NS6detail17trampoline_kernelINS0_14default_configENS1_25partition_config_selectorILNS1_17partition_subalgoE8EiNS0_10empty_typeEbEEZZNS1_14partition_implILS5_8ELb0ES3_jPKiPS6_PKS6_NS0_5tupleIJPiS6_EEENSE_IJSB_SB_EEENS0_18inequality_wrapperIN6hipcub16HIPCUB_304000_NS8EqualityEEEPlJS6_EEE10hipError_tPvRmT3_T4_T5_T6_T7_T9_mT8_P12ihipStream_tbDpT10_ENKUlT_T0_E_clISt17integral_constantIbLb1EES17_EEDaS12_S13_EUlS12_E_NS1_11comp_targetILNS1_3genE0ELNS1_11target_archE4294967295ELNS1_3gpuE0ELNS1_3repE0EEENS1_30default_config_static_selectorELNS0_4arch9wavefront6targetE0EEEvT1_, .Lfunc_end195-_ZN7rocprim17ROCPRIM_400000_NS6detail17trampoline_kernelINS0_14default_configENS1_25partition_config_selectorILNS1_17partition_subalgoE8EiNS0_10empty_typeEbEEZZNS1_14partition_implILS5_8ELb0ES3_jPKiPS6_PKS6_NS0_5tupleIJPiS6_EEENSE_IJSB_SB_EEENS0_18inequality_wrapperIN6hipcub16HIPCUB_304000_NS8EqualityEEEPlJS6_EEE10hipError_tPvRmT3_T4_T5_T6_T7_T9_mT8_P12ihipStream_tbDpT10_ENKUlT_T0_E_clISt17integral_constantIbLb1EES17_EEDaS12_S13_EUlS12_E_NS1_11comp_targetILNS1_3genE0ELNS1_11target_archE4294967295ELNS1_3gpuE0ELNS1_3repE0EEENS1_30default_config_static_selectorELNS0_4arch9wavefront6targetE0EEEvT1_
                                        ; -- End function
	.set _ZN7rocprim17ROCPRIM_400000_NS6detail17trampoline_kernelINS0_14default_configENS1_25partition_config_selectorILNS1_17partition_subalgoE8EiNS0_10empty_typeEbEEZZNS1_14partition_implILS5_8ELb0ES3_jPKiPS6_PKS6_NS0_5tupleIJPiS6_EEENSE_IJSB_SB_EEENS0_18inequality_wrapperIN6hipcub16HIPCUB_304000_NS8EqualityEEEPlJS6_EEE10hipError_tPvRmT3_T4_T5_T6_T7_T9_mT8_P12ihipStream_tbDpT10_ENKUlT_T0_E_clISt17integral_constantIbLb1EES17_EEDaS12_S13_EUlS12_E_NS1_11comp_targetILNS1_3genE0ELNS1_11target_archE4294967295ELNS1_3gpuE0ELNS1_3repE0EEENS1_30default_config_static_selectorELNS0_4arch9wavefront6targetE0EEEvT1_.num_vgpr, 0
	.set _ZN7rocprim17ROCPRIM_400000_NS6detail17trampoline_kernelINS0_14default_configENS1_25partition_config_selectorILNS1_17partition_subalgoE8EiNS0_10empty_typeEbEEZZNS1_14partition_implILS5_8ELb0ES3_jPKiPS6_PKS6_NS0_5tupleIJPiS6_EEENSE_IJSB_SB_EEENS0_18inequality_wrapperIN6hipcub16HIPCUB_304000_NS8EqualityEEEPlJS6_EEE10hipError_tPvRmT3_T4_T5_T6_T7_T9_mT8_P12ihipStream_tbDpT10_ENKUlT_T0_E_clISt17integral_constantIbLb1EES17_EEDaS12_S13_EUlS12_E_NS1_11comp_targetILNS1_3genE0ELNS1_11target_archE4294967295ELNS1_3gpuE0ELNS1_3repE0EEENS1_30default_config_static_selectorELNS0_4arch9wavefront6targetE0EEEvT1_.num_agpr, 0
	.set _ZN7rocprim17ROCPRIM_400000_NS6detail17trampoline_kernelINS0_14default_configENS1_25partition_config_selectorILNS1_17partition_subalgoE8EiNS0_10empty_typeEbEEZZNS1_14partition_implILS5_8ELb0ES3_jPKiPS6_PKS6_NS0_5tupleIJPiS6_EEENSE_IJSB_SB_EEENS0_18inequality_wrapperIN6hipcub16HIPCUB_304000_NS8EqualityEEEPlJS6_EEE10hipError_tPvRmT3_T4_T5_T6_T7_T9_mT8_P12ihipStream_tbDpT10_ENKUlT_T0_E_clISt17integral_constantIbLb1EES17_EEDaS12_S13_EUlS12_E_NS1_11comp_targetILNS1_3genE0ELNS1_11target_archE4294967295ELNS1_3gpuE0ELNS1_3repE0EEENS1_30default_config_static_selectorELNS0_4arch9wavefront6targetE0EEEvT1_.numbered_sgpr, 0
	.set _ZN7rocprim17ROCPRIM_400000_NS6detail17trampoline_kernelINS0_14default_configENS1_25partition_config_selectorILNS1_17partition_subalgoE8EiNS0_10empty_typeEbEEZZNS1_14partition_implILS5_8ELb0ES3_jPKiPS6_PKS6_NS0_5tupleIJPiS6_EEENSE_IJSB_SB_EEENS0_18inequality_wrapperIN6hipcub16HIPCUB_304000_NS8EqualityEEEPlJS6_EEE10hipError_tPvRmT3_T4_T5_T6_T7_T9_mT8_P12ihipStream_tbDpT10_ENKUlT_T0_E_clISt17integral_constantIbLb1EES17_EEDaS12_S13_EUlS12_E_NS1_11comp_targetILNS1_3genE0ELNS1_11target_archE4294967295ELNS1_3gpuE0ELNS1_3repE0EEENS1_30default_config_static_selectorELNS0_4arch9wavefront6targetE0EEEvT1_.num_named_barrier, 0
	.set _ZN7rocprim17ROCPRIM_400000_NS6detail17trampoline_kernelINS0_14default_configENS1_25partition_config_selectorILNS1_17partition_subalgoE8EiNS0_10empty_typeEbEEZZNS1_14partition_implILS5_8ELb0ES3_jPKiPS6_PKS6_NS0_5tupleIJPiS6_EEENSE_IJSB_SB_EEENS0_18inequality_wrapperIN6hipcub16HIPCUB_304000_NS8EqualityEEEPlJS6_EEE10hipError_tPvRmT3_T4_T5_T6_T7_T9_mT8_P12ihipStream_tbDpT10_ENKUlT_T0_E_clISt17integral_constantIbLb1EES17_EEDaS12_S13_EUlS12_E_NS1_11comp_targetILNS1_3genE0ELNS1_11target_archE4294967295ELNS1_3gpuE0ELNS1_3repE0EEENS1_30default_config_static_selectorELNS0_4arch9wavefront6targetE0EEEvT1_.private_seg_size, 0
	.set _ZN7rocprim17ROCPRIM_400000_NS6detail17trampoline_kernelINS0_14default_configENS1_25partition_config_selectorILNS1_17partition_subalgoE8EiNS0_10empty_typeEbEEZZNS1_14partition_implILS5_8ELb0ES3_jPKiPS6_PKS6_NS0_5tupleIJPiS6_EEENSE_IJSB_SB_EEENS0_18inequality_wrapperIN6hipcub16HIPCUB_304000_NS8EqualityEEEPlJS6_EEE10hipError_tPvRmT3_T4_T5_T6_T7_T9_mT8_P12ihipStream_tbDpT10_ENKUlT_T0_E_clISt17integral_constantIbLb1EES17_EEDaS12_S13_EUlS12_E_NS1_11comp_targetILNS1_3genE0ELNS1_11target_archE4294967295ELNS1_3gpuE0ELNS1_3repE0EEENS1_30default_config_static_selectorELNS0_4arch9wavefront6targetE0EEEvT1_.uses_vcc, 0
	.set _ZN7rocprim17ROCPRIM_400000_NS6detail17trampoline_kernelINS0_14default_configENS1_25partition_config_selectorILNS1_17partition_subalgoE8EiNS0_10empty_typeEbEEZZNS1_14partition_implILS5_8ELb0ES3_jPKiPS6_PKS6_NS0_5tupleIJPiS6_EEENSE_IJSB_SB_EEENS0_18inequality_wrapperIN6hipcub16HIPCUB_304000_NS8EqualityEEEPlJS6_EEE10hipError_tPvRmT3_T4_T5_T6_T7_T9_mT8_P12ihipStream_tbDpT10_ENKUlT_T0_E_clISt17integral_constantIbLb1EES17_EEDaS12_S13_EUlS12_E_NS1_11comp_targetILNS1_3genE0ELNS1_11target_archE4294967295ELNS1_3gpuE0ELNS1_3repE0EEENS1_30default_config_static_selectorELNS0_4arch9wavefront6targetE0EEEvT1_.uses_flat_scratch, 0
	.set _ZN7rocprim17ROCPRIM_400000_NS6detail17trampoline_kernelINS0_14default_configENS1_25partition_config_selectorILNS1_17partition_subalgoE8EiNS0_10empty_typeEbEEZZNS1_14partition_implILS5_8ELb0ES3_jPKiPS6_PKS6_NS0_5tupleIJPiS6_EEENSE_IJSB_SB_EEENS0_18inequality_wrapperIN6hipcub16HIPCUB_304000_NS8EqualityEEEPlJS6_EEE10hipError_tPvRmT3_T4_T5_T6_T7_T9_mT8_P12ihipStream_tbDpT10_ENKUlT_T0_E_clISt17integral_constantIbLb1EES17_EEDaS12_S13_EUlS12_E_NS1_11comp_targetILNS1_3genE0ELNS1_11target_archE4294967295ELNS1_3gpuE0ELNS1_3repE0EEENS1_30default_config_static_selectorELNS0_4arch9wavefront6targetE0EEEvT1_.has_dyn_sized_stack, 0
	.set _ZN7rocprim17ROCPRIM_400000_NS6detail17trampoline_kernelINS0_14default_configENS1_25partition_config_selectorILNS1_17partition_subalgoE8EiNS0_10empty_typeEbEEZZNS1_14partition_implILS5_8ELb0ES3_jPKiPS6_PKS6_NS0_5tupleIJPiS6_EEENSE_IJSB_SB_EEENS0_18inequality_wrapperIN6hipcub16HIPCUB_304000_NS8EqualityEEEPlJS6_EEE10hipError_tPvRmT3_T4_T5_T6_T7_T9_mT8_P12ihipStream_tbDpT10_ENKUlT_T0_E_clISt17integral_constantIbLb1EES17_EEDaS12_S13_EUlS12_E_NS1_11comp_targetILNS1_3genE0ELNS1_11target_archE4294967295ELNS1_3gpuE0ELNS1_3repE0EEENS1_30default_config_static_selectorELNS0_4arch9wavefront6targetE0EEEvT1_.has_recursion, 0
	.set _ZN7rocprim17ROCPRIM_400000_NS6detail17trampoline_kernelINS0_14default_configENS1_25partition_config_selectorILNS1_17partition_subalgoE8EiNS0_10empty_typeEbEEZZNS1_14partition_implILS5_8ELb0ES3_jPKiPS6_PKS6_NS0_5tupleIJPiS6_EEENSE_IJSB_SB_EEENS0_18inequality_wrapperIN6hipcub16HIPCUB_304000_NS8EqualityEEEPlJS6_EEE10hipError_tPvRmT3_T4_T5_T6_T7_T9_mT8_P12ihipStream_tbDpT10_ENKUlT_T0_E_clISt17integral_constantIbLb1EES17_EEDaS12_S13_EUlS12_E_NS1_11comp_targetILNS1_3genE0ELNS1_11target_archE4294967295ELNS1_3gpuE0ELNS1_3repE0EEENS1_30default_config_static_selectorELNS0_4arch9wavefront6targetE0EEEvT1_.has_indirect_call, 0
	.section	.AMDGPU.csdata,"",@progbits
; Kernel info:
; codeLenInByte = 0
; TotalNumSgprs: 0
; NumVgprs: 0
; ScratchSize: 0
; MemoryBound: 0
; FloatMode: 240
; IeeeMode: 1
; LDSByteSize: 0 bytes/workgroup (compile time only)
; SGPRBlocks: 0
; VGPRBlocks: 0
; NumSGPRsForWavesPerEU: 1
; NumVGPRsForWavesPerEU: 1
; Occupancy: 16
; WaveLimiterHint : 0
; COMPUTE_PGM_RSRC2:SCRATCH_EN: 0
; COMPUTE_PGM_RSRC2:USER_SGPR: 6
; COMPUTE_PGM_RSRC2:TRAP_HANDLER: 0
; COMPUTE_PGM_RSRC2:TGID_X_EN: 1
; COMPUTE_PGM_RSRC2:TGID_Y_EN: 0
; COMPUTE_PGM_RSRC2:TGID_Z_EN: 0
; COMPUTE_PGM_RSRC2:TIDIG_COMP_CNT: 0
	.section	.text._ZN7rocprim17ROCPRIM_400000_NS6detail17trampoline_kernelINS0_14default_configENS1_25partition_config_selectorILNS1_17partition_subalgoE8EiNS0_10empty_typeEbEEZZNS1_14partition_implILS5_8ELb0ES3_jPKiPS6_PKS6_NS0_5tupleIJPiS6_EEENSE_IJSB_SB_EEENS0_18inequality_wrapperIN6hipcub16HIPCUB_304000_NS8EqualityEEEPlJS6_EEE10hipError_tPvRmT3_T4_T5_T6_T7_T9_mT8_P12ihipStream_tbDpT10_ENKUlT_T0_E_clISt17integral_constantIbLb1EES17_EEDaS12_S13_EUlS12_E_NS1_11comp_targetILNS1_3genE5ELNS1_11target_archE942ELNS1_3gpuE9ELNS1_3repE0EEENS1_30default_config_static_selectorELNS0_4arch9wavefront6targetE0EEEvT1_,"axG",@progbits,_ZN7rocprim17ROCPRIM_400000_NS6detail17trampoline_kernelINS0_14default_configENS1_25partition_config_selectorILNS1_17partition_subalgoE8EiNS0_10empty_typeEbEEZZNS1_14partition_implILS5_8ELb0ES3_jPKiPS6_PKS6_NS0_5tupleIJPiS6_EEENSE_IJSB_SB_EEENS0_18inequality_wrapperIN6hipcub16HIPCUB_304000_NS8EqualityEEEPlJS6_EEE10hipError_tPvRmT3_T4_T5_T6_T7_T9_mT8_P12ihipStream_tbDpT10_ENKUlT_T0_E_clISt17integral_constantIbLb1EES17_EEDaS12_S13_EUlS12_E_NS1_11comp_targetILNS1_3genE5ELNS1_11target_archE942ELNS1_3gpuE9ELNS1_3repE0EEENS1_30default_config_static_selectorELNS0_4arch9wavefront6targetE0EEEvT1_,comdat
	.protected	_ZN7rocprim17ROCPRIM_400000_NS6detail17trampoline_kernelINS0_14default_configENS1_25partition_config_selectorILNS1_17partition_subalgoE8EiNS0_10empty_typeEbEEZZNS1_14partition_implILS5_8ELb0ES3_jPKiPS6_PKS6_NS0_5tupleIJPiS6_EEENSE_IJSB_SB_EEENS0_18inequality_wrapperIN6hipcub16HIPCUB_304000_NS8EqualityEEEPlJS6_EEE10hipError_tPvRmT3_T4_T5_T6_T7_T9_mT8_P12ihipStream_tbDpT10_ENKUlT_T0_E_clISt17integral_constantIbLb1EES17_EEDaS12_S13_EUlS12_E_NS1_11comp_targetILNS1_3genE5ELNS1_11target_archE942ELNS1_3gpuE9ELNS1_3repE0EEENS1_30default_config_static_selectorELNS0_4arch9wavefront6targetE0EEEvT1_ ; -- Begin function _ZN7rocprim17ROCPRIM_400000_NS6detail17trampoline_kernelINS0_14default_configENS1_25partition_config_selectorILNS1_17partition_subalgoE8EiNS0_10empty_typeEbEEZZNS1_14partition_implILS5_8ELb0ES3_jPKiPS6_PKS6_NS0_5tupleIJPiS6_EEENSE_IJSB_SB_EEENS0_18inequality_wrapperIN6hipcub16HIPCUB_304000_NS8EqualityEEEPlJS6_EEE10hipError_tPvRmT3_T4_T5_T6_T7_T9_mT8_P12ihipStream_tbDpT10_ENKUlT_T0_E_clISt17integral_constantIbLb1EES17_EEDaS12_S13_EUlS12_E_NS1_11comp_targetILNS1_3genE5ELNS1_11target_archE942ELNS1_3gpuE9ELNS1_3repE0EEENS1_30default_config_static_selectorELNS0_4arch9wavefront6targetE0EEEvT1_
	.globl	_ZN7rocprim17ROCPRIM_400000_NS6detail17trampoline_kernelINS0_14default_configENS1_25partition_config_selectorILNS1_17partition_subalgoE8EiNS0_10empty_typeEbEEZZNS1_14partition_implILS5_8ELb0ES3_jPKiPS6_PKS6_NS0_5tupleIJPiS6_EEENSE_IJSB_SB_EEENS0_18inequality_wrapperIN6hipcub16HIPCUB_304000_NS8EqualityEEEPlJS6_EEE10hipError_tPvRmT3_T4_T5_T6_T7_T9_mT8_P12ihipStream_tbDpT10_ENKUlT_T0_E_clISt17integral_constantIbLb1EES17_EEDaS12_S13_EUlS12_E_NS1_11comp_targetILNS1_3genE5ELNS1_11target_archE942ELNS1_3gpuE9ELNS1_3repE0EEENS1_30default_config_static_selectorELNS0_4arch9wavefront6targetE0EEEvT1_
	.p2align	8
	.type	_ZN7rocprim17ROCPRIM_400000_NS6detail17trampoline_kernelINS0_14default_configENS1_25partition_config_selectorILNS1_17partition_subalgoE8EiNS0_10empty_typeEbEEZZNS1_14partition_implILS5_8ELb0ES3_jPKiPS6_PKS6_NS0_5tupleIJPiS6_EEENSE_IJSB_SB_EEENS0_18inequality_wrapperIN6hipcub16HIPCUB_304000_NS8EqualityEEEPlJS6_EEE10hipError_tPvRmT3_T4_T5_T6_T7_T9_mT8_P12ihipStream_tbDpT10_ENKUlT_T0_E_clISt17integral_constantIbLb1EES17_EEDaS12_S13_EUlS12_E_NS1_11comp_targetILNS1_3genE5ELNS1_11target_archE942ELNS1_3gpuE9ELNS1_3repE0EEENS1_30default_config_static_selectorELNS0_4arch9wavefront6targetE0EEEvT1_,@function
_ZN7rocprim17ROCPRIM_400000_NS6detail17trampoline_kernelINS0_14default_configENS1_25partition_config_selectorILNS1_17partition_subalgoE8EiNS0_10empty_typeEbEEZZNS1_14partition_implILS5_8ELb0ES3_jPKiPS6_PKS6_NS0_5tupleIJPiS6_EEENSE_IJSB_SB_EEENS0_18inequality_wrapperIN6hipcub16HIPCUB_304000_NS8EqualityEEEPlJS6_EEE10hipError_tPvRmT3_T4_T5_T6_T7_T9_mT8_P12ihipStream_tbDpT10_ENKUlT_T0_E_clISt17integral_constantIbLb1EES17_EEDaS12_S13_EUlS12_E_NS1_11comp_targetILNS1_3genE5ELNS1_11target_archE942ELNS1_3gpuE9ELNS1_3repE0EEENS1_30default_config_static_selectorELNS0_4arch9wavefront6targetE0EEEvT1_: ; @_ZN7rocprim17ROCPRIM_400000_NS6detail17trampoline_kernelINS0_14default_configENS1_25partition_config_selectorILNS1_17partition_subalgoE8EiNS0_10empty_typeEbEEZZNS1_14partition_implILS5_8ELb0ES3_jPKiPS6_PKS6_NS0_5tupleIJPiS6_EEENSE_IJSB_SB_EEENS0_18inequality_wrapperIN6hipcub16HIPCUB_304000_NS8EqualityEEEPlJS6_EEE10hipError_tPvRmT3_T4_T5_T6_T7_T9_mT8_P12ihipStream_tbDpT10_ENKUlT_T0_E_clISt17integral_constantIbLb1EES17_EEDaS12_S13_EUlS12_E_NS1_11comp_targetILNS1_3genE5ELNS1_11target_archE942ELNS1_3gpuE9ELNS1_3repE0EEENS1_30default_config_static_selectorELNS0_4arch9wavefront6targetE0EEEvT1_
; %bb.0:
	.section	.rodata,"a",@progbits
	.p2align	6, 0x0
	.amdhsa_kernel _ZN7rocprim17ROCPRIM_400000_NS6detail17trampoline_kernelINS0_14default_configENS1_25partition_config_selectorILNS1_17partition_subalgoE8EiNS0_10empty_typeEbEEZZNS1_14partition_implILS5_8ELb0ES3_jPKiPS6_PKS6_NS0_5tupleIJPiS6_EEENSE_IJSB_SB_EEENS0_18inequality_wrapperIN6hipcub16HIPCUB_304000_NS8EqualityEEEPlJS6_EEE10hipError_tPvRmT3_T4_T5_T6_T7_T9_mT8_P12ihipStream_tbDpT10_ENKUlT_T0_E_clISt17integral_constantIbLb1EES17_EEDaS12_S13_EUlS12_E_NS1_11comp_targetILNS1_3genE5ELNS1_11target_archE942ELNS1_3gpuE9ELNS1_3repE0EEENS1_30default_config_static_selectorELNS0_4arch9wavefront6targetE0EEEvT1_
		.amdhsa_group_segment_fixed_size 0
		.amdhsa_private_segment_fixed_size 0
		.amdhsa_kernarg_size 128
		.amdhsa_user_sgpr_count 6
		.amdhsa_user_sgpr_private_segment_buffer 1
		.amdhsa_user_sgpr_dispatch_ptr 0
		.amdhsa_user_sgpr_queue_ptr 0
		.amdhsa_user_sgpr_kernarg_segment_ptr 1
		.amdhsa_user_sgpr_dispatch_id 0
		.amdhsa_user_sgpr_flat_scratch_init 0
		.amdhsa_user_sgpr_private_segment_size 0
		.amdhsa_wavefront_size32 1
		.amdhsa_uses_dynamic_stack 0
		.amdhsa_system_sgpr_private_segment_wavefront_offset 0
		.amdhsa_system_sgpr_workgroup_id_x 1
		.amdhsa_system_sgpr_workgroup_id_y 0
		.amdhsa_system_sgpr_workgroup_id_z 0
		.amdhsa_system_sgpr_workgroup_info 0
		.amdhsa_system_vgpr_workitem_id 0
		.amdhsa_next_free_vgpr 1
		.amdhsa_next_free_sgpr 1
		.amdhsa_reserve_vcc 0
		.amdhsa_reserve_flat_scratch 0
		.amdhsa_float_round_mode_32 0
		.amdhsa_float_round_mode_16_64 0
		.amdhsa_float_denorm_mode_32 3
		.amdhsa_float_denorm_mode_16_64 3
		.amdhsa_dx10_clamp 1
		.amdhsa_ieee_mode 1
		.amdhsa_fp16_overflow 0
		.amdhsa_workgroup_processor_mode 1
		.amdhsa_memory_ordered 1
		.amdhsa_forward_progress 1
		.amdhsa_shared_vgpr_count 0
		.amdhsa_exception_fp_ieee_invalid_op 0
		.amdhsa_exception_fp_denorm_src 0
		.amdhsa_exception_fp_ieee_div_zero 0
		.amdhsa_exception_fp_ieee_overflow 0
		.amdhsa_exception_fp_ieee_underflow 0
		.amdhsa_exception_fp_ieee_inexact 0
		.amdhsa_exception_int_div_zero 0
	.end_amdhsa_kernel
	.section	.text._ZN7rocprim17ROCPRIM_400000_NS6detail17trampoline_kernelINS0_14default_configENS1_25partition_config_selectorILNS1_17partition_subalgoE8EiNS0_10empty_typeEbEEZZNS1_14partition_implILS5_8ELb0ES3_jPKiPS6_PKS6_NS0_5tupleIJPiS6_EEENSE_IJSB_SB_EEENS0_18inequality_wrapperIN6hipcub16HIPCUB_304000_NS8EqualityEEEPlJS6_EEE10hipError_tPvRmT3_T4_T5_T6_T7_T9_mT8_P12ihipStream_tbDpT10_ENKUlT_T0_E_clISt17integral_constantIbLb1EES17_EEDaS12_S13_EUlS12_E_NS1_11comp_targetILNS1_3genE5ELNS1_11target_archE942ELNS1_3gpuE9ELNS1_3repE0EEENS1_30default_config_static_selectorELNS0_4arch9wavefront6targetE0EEEvT1_,"axG",@progbits,_ZN7rocprim17ROCPRIM_400000_NS6detail17trampoline_kernelINS0_14default_configENS1_25partition_config_selectorILNS1_17partition_subalgoE8EiNS0_10empty_typeEbEEZZNS1_14partition_implILS5_8ELb0ES3_jPKiPS6_PKS6_NS0_5tupleIJPiS6_EEENSE_IJSB_SB_EEENS0_18inequality_wrapperIN6hipcub16HIPCUB_304000_NS8EqualityEEEPlJS6_EEE10hipError_tPvRmT3_T4_T5_T6_T7_T9_mT8_P12ihipStream_tbDpT10_ENKUlT_T0_E_clISt17integral_constantIbLb1EES17_EEDaS12_S13_EUlS12_E_NS1_11comp_targetILNS1_3genE5ELNS1_11target_archE942ELNS1_3gpuE9ELNS1_3repE0EEENS1_30default_config_static_selectorELNS0_4arch9wavefront6targetE0EEEvT1_,comdat
.Lfunc_end196:
	.size	_ZN7rocprim17ROCPRIM_400000_NS6detail17trampoline_kernelINS0_14default_configENS1_25partition_config_selectorILNS1_17partition_subalgoE8EiNS0_10empty_typeEbEEZZNS1_14partition_implILS5_8ELb0ES3_jPKiPS6_PKS6_NS0_5tupleIJPiS6_EEENSE_IJSB_SB_EEENS0_18inequality_wrapperIN6hipcub16HIPCUB_304000_NS8EqualityEEEPlJS6_EEE10hipError_tPvRmT3_T4_T5_T6_T7_T9_mT8_P12ihipStream_tbDpT10_ENKUlT_T0_E_clISt17integral_constantIbLb1EES17_EEDaS12_S13_EUlS12_E_NS1_11comp_targetILNS1_3genE5ELNS1_11target_archE942ELNS1_3gpuE9ELNS1_3repE0EEENS1_30default_config_static_selectorELNS0_4arch9wavefront6targetE0EEEvT1_, .Lfunc_end196-_ZN7rocprim17ROCPRIM_400000_NS6detail17trampoline_kernelINS0_14default_configENS1_25partition_config_selectorILNS1_17partition_subalgoE8EiNS0_10empty_typeEbEEZZNS1_14partition_implILS5_8ELb0ES3_jPKiPS6_PKS6_NS0_5tupleIJPiS6_EEENSE_IJSB_SB_EEENS0_18inequality_wrapperIN6hipcub16HIPCUB_304000_NS8EqualityEEEPlJS6_EEE10hipError_tPvRmT3_T4_T5_T6_T7_T9_mT8_P12ihipStream_tbDpT10_ENKUlT_T0_E_clISt17integral_constantIbLb1EES17_EEDaS12_S13_EUlS12_E_NS1_11comp_targetILNS1_3genE5ELNS1_11target_archE942ELNS1_3gpuE9ELNS1_3repE0EEENS1_30default_config_static_selectorELNS0_4arch9wavefront6targetE0EEEvT1_
                                        ; -- End function
	.set _ZN7rocprim17ROCPRIM_400000_NS6detail17trampoline_kernelINS0_14default_configENS1_25partition_config_selectorILNS1_17partition_subalgoE8EiNS0_10empty_typeEbEEZZNS1_14partition_implILS5_8ELb0ES3_jPKiPS6_PKS6_NS0_5tupleIJPiS6_EEENSE_IJSB_SB_EEENS0_18inequality_wrapperIN6hipcub16HIPCUB_304000_NS8EqualityEEEPlJS6_EEE10hipError_tPvRmT3_T4_T5_T6_T7_T9_mT8_P12ihipStream_tbDpT10_ENKUlT_T0_E_clISt17integral_constantIbLb1EES17_EEDaS12_S13_EUlS12_E_NS1_11comp_targetILNS1_3genE5ELNS1_11target_archE942ELNS1_3gpuE9ELNS1_3repE0EEENS1_30default_config_static_selectorELNS0_4arch9wavefront6targetE0EEEvT1_.num_vgpr, 0
	.set _ZN7rocprim17ROCPRIM_400000_NS6detail17trampoline_kernelINS0_14default_configENS1_25partition_config_selectorILNS1_17partition_subalgoE8EiNS0_10empty_typeEbEEZZNS1_14partition_implILS5_8ELb0ES3_jPKiPS6_PKS6_NS0_5tupleIJPiS6_EEENSE_IJSB_SB_EEENS0_18inequality_wrapperIN6hipcub16HIPCUB_304000_NS8EqualityEEEPlJS6_EEE10hipError_tPvRmT3_T4_T5_T6_T7_T9_mT8_P12ihipStream_tbDpT10_ENKUlT_T0_E_clISt17integral_constantIbLb1EES17_EEDaS12_S13_EUlS12_E_NS1_11comp_targetILNS1_3genE5ELNS1_11target_archE942ELNS1_3gpuE9ELNS1_3repE0EEENS1_30default_config_static_selectorELNS0_4arch9wavefront6targetE0EEEvT1_.num_agpr, 0
	.set _ZN7rocprim17ROCPRIM_400000_NS6detail17trampoline_kernelINS0_14default_configENS1_25partition_config_selectorILNS1_17partition_subalgoE8EiNS0_10empty_typeEbEEZZNS1_14partition_implILS5_8ELb0ES3_jPKiPS6_PKS6_NS0_5tupleIJPiS6_EEENSE_IJSB_SB_EEENS0_18inequality_wrapperIN6hipcub16HIPCUB_304000_NS8EqualityEEEPlJS6_EEE10hipError_tPvRmT3_T4_T5_T6_T7_T9_mT8_P12ihipStream_tbDpT10_ENKUlT_T0_E_clISt17integral_constantIbLb1EES17_EEDaS12_S13_EUlS12_E_NS1_11comp_targetILNS1_3genE5ELNS1_11target_archE942ELNS1_3gpuE9ELNS1_3repE0EEENS1_30default_config_static_selectorELNS0_4arch9wavefront6targetE0EEEvT1_.numbered_sgpr, 0
	.set _ZN7rocprim17ROCPRIM_400000_NS6detail17trampoline_kernelINS0_14default_configENS1_25partition_config_selectorILNS1_17partition_subalgoE8EiNS0_10empty_typeEbEEZZNS1_14partition_implILS5_8ELb0ES3_jPKiPS6_PKS6_NS0_5tupleIJPiS6_EEENSE_IJSB_SB_EEENS0_18inequality_wrapperIN6hipcub16HIPCUB_304000_NS8EqualityEEEPlJS6_EEE10hipError_tPvRmT3_T4_T5_T6_T7_T9_mT8_P12ihipStream_tbDpT10_ENKUlT_T0_E_clISt17integral_constantIbLb1EES17_EEDaS12_S13_EUlS12_E_NS1_11comp_targetILNS1_3genE5ELNS1_11target_archE942ELNS1_3gpuE9ELNS1_3repE0EEENS1_30default_config_static_selectorELNS0_4arch9wavefront6targetE0EEEvT1_.num_named_barrier, 0
	.set _ZN7rocprim17ROCPRIM_400000_NS6detail17trampoline_kernelINS0_14default_configENS1_25partition_config_selectorILNS1_17partition_subalgoE8EiNS0_10empty_typeEbEEZZNS1_14partition_implILS5_8ELb0ES3_jPKiPS6_PKS6_NS0_5tupleIJPiS6_EEENSE_IJSB_SB_EEENS0_18inequality_wrapperIN6hipcub16HIPCUB_304000_NS8EqualityEEEPlJS6_EEE10hipError_tPvRmT3_T4_T5_T6_T7_T9_mT8_P12ihipStream_tbDpT10_ENKUlT_T0_E_clISt17integral_constantIbLb1EES17_EEDaS12_S13_EUlS12_E_NS1_11comp_targetILNS1_3genE5ELNS1_11target_archE942ELNS1_3gpuE9ELNS1_3repE0EEENS1_30default_config_static_selectorELNS0_4arch9wavefront6targetE0EEEvT1_.private_seg_size, 0
	.set _ZN7rocprim17ROCPRIM_400000_NS6detail17trampoline_kernelINS0_14default_configENS1_25partition_config_selectorILNS1_17partition_subalgoE8EiNS0_10empty_typeEbEEZZNS1_14partition_implILS5_8ELb0ES3_jPKiPS6_PKS6_NS0_5tupleIJPiS6_EEENSE_IJSB_SB_EEENS0_18inequality_wrapperIN6hipcub16HIPCUB_304000_NS8EqualityEEEPlJS6_EEE10hipError_tPvRmT3_T4_T5_T6_T7_T9_mT8_P12ihipStream_tbDpT10_ENKUlT_T0_E_clISt17integral_constantIbLb1EES17_EEDaS12_S13_EUlS12_E_NS1_11comp_targetILNS1_3genE5ELNS1_11target_archE942ELNS1_3gpuE9ELNS1_3repE0EEENS1_30default_config_static_selectorELNS0_4arch9wavefront6targetE0EEEvT1_.uses_vcc, 0
	.set _ZN7rocprim17ROCPRIM_400000_NS6detail17trampoline_kernelINS0_14default_configENS1_25partition_config_selectorILNS1_17partition_subalgoE8EiNS0_10empty_typeEbEEZZNS1_14partition_implILS5_8ELb0ES3_jPKiPS6_PKS6_NS0_5tupleIJPiS6_EEENSE_IJSB_SB_EEENS0_18inequality_wrapperIN6hipcub16HIPCUB_304000_NS8EqualityEEEPlJS6_EEE10hipError_tPvRmT3_T4_T5_T6_T7_T9_mT8_P12ihipStream_tbDpT10_ENKUlT_T0_E_clISt17integral_constantIbLb1EES17_EEDaS12_S13_EUlS12_E_NS1_11comp_targetILNS1_3genE5ELNS1_11target_archE942ELNS1_3gpuE9ELNS1_3repE0EEENS1_30default_config_static_selectorELNS0_4arch9wavefront6targetE0EEEvT1_.uses_flat_scratch, 0
	.set _ZN7rocprim17ROCPRIM_400000_NS6detail17trampoline_kernelINS0_14default_configENS1_25partition_config_selectorILNS1_17partition_subalgoE8EiNS0_10empty_typeEbEEZZNS1_14partition_implILS5_8ELb0ES3_jPKiPS6_PKS6_NS0_5tupleIJPiS6_EEENSE_IJSB_SB_EEENS0_18inequality_wrapperIN6hipcub16HIPCUB_304000_NS8EqualityEEEPlJS6_EEE10hipError_tPvRmT3_T4_T5_T6_T7_T9_mT8_P12ihipStream_tbDpT10_ENKUlT_T0_E_clISt17integral_constantIbLb1EES17_EEDaS12_S13_EUlS12_E_NS1_11comp_targetILNS1_3genE5ELNS1_11target_archE942ELNS1_3gpuE9ELNS1_3repE0EEENS1_30default_config_static_selectorELNS0_4arch9wavefront6targetE0EEEvT1_.has_dyn_sized_stack, 0
	.set _ZN7rocprim17ROCPRIM_400000_NS6detail17trampoline_kernelINS0_14default_configENS1_25partition_config_selectorILNS1_17partition_subalgoE8EiNS0_10empty_typeEbEEZZNS1_14partition_implILS5_8ELb0ES3_jPKiPS6_PKS6_NS0_5tupleIJPiS6_EEENSE_IJSB_SB_EEENS0_18inequality_wrapperIN6hipcub16HIPCUB_304000_NS8EqualityEEEPlJS6_EEE10hipError_tPvRmT3_T4_T5_T6_T7_T9_mT8_P12ihipStream_tbDpT10_ENKUlT_T0_E_clISt17integral_constantIbLb1EES17_EEDaS12_S13_EUlS12_E_NS1_11comp_targetILNS1_3genE5ELNS1_11target_archE942ELNS1_3gpuE9ELNS1_3repE0EEENS1_30default_config_static_selectorELNS0_4arch9wavefront6targetE0EEEvT1_.has_recursion, 0
	.set _ZN7rocprim17ROCPRIM_400000_NS6detail17trampoline_kernelINS0_14default_configENS1_25partition_config_selectorILNS1_17partition_subalgoE8EiNS0_10empty_typeEbEEZZNS1_14partition_implILS5_8ELb0ES3_jPKiPS6_PKS6_NS0_5tupleIJPiS6_EEENSE_IJSB_SB_EEENS0_18inequality_wrapperIN6hipcub16HIPCUB_304000_NS8EqualityEEEPlJS6_EEE10hipError_tPvRmT3_T4_T5_T6_T7_T9_mT8_P12ihipStream_tbDpT10_ENKUlT_T0_E_clISt17integral_constantIbLb1EES17_EEDaS12_S13_EUlS12_E_NS1_11comp_targetILNS1_3genE5ELNS1_11target_archE942ELNS1_3gpuE9ELNS1_3repE0EEENS1_30default_config_static_selectorELNS0_4arch9wavefront6targetE0EEEvT1_.has_indirect_call, 0
	.section	.AMDGPU.csdata,"",@progbits
; Kernel info:
; codeLenInByte = 0
; TotalNumSgprs: 0
; NumVgprs: 0
; ScratchSize: 0
; MemoryBound: 0
; FloatMode: 240
; IeeeMode: 1
; LDSByteSize: 0 bytes/workgroup (compile time only)
; SGPRBlocks: 0
; VGPRBlocks: 0
; NumSGPRsForWavesPerEU: 1
; NumVGPRsForWavesPerEU: 1
; Occupancy: 16
; WaveLimiterHint : 0
; COMPUTE_PGM_RSRC2:SCRATCH_EN: 0
; COMPUTE_PGM_RSRC2:USER_SGPR: 6
; COMPUTE_PGM_RSRC2:TRAP_HANDLER: 0
; COMPUTE_PGM_RSRC2:TGID_X_EN: 1
; COMPUTE_PGM_RSRC2:TGID_Y_EN: 0
; COMPUTE_PGM_RSRC2:TGID_Z_EN: 0
; COMPUTE_PGM_RSRC2:TIDIG_COMP_CNT: 0
	.section	.text._ZN7rocprim17ROCPRIM_400000_NS6detail17trampoline_kernelINS0_14default_configENS1_25partition_config_selectorILNS1_17partition_subalgoE8EiNS0_10empty_typeEbEEZZNS1_14partition_implILS5_8ELb0ES3_jPKiPS6_PKS6_NS0_5tupleIJPiS6_EEENSE_IJSB_SB_EEENS0_18inequality_wrapperIN6hipcub16HIPCUB_304000_NS8EqualityEEEPlJS6_EEE10hipError_tPvRmT3_T4_T5_T6_T7_T9_mT8_P12ihipStream_tbDpT10_ENKUlT_T0_E_clISt17integral_constantIbLb1EES17_EEDaS12_S13_EUlS12_E_NS1_11comp_targetILNS1_3genE4ELNS1_11target_archE910ELNS1_3gpuE8ELNS1_3repE0EEENS1_30default_config_static_selectorELNS0_4arch9wavefront6targetE0EEEvT1_,"axG",@progbits,_ZN7rocprim17ROCPRIM_400000_NS6detail17trampoline_kernelINS0_14default_configENS1_25partition_config_selectorILNS1_17partition_subalgoE8EiNS0_10empty_typeEbEEZZNS1_14partition_implILS5_8ELb0ES3_jPKiPS6_PKS6_NS0_5tupleIJPiS6_EEENSE_IJSB_SB_EEENS0_18inequality_wrapperIN6hipcub16HIPCUB_304000_NS8EqualityEEEPlJS6_EEE10hipError_tPvRmT3_T4_T5_T6_T7_T9_mT8_P12ihipStream_tbDpT10_ENKUlT_T0_E_clISt17integral_constantIbLb1EES17_EEDaS12_S13_EUlS12_E_NS1_11comp_targetILNS1_3genE4ELNS1_11target_archE910ELNS1_3gpuE8ELNS1_3repE0EEENS1_30default_config_static_selectorELNS0_4arch9wavefront6targetE0EEEvT1_,comdat
	.protected	_ZN7rocprim17ROCPRIM_400000_NS6detail17trampoline_kernelINS0_14default_configENS1_25partition_config_selectorILNS1_17partition_subalgoE8EiNS0_10empty_typeEbEEZZNS1_14partition_implILS5_8ELb0ES3_jPKiPS6_PKS6_NS0_5tupleIJPiS6_EEENSE_IJSB_SB_EEENS0_18inequality_wrapperIN6hipcub16HIPCUB_304000_NS8EqualityEEEPlJS6_EEE10hipError_tPvRmT3_T4_T5_T6_T7_T9_mT8_P12ihipStream_tbDpT10_ENKUlT_T0_E_clISt17integral_constantIbLb1EES17_EEDaS12_S13_EUlS12_E_NS1_11comp_targetILNS1_3genE4ELNS1_11target_archE910ELNS1_3gpuE8ELNS1_3repE0EEENS1_30default_config_static_selectorELNS0_4arch9wavefront6targetE0EEEvT1_ ; -- Begin function _ZN7rocprim17ROCPRIM_400000_NS6detail17trampoline_kernelINS0_14default_configENS1_25partition_config_selectorILNS1_17partition_subalgoE8EiNS0_10empty_typeEbEEZZNS1_14partition_implILS5_8ELb0ES3_jPKiPS6_PKS6_NS0_5tupleIJPiS6_EEENSE_IJSB_SB_EEENS0_18inequality_wrapperIN6hipcub16HIPCUB_304000_NS8EqualityEEEPlJS6_EEE10hipError_tPvRmT3_T4_T5_T6_T7_T9_mT8_P12ihipStream_tbDpT10_ENKUlT_T0_E_clISt17integral_constantIbLb1EES17_EEDaS12_S13_EUlS12_E_NS1_11comp_targetILNS1_3genE4ELNS1_11target_archE910ELNS1_3gpuE8ELNS1_3repE0EEENS1_30default_config_static_selectorELNS0_4arch9wavefront6targetE0EEEvT1_
	.globl	_ZN7rocprim17ROCPRIM_400000_NS6detail17trampoline_kernelINS0_14default_configENS1_25partition_config_selectorILNS1_17partition_subalgoE8EiNS0_10empty_typeEbEEZZNS1_14partition_implILS5_8ELb0ES3_jPKiPS6_PKS6_NS0_5tupleIJPiS6_EEENSE_IJSB_SB_EEENS0_18inequality_wrapperIN6hipcub16HIPCUB_304000_NS8EqualityEEEPlJS6_EEE10hipError_tPvRmT3_T4_T5_T6_T7_T9_mT8_P12ihipStream_tbDpT10_ENKUlT_T0_E_clISt17integral_constantIbLb1EES17_EEDaS12_S13_EUlS12_E_NS1_11comp_targetILNS1_3genE4ELNS1_11target_archE910ELNS1_3gpuE8ELNS1_3repE0EEENS1_30default_config_static_selectorELNS0_4arch9wavefront6targetE0EEEvT1_
	.p2align	8
	.type	_ZN7rocprim17ROCPRIM_400000_NS6detail17trampoline_kernelINS0_14default_configENS1_25partition_config_selectorILNS1_17partition_subalgoE8EiNS0_10empty_typeEbEEZZNS1_14partition_implILS5_8ELb0ES3_jPKiPS6_PKS6_NS0_5tupleIJPiS6_EEENSE_IJSB_SB_EEENS0_18inequality_wrapperIN6hipcub16HIPCUB_304000_NS8EqualityEEEPlJS6_EEE10hipError_tPvRmT3_T4_T5_T6_T7_T9_mT8_P12ihipStream_tbDpT10_ENKUlT_T0_E_clISt17integral_constantIbLb1EES17_EEDaS12_S13_EUlS12_E_NS1_11comp_targetILNS1_3genE4ELNS1_11target_archE910ELNS1_3gpuE8ELNS1_3repE0EEENS1_30default_config_static_selectorELNS0_4arch9wavefront6targetE0EEEvT1_,@function
_ZN7rocprim17ROCPRIM_400000_NS6detail17trampoline_kernelINS0_14default_configENS1_25partition_config_selectorILNS1_17partition_subalgoE8EiNS0_10empty_typeEbEEZZNS1_14partition_implILS5_8ELb0ES3_jPKiPS6_PKS6_NS0_5tupleIJPiS6_EEENSE_IJSB_SB_EEENS0_18inequality_wrapperIN6hipcub16HIPCUB_304000_NS8EqualityEEEPlJS6_EEE10hipError_tPvRmT3_T4_T5_T6_T7_T9_mT8_P12ihipStream_tbDpT10_ENKUlT_T0_E_clISt17integral_constantIbLb1EES17_EEDaS12_S13_EUlS12_E_NS1_11comp_targetILNS1_3genE4ELNS1_11target_archE910ELNS1_3gpuE8ELNS1_3repE0EEENS1_30default_config_static_selectorELNS0_4arch9wavefront6targetE0EEEvT1_: ; @_ZN7rocprim17ROCPRIM_400000_NS6detail17trampoline_kernelINS0_14default_configENS1_25partition_config_selectorILNS1_17partition_subalgoE8EiNS0_10empty_typeEbEEZZNS1_14partition_implILS5_8ELb0ES3_jPKiPS6_PKS6_NS0_5tupleIJPiS6_EEENSE_IJSB_SB_EEENS0_18inequality_wrapperIN6hipcub16HIPCUB_304000_NS8EqualityEEEPlJS6_EEE10hipError_tPvRmT3_T4_T5_T6_T7_T9_mT8_P12ihipStream_tbDpT10_ENKUlT_T0_E_clISt17integral_constantIbLb1EES17_EEDaS12_S13_EUlS12_E_NS1_11comp_targetILNS1_3genE4ELNS1_11target_archE910ELNS1_3gpuE8ELNS1_3repE0EEENS1_30default_config_static_selectorELNS0_4arch9wavefront6targetE0EEEvT1_
; %bb.0:
	.section	.rodata,"a",@progbits
	.p2align	6, 0x0
	.amdhsa_kernel _ZN7rocprim17ROCPRIM_400000_NS6detail17trampoline_kernelINS0_14default_configENS1_25partition_config_selectorILNS1_17partition_subalgoE8EiNS0_10empty_typeEbEEZZNS1_14partition_implILS5_8ELb0ES3_jPKiPS6_PKS6_NS0_5tupleIJPiS6_EEENSE_IJSB_SB_EEENS0_18inequality_wrapperIN6hipcub16HIPCUB_304000_NS8EqualityEEEPlJS6_EEE10hipError_tPvRmT3_T4_T5_T6_T7_T9_mT8_P12ihipStream_tbDpT10_ENKUlT_T0_E_clISt17integral_constantIbLb1EES17_EEDaS12_S13_EUlS12_E_NS1_11comp_targetILNS1_3genE4ELNS1_11target_archE910ELNS1_3gpuE8ELNS1_3repE0EEENS1_30default_config_static_selectorELNS0_4arch9wavefront6targetE0EEEvT1_
		.amdhsa_group_segment_fixed_size 0
		.amdhsa_private_segment_fixed_size 0
		.amdhsa_kernarg_size 128
		.amdhsa_user_sgpr_count 6
		.amdhsa_user_sgpr_private_segment_buffer 1
		.amdhsa_user_sgpr_dispatch_ptr 0
		.amdhsa_user_sgpr_queue_ptr 0
		.amdhsa_user_sgpr_kernarg_segment_ptr 1
		.amdhsa_user_sgpr_dispatch_id 0
		.amdhsa_user_sgpr_flat_scratch_init 0
		.amdhsa_user_sgpr_private_segment_size 0
		.amdhsa_wavefront_size32 1
		.amdhsa_uses_dynamic_stack 0
		.amdhsa_system_sgpr_private_segment_wavefront_offset 0
		.amdhsa_system_sgpr_workgroup_id_x 1
		.amdhsa_system_sgpr_workgroup_id_y 0
		.amdhsa_system_sgpr_workgroup_id_z 0
		.amdhsa_system_sgpr_workgroup_info 0
		.amdhsa_system_vgpr_workitem_id 0
		.amdhsa_next_free_vgpr 1
		.amdhsa_next_free_sgpr 1
		.amdhsa_reserve_vcc 0
		.amdhsa_reserve_flat_scratch 0
		.amdhsa_float_round_mode_32 0
		.amdhsa_float_round_mode_16_64 0
		.amdhsa_float_denorm_mode_32 3
		.amdhsa_float_denorm_mode_16_64 3
		.amdhsa_dx10_clamp 1
		.amdhsa_ieee_mode 1
		.amdhsa_fp16_overflow 0
		.amdhsa_workgroup_processor_mode 1
		.amdhsa_memory_ordered 1
		.amdhsa_forward_progress 1
		.amdhsa_shared_vgpr_count 0
		.amdhsa_exception_fp_ieee_invalid_op 0
		.amdhsa_exception_fp_denorm_src 0
		.amdhsa_exception_fp_ieee_div_zero 0
		.amdhsa_exception_fp_ieee_overflow 0
		.amdhsa_exception_fp_ieee_underflow 0
		.amdhsa_exception_fp_ieee_inexact 0
		.amdhsa_exception_int_div_zero 0
	.end_amdhsa_kernel
	.section	.text._ZN7rocprim17ROCPRIM_400000_NS6detail17trampoline_kernelINS0_14default_configENS1_25partition_config_selectorILNS1_17partition_subalgoE8EiNS0_10empty_typeEbEEZZNS1_14partition_implILS5_8ELb0ES3_jPKiPS6_PKS6_NS0_5tupleIJPiS6_EEENSE_IJSB_SB_EEENS0_18inequality_wrapperIN6hipcub16HIPCUB_304000_NS8EqualityEEEPlJS6_EEE10hipError_tPvRmT3_T4_T5_T6_T7_T9_mT8_P12ihipStream_tbDpT10_ENKUlT_T0_E_clISt17integral_constantIbLb1EES17_EEDaS12_S13_EUlS12_E_NS1_11comp_targetILNS1_3genE4ELNS1_11target_archE910ELNS1_3gpuE8ELNS1_3repE0EEENS1_30default_config_static_selectorELNS0_4arch9wavefront6targetE0EEEvT1_,"axG",@progbits,_ZN7rocprim17ROCPRIM_400000_NS6detail17trampoline_kernelINS0_14default_configENS1_25partition_config_selectorILNS1_17partition_subalgoE8EiNS0_10empty_typeEbEEZZNS1_14partition_implILS5_8ELb0ES3_jPKiPS6_PKS6_NS0_5tupleIJPiS6_EEENSE_IJSB_SB_EEENS0_18inequality_wrapperIN6hipcub16HIPCUB_304000_NS8EqualityEEEPlJS6_EEE10hipError_tPvRmT3_T4_T5_T6_T7_T9_mT8_P12ihipStream_tbDpT10_ENKUlT_T0_E_clISt17integral_constantIbLb1EES17_EEDaS12_S13_EUlS12_E_NS1_11comp_targetILNS1_3genE4ELNS1_11target_archE910ELNS1_3gpuE8ELNS1_3repE0EEENS1_30default_config_static_selectorELNS0_4arch9wavefront6targetE0EEEvT1_,comdat
.Lfunc_end197:
	.size	_ZN7rocprim17ROCPRIM_400000_NS6detail17trampoline_kernelINS0_14default_configENS1_25partition_config_selectorILNS1_17partition_subalgoE8EiNS0_10empty_typeEbEEZZNS1_14partition_implILS5_8ELb0ES3_jPKiPS6_PKS6_NS0_5tupleIJPiS6_EEENSE_IJSB_SB_EEENS0_18inequality_wrapperIN6hipcub16HIPCUB_304000_NS8EqualityEEEPlJS6_EEE10hipError_tPvRmT3_T4_T5_T6_T7_T9_mT8_P12ihipStream_tbDpT10_ENKUlT_T0_E_clISt17integral_constantIbLb1EES17_EEDaS12_S13_EUlS12_E_NS1_11comp_targetILNS1_3genE4ELNS1_11target_archE910ELNS1_3gpuE8ELNS1_3repE0EEENS1_30default_config_static_selectorELNS0_4arch9wavefront6targetE0EEEvT1_, .Lfunc_end197-_ZN7rocprim17ROCPRIM_400000_NS6detail17trampoline_kernelINS0_14default_configENS1_25partition_config_selectorILNS1_17partition_subalgoE8EiNS0_10empty_typeEbEEZZNS1_14partition_implILS5_8ELb0ES3_jPKiPS6_PKS6_NS0_5tupleIJPiS6_EEENSE_IJSB_SB_EEENS0_18inequality_wrapperIN6hipcub16HIPCUB_304000_NS8EqualityEEEPlJS6_EEE10hipError_tPvRmT3_T4_T5_T6_T7_T9_mT8_P12ihipStream_tbDpT10_ENKUlT_T0_E_clISt17integral_constantIbLb1EES17_EEDaS12_S13_EUlS12_E_NS1_11comp_targetILNS1_3genE4ELNS1_11target_archE910ELNS1_3gpuE8ELNS1_3repE0EEENS1_30default_config_static_selectorELNS0_4arch9wavefront6targetE0EEEvT1_
                                        ; -- End function
	.set _ZN7rocprim17ROCPRIM_400000_NS6detail17trampoline_kernelINS0_14default_configENS1_25partition_config_selectorILNS1_17partition_subalgoE8EiNS0_10empty_typeEbEEZZNS1_14partition_implILS5_8ELb0ES3_jPKiPS6_PKS6_NS0_5tupleIJPiS6_EEENSE_IJSB_SB_EEENS0_18inequality_wrapperIN6hipcub16HIPCUB_304000_NS8EqualityEEEPlJS6_EEE10hipError_tPvRmT3_T4_T5_T6_T7_T9_mT8_P12ihipStream_tbDpT10_ENKUlT_T0_E_clISt17integral_constantIbLb1EES17_EEDaS12_S13_EUlS12_E_NS1_11comp_targetILNS1_3genE4ELNS1_11target_archE910ELNS1_3gpuE8ELNS1_3repE0EEENS1_30default_config_static_selectorELNS0_4arch9wavefront6targetE0EEEvT1_.num_vgpr, 0
	.set _ZN7rocprim17ROCPRIM_400000_NS6detail17trampoline_kernelINS0_14default_configENS1_25partition_config_selectorILNS1_17partition_subalgoE8EiNS0_10empty_typeEbEEZZNS1_14partition_implILS5_8ELb0ES3_jPKiPS6_PKS6_NS0_5tupleIJPiS6_EEENSE_IJSB_SB_EEENS0_18inequality_wrapperIN6hipcub16HIPCUB_304000_NS8EqualityEEEPlJS6_EEE10hipError_tPvRmT3_T4_T5_T6_T7_T9_mT8_P12ihipStream_tbDpT10_ENKUlT_T0_E_clISt17integral_constantIbLb1EES17_EEDaS12_S13_EUlS12_E_NS1_11comp_targetILNS1_3genE4ELNS1_11target_archE910ELNS1_3gpuE8ELNS1_3repE0EEENS1_30default_config_static_selectorELNS0_4arch9wavefront6targetE0EEEvT1_.num_agpr, 0
	.set _ZN7rocprim17ROCPRIM_400000_NS6detail17trampoline_kernelINS0_14default_configENS1_25partition_config_selectorILNS1_17partition_subalgoE8EiNS0_10empty_typeEbEEZZNS1_14partition_implILS5_8ELb0ES3_jPKiPS6_PKS6_NS0_5tupleIJPiS6_EEENSE_IJSB_SB_EEENS0_18inequality_wrapperIN6hipcub16HIPCUB_304000_NS8EqualityEEEPlJS6_EEE10hipError_tPvRmT3_T4_T5_T6_T7_T9_mT8_P12ihipStream_tbDpT10_ENKUlT_T0_E_clISt17integral_constantIbLb1EES17_EEDaS12_S13_EUlS12_E_NS1_11comp_targetILNS1_3genE4ELNS1_11target_archE910ELNS1_3gpuE8ELNS1_3repE0EEENS1_30default_config_static_selectorELNS0_4arch9wavefront6targetE0EEEvT1_.numbered_sgpr, 0
	.set _ZN7rocprim17ROCPRIM_400000_NS6detail17trampoline_kernelINS0_14default_configENS1_25partition_config_selectorILNS1_17partition_subalgoE8EiNS0_10empty_typeEbEEZZNS1_14partition_implILS5_8ELb0ES3_jPKiPS6_PKS6_NS0_5tupleIJPiS6_EEENSE_IJSB_SB_EEENS0_18inequality_wrapperIN6hipcub16HIPCUB_304000_NS8EqualityEEEPlJS6_EEE10hipError_tPvRmT3_T4_T5_T6_T7_T9_mT8_P12ihipStream_tbDpT10_ENKUlT_T0_E_clISt17integral_constantIbLb1EES17_EEDaS12_S13_EUlS12_E_NS1_11comp_targetILNS1_3genE4ELNS1_11target_archE910ELNS1_3gpuE8ELNS1_3repE0EEENS1_30default_config_static_selectorELNS0_4arch9wavefront6targetE0EEEvT1_.num_named_barrier, 0
	.set _ZN7rocprim17ROCPRIM_400000_NS6detail17trampoline_kernelINS0_14default_configENS1_25partition_config_selectorILNS1_17partition_subalgoE8EiNS0_10empty_typeEbEEZZNS1_14partition_implILS5_8ELb0ES3_jPKiPS6_PKS6_NS0_5tupleIJPiS6_EEENSE_IJSB_SB_EEENS0_18inequality_wrapperIN6hipcub16HIPCUB_304000_NS8EqualityEEEPlJS6_EEE10hipError_tPvRmT3_T4_T5_T6_T7_T9_mT8_P12ihipStream_tbDpT10_ENKUlT_T0_E_clISt17integral_constantIbLb1EES17_EEDaS12_S13_EUlS12_E_NS1_11comp_targetILNS1_3genE4ELNS1_11target_archE910ELNS1_3gpuE8ELNS1_3repE0EEENS1_30default_config_static_selectorELNS0_4arch9wavefront6targetE0EEEvT1_.private_seg_size, 0
	.set _ZN7rocprim17ROCPRIM_400000_NS6detail17trampoline_kernelINS0_14default_configENS1_25partition_config_selectorILNS1_17partition_subalgoE8EiNS0_10empty_typeEbEEZZNS1_14partition_implILS5_8ELb0ES3_jPKiPS6_PKS6_NS0_5tupleIJPiS6_EEENSE_IJSB_SB_EEENS0_18inequality_wrapperIN6hipcub16HIPCUB_304000_NS8EqualityEEEPlJS6_EEE10hipError_tPvRmT3_T4_T5_T6_T7_T9_mT8_P12ihipStream_tbDpT10_ENKUlT_T0_E_clISt17integral_constantIbLb1EES17_EEDaS12_S13_EUlS12_E_NS1_11comp_targetILNS1_3genE4ELNS1_11target_archE910ELNS1_3gpuE8ELNS1_3repE0EEENS1_30default_config_static_selectorELNS0_4arch9wavefront6targetE0EEEvT1_.uses_vcc, 0
	.set _ZN7rocprim17ROCPRIM_400000_NS6detail17trampoline_kernelINS0_14default_configENS1_25partition_config_selectorILNS1_17partition_subalgoE8EiNS0_10empty_typeEbEEZZNS1_14partition_implILS5_8ELb0ES3_jPKiPS6_PKS6_NS0_5tupleIJPiS6_EEENSE_IJSB_SB_EEENS0_18inequality_wrapperIN6hipcub16HIPCUB_304000_NS8EqualityEEEPlJS6_EEE10hipError_tPvRmT3_T4_T5_T6_T7_T9_mT8_P12ihipStream_tbDpT10_ENKUlT_T0_E_clISt17integral_constantIbLb1EES17_EEDaS12_S13_EUlS12_E_NS1_11comp_targetILNS1_3genE4ELNS1_11target_archE910ELNS1_3gpuE8ELNS1_3repE0EEENS1_30default_config_static_selectorELNS0_4arch9wavefront6targetE0EEEvT1_.uses_flat_scratch, 0
	.set _ZN7rocprim17ROCPRIM_400000_NS6detail17trampoline_kernelINS0_14default_configENS1_25partition_config_selectorILNS1_17partition_subalgoE8EiNS0_10empty_typeEbEEZZNS1_14partition_implILS5_8ELb0ES3_jPKiPS6_PKS6_NS0_5tupleIJPiS6_EEENSE_IJSB_SB_EEENS0_18inequality_wrapperIN6hipcub16HIPCUB_304000_NS8EqualityEEEPlJS6_EEE10hipError_tPvRmT3_T4_T5_T6_T7_T9_mT8_P12ihipStream_tbDpT10_ENKUlT_T0_E_clISt17integral_constantIbLb1EES17_EEDaS12_S13_EUlS12_E_NS1_11comp_targetILNS1_3genE4ELNS1_11target_archE910ELNS1_3gpuE8ELNS1_3repE0EEENS1_30default_config_static_selectorELNS0_4arch9wavefront6targetE0EEEvT1_.has_dyn_sized_stack, 0
	.set _ZN7rocprim17ROCPRIM_400000_NS6detail17trampoline_kernelINS0_14default_configENS1_25partition_config_selectorILNS1_17partition_subalgoE8EiNS0_10empty_typeEbEEZZNS1_14partition_implILS5_8ELb0ES3_jPKiPS6_PKS6_NS0_5tupleIJPiS6_EEENSE_IJSB_SB_EEENS0_18inequality_wrapperIN6hipcub16HIPCUB_304000_NS8EqualityEEEPlJS6_EEE10hipError_tPvRmT3_T4_T5_T6_T7_T9_mT8_P12ihipStream_tbDpT10_ENKUlT_T0_E_clISt17integral_constantIbLb1EES17_EEDaS12_S13_EUlS12_E_NS1_11comp_targetILNS1_3genE4ELNS1_11target_archE910ELNS1_3gpuE8ELNS1_3repE0EEENS1_30default_config_static_selectorELNS0_4arch9wavefront6targetE0EEEvT1_.has_recursion, 0
	.set _ZN7rocprim17ROCPRIM_400000_NS6detail17trampoline_kernelINS0_14default_configENS1_25partition_config_selectorILNS1_17partition_subalgoE8EiNS0_10empty_typeEbEEZZNS1_14partition_implILS5_8ELb0ES3_jPKiPS6_PKS6_NS0_5tupleIJPiS6_EEENSE_IJSB_SB_EEENS0_18inequality_wrapperIN6hipcub16HIPCUB_304000_NS8EqualityEEEPlJS6_EEE10hipError_tPvRmT3_T4_T5_T6_T7_T9_mT8_P12ihipStream_tbDpT10_ENKUlT_T0_E_clISt17integral_constantIbLb1EES17_EEDaS12_S13_EUlS12_E_NS1_11comp_targetILNS1_3genE4ELNS1_11target_archE910ELNS1_3gpuE8ELNS1_3repE0EEENS1_30default_config_static_selectorELNS0_4arch9wavefront6targetE0EEEvT1_.has_indirect_call, 0
	.section	.AMDGPU.csdata,"",@progbits
; Kernel info:
; codeLenInByte = 0
; TotalNumSgprs: 0
; NumVgprs: 0
; ScratchSize: 0
; MemoryBound: 0
; FloatMode: 240
; IeeeMode: 1
; LDSByteSize: 0 bytes/workgroup (compile time only)
; SGPRBlocks: 0
; VGPRBlocks: 0
; NumSGPRsForWavesPerEU: 1
; NumVGPRsForWavesPerEU: 1
; Occupancy: 16
; WaveLimiterHint : 0
; COMPUTE_PGM_RSRC2:SCRATCH_EN: 0
; COMPUTE_PGM_RSRC2:USER_SGPR: 6
; COMPUTE_PGM_RSRC2:TRAP_HANDLER: 0
; COMPUTE_PGM_RSRC2:TGID_X_EN: 1
; COMPUTE_PGM_RSRC2:TGID_Y_EN: 0
; COMPUTE_PGM_RSRC2:TGID_Z_EN: 0
; COMPUTE_PGM_RSRC2:TIDIG_COMP_CNT: 0
	.section	.text._ZN7rocprim17ROCPRIM_400000_NS6detail17trampoline_kernelINS0_14default_configENS1_25partition_config_selectorILNS1_17partition_subalgoE8EiNS0_10empty_typeEbEEZZNS1_14partition_implILS5_8ELb0ES3_jPKiPS6_PKS6_NS0_5tupleIJPiS6_EEENSE_IJSB_SB_EEENS0_18inequality_wrapperIN6hipcub16HIPCUB_304000_NS8EqualityEEEPlJS6_EEE10hipError_tPvRmT3_T4_T5_T6_T7_T9_mT8_P12ihipStream_tbDpT10_ENKUlT_T0_E_clISt17integral_constantIbLb1EES17_EEDaS12_S13_EUlS12_E_NS1_11comp_targetILNS1_3genE3ELNS1_11target_archE908ELNS1_3gpuE7ELNS1_3repE0EEENS1_30default_config_static_selectorELNS0_4arch9wavefront6targetE0EEEvT1_,"axG",@progbits,_ZN7rocprim17ROCPRIM_400000_NS6detail17trampoline_kernelINS0_14default_configENS1_25partition_config_selectorILNS1_17partition_subalgoE8EiNS0_10empty_typeEbEEZZNS1_14partition_implILS5_8ELb0ES3_jPKiPS6_PKS6_NS0_5tupleIJPiS6_EEENSE_IJSB_SB_EEENS0_18inequality_wrapperIN6hipcub16HIPCUB_304000_NS8EqualityEEEPlJS6_EEE10hipError_tPvRmT3_T4_T5_T6_T7_T9_mT8_P12ihipStream_tbDpT10_ENKUlT_T0_E_clISt17integral_constantIbLb1EES17_EEDaS12_S13_EUlS12_E_NS1_11comp_targetILNS1_3genE3ELNS1_11target_archE908ELNS1_3gpuE7ELNS1_3repE0EEENS1_30default_config_static_selectorELNS0_4arch9wavefront6targetE0EEEvT1_,comdat
	.protected	_ZN7rocprim17ROCPRIM_400000_NS6detail17trampoline_kernelINS0_14default_configENS1_25partition_config_selectorILNS1_17partition_subalgoE8EiNS0_10empty_typeEbEEZZNS1_14partition_implILS5_8ELb0ES3_jPKiPS6_PKS6_NS0_5tupleIJPiS6_EEENSE_IJSB_SB_EEENS0_18inequality_wrapperIN6hipcub16HIPCUB_304000_NS8EqualityEEEPlJS6_EEE10hipError_tPvRmT3_T4_T5_T6_T7_T9_mT8_P12ihipStream_tbDpT10_ENKUlT_T0_E_clISt17integral_constantIbLb1EES17_EEDaS12_S13_EUlS12_E_NS1_11comp_targetILNS1_3genE3ELNS1_11target_archE908ELNS1_3gpuE7ELNS1_3repE0EEENS1_30default_config_static_selectorELNS0_4arch9wavefront6targetE0EEEvT1_ ; -- Begin function _ZN7rocprim17ROCPRIM_400000_NS6detail17trampoline_kernelINS0_14default_configENS1_25partition_config_selectorILNS1_17partition_subalgoE8EiNS0_10empty_typeEbEEZZNS1_14partition_implILS5_8ELb0ES3_jPKiPS6_PKS6_NS0_5tupleIJPiS6_EEENSE_IJSB_SB_EEENS0_18inequality_wrapperIN6hipcub16HIPCUB_304000_NS8EqualityEEEPlJS6_EEE10hipError_tPvRmT3_T4_T5_T6_T7_T9_mT8_P12ihipStream_tbDpT10_ENKUlT_T0_E_clISt17integral_constantIbLb1EES17_EEDaS12_S13_EUlS12_E_NS1_11comp_targetILNS1_3genE3ELNS1_11target_archE908ELNS1_3gpuE7ELNS1_3repE0EEENS1_30default_config_static_selectorELNS0_4arch9wavefront6targetE0EEEvT1_
	.globl	_ZN7rocprim17ROCPRIM_400000_NS6detail17trampoline_kernelINS0_14default_configENS1_25partition_config_selectorILNS1_17partition_subalgoE8EiNS0_10empty_typeEbEEZZNS1_14partition_implILS5_8ELb0ES3_jPKiPS6_PKS6_NS0_5tupleIJPiS6_EEENSE_IJSB_SB_EEENS0_18inequality_wrapperIN6hipcub16HIPCUB_304000_NS8EqualityEEEPlJS6_EEE10hipError_tPvRmT3_T4_T5_T6_T7_T9_mT8_P12ihipStream_tbDpT10_ENKUlT_T0_E_clISt17integral_constantIbLb1EES17_EEDaS12_S13_EUlS12_E_NS1_11comp_targetILNS1_3genE3ELNS1_11target_archE908ELNS1_3gpuE7ELNS1_3repE0EEENS1_30default_config_static_selectorELNS0_4arch9wavefront6targetE0EEEvT1_
	.p2align	8
	.type	_ZN7rocprim17ROCPRIM_400000_NS6detail17trampoline_kernelINS0_14default_configENS1_25partition_config_selectorILNS1_17partition_subalgoE8EiNS0_10empty_typeEbEEZZNS1_14partition_implILS5_8ELb0ES3_jPKiPS6_PKS6_NS0_5tupleIJPiS6_EEENSE_IJSB_SB_EEENS0_18inequality_wrapperIN6hipcub16HIPCUB_304000_NS8EqualityEEEPlJS6_EEE10hipError_tPvRmT3_T4_T5_T6_T7_T9_mT8_P12ihipStream_tbDpT10_ENKUlT_T0_E_clISt17integral_constantIbLb1EES17_EEDaS12_S13_EUlS12_E_NS1_11comp_targetILNS1_3genE3ELNS1_11target_archE908ELNS1_3gpuE7ELNS1_3repE0EEENS1_30default_config_static_selectorELNS0_4arch9wavefront6targetE0EEEvT1_,@function
_ZN7rocprim17ROCPRIM_400000_NS6detail17trampoline_kernelINS0_14default_configENS1_25partition_config_selectorILNS1_17partition_subalgoE8EiNS0_10empty_typeEbEEZZNS1_14partition_implILS5_8ELb0ES3_jPKiPS6_PKS6_NS0_5tupleIJPiS6_EEENSE_IJSB_SB_EEENS0_18inequality_wrapperIN6hipcub16HIPCUB_304000_NS8EqualityEEEPlJS6_EEE10hipError_tPvRmT3_T4_T5_T6_T7_T9_mT8_P12ihipStream_tbDpT10_ENKUlT_T0_E_clISt17integral_constantIbLb1EES17_EEDaS12_S13_EUlS12_E_NS1_11comp_targetILNS1_3genE3ELNS1_11target_archE908ELNS1_3gpuE7ELNS1_3repE0EEENS1_30default_config_static_selectorELNS0_4arch9wavefront6targetE0EEEvT1_: ; @_ZN7rocprim17ROCPRIM_400000_NS6detail17trampoline_kernelINS0_14default_configENS1_25partition_config_selectorILNS1_17partition_subalgoE8EiNS0_10empty_typeEbEEZZNS1_14partition_implILS5_8ELb0ES3_jPKiPS6_PKS6_NS0_5tupleIJPiS6_EEENSE_IJSB_SB_EEENS0_18inequality_wrapperIN6hipcub16HIPCUB_304000_NS8EqualityEEEPlJS6_EEE10hipError_tPvRmT3_T4_T5_T6_T7_T9_mT8_P12ihipStream_tbDpT10_ENKUlT_T0_E_clISt17integral_constantIbLb1EES17_EEDaS12_S13_EUlS12_E_NS1_11comp_targetILNS1_3genE3ELNS1_11target_archE908ELNS1_3gpuE7ELNS1_3repE0EEENS1_30default_config_static_selectorELNS0_4arch9wavefront6targetE0EEEvT1_
; %bb.0:
	.section	.rodata,"a",@progbits
	.p2align	6, 0x0
	.amdhsa_kernel _ZN7rocprim17ROCPRIM_400000_NS6detail17trampoline_kernelINS0_14default_configENS1_25partition_config_selectorILNS1_17partition_subalgoE8EiNS0_10empty_typeEbEEZZNS1_14partition_implILS5_8ELb0ES3_jPKiPS6_PKS6_NS0_5tupleIJPiS6_EEENSE_IJSB_SB_EEENS0_18inequality_wrapperIN6hipcub16HIPCUB_304000_NS8EqualityEEEPlJS6_EEE10hipError_tPvRmT3_T4_T5_T6_T7_T9_mT8_P12ihipStream_tbDpT10_ENKUlT_T0_E_clISt17integral_constantIbLb1EES17_EEDaS12_S13_EUlS12_E_NS1_11comp_targetILNS1_3genE3ELNS1_11target_archE908ELNS1_3gpuE7ELNS1_3repE0EEENS1_30default_config_static_selectorELNS0_4arch9wavefront6targetE0EEEvT1_
		.amdhsa_group_segment_fixed_size 0
		.amdhsa_private_segment_fixed_size 0
		.amdhsa_kernarg_size 128
		.amdhsa_user_sgpr_count 6
		.amdhsa_user_sgpr_private_segment_buffer 1
		.amdhsa_user_sgpr_dispatch_ptr 0
		.amdhsa_user_sgpr_queue_ptr 0
		.amdhsa_user_sgpr_kernarg_segment_ptr 1
		.amdhsa_user_sgpr_dispatch_id 0
		.amdhsa_user_sgpr_flat_scratch_init 0
		.amdhsa_user_sgpr_private_segment_size 0
		.amdhsa_wavefront_size32 1
		.amdhsa_uses_dynamic_stack 0
		.amdhsa_system_sgpr_private_segment_wavefront_offset 0
		.amdhsa_system_sgpr_workgroup_id_x 1
		.amdhsa_system_sgpr_workgroup_id_y 0
		.amdhsa_system_sgpr_workgroup_id_z 0
		.amdhsa_system_sgpr_workgroup_info 0
		.amdhsa_system_vgpr_workitem_id 0
		.amdhsa_next_free_vgpr 1
		.amdhsa_next_free_sgpr 1
		.amdhsa_reserve_vcc 0
		.amdhsa_reserve_flat_scratch 0
		.amdhsa_float_round_mode_32 0
		.amdhsa_float_round_mode_16_64 0
		.amdhsa_float_denorm_mode_32 3
		.amdhsa_float_denorm_mode_16_64 3
		.amdhsa_dx10_clamp 1
		.amdhsa_ieee_mode 1
		.amdhsa_fp16_overflow 0
		.amdhsa_workgroup_processor_mode 1
		.amdhsa_memory_ordered 1
		.amdhsa_forward_progress 1
		.amdhsa_shared_vgpr_count 0
		.amdhsa_exception_fp_ieee_invalid_op 0
		.amdhsa_exception_fp_denorm_src 0
		.amdhsa_exception_fp_ieee_div_zero 0
		.amdhsa_exception_fp_ieee_overflow 0
		.amdhsa_exception_fp_ieee_underflow 0
		.amdhsa_exception_fp_ieee_inexact 0
		.amdhsa_exception_int_div_zero 0
	.end_amdhsa_kernel
	.section	.text._ZN7rocprim17ROCPRIM_400000_NS6detail17trampoline_kernelINS0_14default_configENS1_25partition_config_selectorILNS1_17partition_subalgoE8EiNS0_10empty_typeEbEEZZNS1_14partition_implILS5_8ELb0ES3_jPKiPS6_PKS6_NS0_5tupleIJPiS6_EEENSE_IJSB_SB_EEENS0_18inequality_wrapperIN6hipcub16HIPCUB_304000_NS8EqualityEEEPlJS6_EEE10hipError_tPvRmT3_T4_T5_T6_T7_T9_mT8_P12ihipStream_tbDpT10_ENKUlT_T0_E_clISt17integral_constantIbLb1EES17_EEDaS12_S13_EUlS12_E_NS1_11comp_targetILNS1_3genE3ELNS1_11target_archE908ELNS1_3gpuE7ELNS1_3repE0EEENS1_30default_config_static_selectorELNS0_4arch9wavefront6targetE0EEEvT1_,"axG",@progbits,_ZN7rocprim17ROCPRIM_400000_NS6detail17trampoline_kernelINS0_14default_configENS1_25partition_config_selectorILNS1_17partition_subalgoE8EiNS0_10empty_typeEbEEZZNS1_14partition_implILS5_8ELb0ES3_jPKiPS6_PKS6_NS0_5tupleIJPiS6_EEENSE_IJSB_SB_EEENS0_18inequality_wrapperIN6hipcub16HIPCUB_304000_NS8EqualityEEEPlJS6_EEE10hipError_tPvRmT3_T4_T5_T6_T7_T9_mT8_P12ihipStream_tbDpT10_ENKUlT_T0_E_clISt17integral_constantIbLb1EES17_EEDaS12_S13_EUlS12_E_NS1_11comp_targetILNS1_3genE3ELNS1_11target_archE908ELNS1_3gpuE7ELNS1_3repE0EEENS1_30default_config_static_selectorELNS0_4arch9wavefront6targetE0EEEvT1_,comdat
.Lfunc_end198:
	.size	_ZN7rocprim17ROCPRIM_400000_NS6detail17trampoline_kernelINS0_14default_configENS1_25partition_config_selectorILNS1_17partition_subalgoE8EiNS0_10empty_typeEbEEZZNS1_14partition_implILS5_8ELb0ES3_jPKiPS6_PKS6_NS0_5tupleIJPiS6_EEENSE_IJSB_SB_EEENS0_18inequality_wrapperIN6hipcub16HIPCUB_304000_NS8EqualityEEEPlJS6_EEE10hipError_tPvRmT3_T4_T5_T6_T7_T9_mT8_P12ihipStream_tbDpT10_ENKUlT_T0_E_clISt17integral_constantIbLb1EES17_EEDaS12_S13_EUlS12_E_NS1_11comp_targetILNS1_3genE3ELNS1_11target_archE908ELNS1_3gpuE7ELNS1_3repE0EEENS1_30default_config_static_selectorELNS0_4arch9wavefront6targetE0EEEvT1_, .Lfunc_end198-_ZN7rocprim17ROCPRIM_400000_NS6detail17trampoline_kernelINS0_14default_configENS1_25partition_config_selectorILNS1_17partition_subalgoE8EiNS0_10empty_typeEbEEZZNS1_14partition_implILS5_8ELb0ES3_jPKiPS6_PKS6_NS0_5tupleIJPiS6_EEENSE_IJSB_SB_EEENS0_18inequality_wrapperIN6hipcub16HIPCUB_304000_NS8EqualityEEEPlJS6_EEE10hipError_tPvRmT3_T4_T5_T6_T7_T9_mT8_P12ihipStream_tbDpT10_ENKUlT_T0_E_clISt17integral_constantIbLb1EES17_EEDaS12_S13_EUlS12_E_NS1_11comp_targetILNS1_3genE3ELNS1_11target_archE908ELNS1_3gpuE7ELNS1_3repE0EEENS1_30default_config_static_selectorELNS0_4arch9wavefront6targetE0EEEvT1_
                                        ; -- End function
	.set _ZN7rocprim17ROCPRIM_400000_NS6detail17trampoline_kernelINS0_14default_configENS1_25partition_config_selectorILNS1_17partition_subalgoE8EiNS0_10empty_typeEbEEZZNS1_14partition_implILS5_8ELb0ES3_jPKiPS6_PKS6_NS0_5tupleIJPiS6_EEENSE_IJSB_SB_EEENS0_18inequality_wrapperIN6hipcub16HIPCUB_304000_NS8EqualityEEEPlJS6_EEE10hipError_tPvRmT3_T4_T5_T6_T7_T9_mT8_P12ihipStream_tbDpT10_ENKUlT_T0_E_clISt17integral_constantIbLb1EES17_EEDaS12_S13_EUlS12_E_NS1_11comp_targetILNS1_3genE3ELNS1_11target_archE908ELNS1_3gpuE7ELNS1_3repE0EEENS1_30default_config_static_selectorELNS0_4arch9wavefront6targetE0EEEvT1_.num_vgpr, 0
	.set _ZN7rocprim17ROCPRIM_400000_NS6detail17trampoline_kernelINS0_14default_configENS1_25partition_config_selectorILNS1_17partition_subalgoE8EiNS0_10empty_typeEbEEZZNS1_14partition_implILS5_8ELb0ES3_jPKiPS6_PKS6_NS0_5tupleIJPiS6_EEENSE_IJSB_SB_EEENS0_18inequality_wrapperIN6hipcub16HIPCUB_304000_NS8EqualityEEEPlJS6_EEE10hipError_tPvRmT3_T4_T5_T6_T7_T9_mT8_P12ihipStream_tbDpT10_ENKUlT_T0_E_clISt17integral_constantIbLb1EES17_EEDaS12_S13_EUlS12_E_NS1_11comp_targetILNS1_3genE3ELNS1_11target_archE908ELNS1_3gpuE7ELNS1_3repE0EEENS1_30default_config_static_selectorELNS0_4arch9wavefront6targetE0EEEvT1_.num_agpr, 0
	.set _ZN7rocprim17ROCPRIM_400000_NS6detail17trampoline_kernelINS0_14default_configENS1_25partition_config_selectorILNS1_17partition_subalgoE8EiNS0_10empty_typeEbEEZZNS1_14partition_implILS5_8ELb0ES3_jPKiPS6_PKS6_NS0_5tupleIJPiS6_EEENSE_IJSB_SB_EEENS0_18inequality_wrapperIN6hipcub16HIPCUB_304000_NS8EqualityEEEPlJS6_EEE10hipError_tPvRmT3_T4_T5_T6_T7_T9_mT8_P12ihipStream_tbDpT10_ENKUlT_T0_E_clISt17integral_constantIbLb1EES17_EEDaS12_S13_EUlS12_E_NS1_11comp_targetILNS1_3genE3ELNS1_11target_archE908ELNS1_3gpuE7ELNS1_3repE0EEENS1_30default_config_static_selectorELNS0_4arch9wavefront6targetE0EEEvT1_.numbered_sgpr, 0
	.set _ZN7rocprim17ROCPRIM_400000_NS6detail17trampoline_kernelINS0_14default_configENS1_25partition_config_selectorILNS1_17partition_subalgoE8EiNS0_10empty_typeEbEEZZNS1_14partition_implILS5_8ELb0ES3_jPKiPS6_PKS6_NS0_5tupleIJPiS6_EEENSE_IJSB_SB_EEENS0_18inequality_wrapperIN6hipcub16HIPCUB_304000_NS8EqualityEEEPlJS6_EEE10hipError_tPvRmT3_T4_T5_T6_T7_T9_mT8_P12ihipStream_tbDpT10_ENKUlT_T0_E_clISt17integral_constantIbLb1EES17_EEDaS12_S13_EUlS12_E_NS1_11comp_targetILNS1_3genE3ELNS1_11target_archE908ELNS1_3gpuE7ELNS1_3repE0EEENS1_30default_config_static_selectorELNS0_4arch9wavefront6targetE0EEEvT1_.num_named_barrier, 0
	.set _ZN7rocprim17ROCPRIM_400000_NS6detail17trampoline_kernelINS0_14default_configENS1_25partition_config_selectorILNS1_17partition_subalgoE8EiNS0_10empty_typeEbEEZZNS1_14partition_implILS5_8ELb0ES3_jPKiPS6_PKS6_NS0_5tupleIJPiS6_EEENSE_IJSB_SB_EEENS0_18inequality_wrapperIN6hipcub16HIPCUB_304000_NS8EqualityEEEPlJS6_EEE10hipError_tPvRmT3_T4_T5_T6_T7_T9_mT8_P12ihipStream_tbDpT10_ENKUlT_T0_E_clISt17integral_constantIbLb1EES17_EEDaS12_S13_EUlS12_E_NS1_11comp_targetILNS1_3genE3ELNS1_11target_archE908ELNS1_3gpuE7ELNS1_3repE0EEENS1_30default_config_static_selectorELNS0_4arch9wavefront6targetE0EEEvT1_.private_seg_size, 0
	.set _ZN7rocprim17ROCPRIM_400000_NS6detail17trampoline_kernelINS0_14default_configENS1_25partition_config_selectorILNS1_17partition_subalgoE8EiNS0_10empty_typeEbEEZZNS1_14partition_implILS5_8ELb0ES3_jPKiPS6_PKS6_NS0_5tupleIJPiS6_EEENSE_IJSB_SB_EEENS0_18inequality_wrapperIN6hipcub16HIPCUB_304000_NS8EqualityEEEPlJS6_EEE10hipError_tPvRmT3_T4_T5_T6_T7_T9_mT8_P12ihipStream_tbDpT10_ENKUlT_T0_E_clISt17integral_constantIbLb1EES17_EEDaS12_S13_EUlS12_E_NS1_11comp_targetILNS1_3genE3ELNS1_11target_archE908ELNS1_3gpuE7ELNS1_3repE0EEENS1_30default_config_static_selectorELNS0_4arch9wavefront6targetE0EEEvT1_.uses_vcc, 0
	.set _ZN7rocprim17ROCPRIM_400000_NS6detail17trampoline_kernelINS0_14default_configENS1_25partition_config_selectorILNS1_17partition_subalgoE8EiNS0_10empty_typeEbEEZZNS1_14partition_implILS5_8ELb0ES3_jPKiPS6_PKS6_NS0_5tupleIJPiS6_EEENSE_IJSB_SB_EEENS0_18inequality_wrapperIN6hipcub16HIPCUB_304000_NS8EqualityEEEPlJS6_EEE10hipError_tPvRmT3_T4_T5_T6_T7_T9_mT8_P12ihipStream_tbDpT10_ENKUlT_T0_E_clISt17integral_constantIbLb1EES17_EEDaS12_S13_EUlS12_E_NS1_11comp_targetILNS1_3genE3ELNS1_11target_archE908ELNS1_3gpuE7ELNS1_3repE0EEENS1_30default_config_static_selectorELNS0_4arch9wavefront6targetE0EEEvT1_.uses_flat_scratch, 0
	.set _ZN7rocprim17ROCPRIM_400000_NS6detail17trampoline_kernelINS0_14default_configENS1_25partition_config_selectorILNS1_17partition_subalgoE8EiNS0_10empty_typeEbEEZZNS1_14partition_implILS5_8ELb0ES3_jPKiPS6_PKS6_NS0_5tupleIJPiS6_EEENSE_IJSB_SB_EEENS0_18inequality_wrapperIN6hipcub16HIPCUB_304000_NS8EqualityEEEPlJS6_EEE10hipError_tPvRmT3_T4_T5_T6_T7_T9_mT8_P12ihipStream_tbDpT10_ENKUlT_T0_E_clISt17integral_constantIbLb1EES17_EEDaS12_S13_EUlS12_E_NS1_11comp_targetILNS1_3genE3ELNS1_11target_archE908ELNS1_3gpuE7ELNS1_3repE0EEENS1_30default_config_static_selectorELNS0_4arch9wavefront6targetE0EEEvT1_.has_dyn_sized_stack, 0
	.set _ZN7rocprim17ROCPRIM_400000_NS6detail17trampoline_kernelINS0_14default_configENS1_25partition_config_selectorILNS1_17partition_subalgoE8EiNS0_10empty_typeEbEEZZNS1_14partition_implILS5_8ELb0ES3_jPKiPS6_PKS6_NS0_5tupleIJPiS6_EEENSE_IJSB_SB_EEENS0_18inequality_wrapperIN6hipcub16HIPCUB_304000_NS8EqualityEEEPlJS6_EEE10hipError_tPvRmT3_T4_T5_T6_T7_T9_mT8_P12ihipStream_tbDpT10_ENKUlT_T0_E_clISt17integral_constantIbLb1EES17_EEDaS12_S13_EUlS12_E_NS1_11comp_targetILNS1_3genE3ELNS1_11target_archE908ELNS1_3gpuE7ELNS1_3repE0EEENS1_30default_config_static_selectorELNS0_4arch9wavefront6targetE0EEEvT1_.has_recursion, 0
	.set _ZN7rocprim17ROCPRIM_400000_NS6detail17trampoline_kernelINS0_14default_configENS1_25partition_config_selectorILNS1_17partition_subalgoE8EiNS0_10empty_typeEbEEZZNS1_14partition_implILS5_8ELb0ES3_jPKiPS6_PKS6_NS0_5tupleIJPiS6_EEENSE_IJSB_SB_EEENS0_18inequality_wrapperIN6hipcub16HIPCUB_304000_NS8EqualityEEEPlJS6_EEE10hipError_tPvRmT3_T4_T5_T6_T7_T9_mT8_P12ihipStream_tbDpT10_ENKUlT_T0_E_clISt17integral_constantIbLb1EES17_EEDaS12_S13_EUlS12_E_NS1_11comp_targetILNS1_3genE3ELNS1_11target_archE908ELNS1_3gpuE7ELNS1_3repE0EEENS1_30default_config_static_selectorELNS0_4arch9wavefront6targetE0EEEvT1_.has_indirect_call, 0
	.section	.AMDGPU.csdata,"",@progbits
; Kernel info:
; codeLenInByte = 0
; TotalNumSgprs: 0
; NumVgprs: 0
; ScratchSize: 0
; MemoryBound: 0
; FloatMode: 240
; IeeeMode: 1
; LDSByteSize: 0 bytes/workgroup (compile time only)
; SGPRBlocks: 0
; VGPRBlocks: 0
; NumSGPRsForWavesPerEU: 1
; NumVGPRsForWavesPerEU: 1
; Occupancy: 16
; WaveLimiterHint : 0
; COMPUTE_PGM_RSRC2:SCRATCH_EN: 0
; COMPUTE_PGM_RSRC2:USER_SGPR: 6
; COMPUTE_PGM_RSRC2:TRAP_HANDLER: 0
; COMPUTE_PGM_RSRC2:TGID_X_EN: 1
; COMPUTE_PGM_RSRC2:TGID_Y_EN: 0
; COMPUTE_PGM_RSRC2:TGID_Z_EN: 0
; COMPUTE_PGM_RSRC2:TIDIG_COMP_CNT: 0
	.section	.text._ZN7rocprim17ROCPRIM_400000_NS6detail17trampoline_kernelINS0_14default_configENS1_25partition_config_selectorILNS1_17partition_subalgoE8EiNS0_10empty_typeEbEEZZNS1_14partition_implILS5_8ELb0ES3_jPKiPS6_PKS6_NS0_5tupleIJPiS6_EEENSE_IJSB_SB_EEENS0_18inequality_wrapperIN6hipcub16HIPCUB_304000_NS8EqualityEEEPlJS6_EEE10hipError_tPvRmT3_T4_T5_T6_T7_T9_mT8_P12ihipStream_tbDpT10_ENKUlT_T0_E_clISt17integral_constantIbLb1EES17_EEDaS12_S13_EUlS12_E_NS1_11comp_targetILNS1_3genE2ELNS1_11target_archE906ELNS1_3gpuE6ELNS1_3repE0EEENS1_30default_config_static_selectorELNS0_4arch9wavefront6targetE0EEEvT1_,"axG",@progbits,_ZN7rocprim17ROCPRIM_400000_NS6detail17trampoline_kernelINS0_14default_configENS1_25partition_config_selectorILNS1_17partition_subalgoE8EiNS0_10empty_typeEbEEZZNS1_14partition_implILS5_8ELb0ES3_jPKiPS6_PKS6_NS0_5tupleIJPiS6_EEENSE_IJSB_SB_EEENS0_18inequality_wrapperIN6hipcub16HIPCUB_304000_NS8EqualityEEEPlJS6_EEE10hipError_tPvRmT3_T4_T5_T6_T7_T9_mT8_P12ihipStream_tbDpT10_ENKUlT_T0_E_clISt17integral_constantIbLb1EES17_EEDaS12_S13_EUlS12_E_NS1_11comp_targetILNS1_3genE2ELNS1_11target_archE906ELNS1_3gpuE6ELNS1_3repE0EEENS1_30default_config_static_selectorELNS0_4arch9wavefront6targetE0EEEvT1_,comdat
	.protected	_ZN7rocprim17ROCPRIM_400000_NS6detail17trampoline_kernelINS0_14default_configENS1_25partition_config_selectorILNS1_17partition_subalgoE8EiNS0_10empty_typeEbEEZZNS1_14partition_implILS5_8ELb0ES3_jPKiPS6_PKS6_NS0_5tupleIJPiS6_EEENSE_IJSB_SB_EEENS0_18inequality_wrapperIN6hipcub16HIPCUB_304000_NS8EqualityEEEPlJS6_EEE10hipError_tPvRmT3_T4_T5_T6_T7_T9_mT8_P12ihipStream_tbDpT10_ENKUlT_T0_E_clISt17integral_constantIbLb1EES17_EEDaS12_S13_EUlS12_E_NS1_11comp_targetILNS1_3genE2ELNS1_11target_archE906ELNS1_3gpuE6ELNS1_3repE0EEENS1_30default_config_static_selectorELNS0_4arch9wavefront6targetE0EEEvT1_ ; -- Begin function _ZN7rocprim17ROCPRIM_400000_NS6detail17trampoline_kernelINS0_14default_configENS1_25partition_config_selectorILNS1_17partition_subalgoE8EiNS0_10empty_typeEbEEZZNS1_14partition_implILS5_8ELb0ES3_jPKiPS6_PKS6_NS0_5tupleIJPiS6_EEENSE_IJSB_SB_EEENS0_18inequality_wrapperIN6hipcub16HIPCUB_304000_NS8EqualityEEEPlJS6_EEE10hipError_tPvRmT3_T4_T5_T6_T7_T9_mT8_P12ihipStream_tbDpT10_ENKUlT_T0_E_clISt17integral_constantIbLb1EES17_EEDaS12_S13_EUlS12_E_NS1_11comp_targetILNS1_3genE2ELNS1_11target_archE906ELNS1_3gpuE6ELNS1_3repE0EEENS1_30default_config_static_selectorELNS0_4arch9wavefront6targetE0EEEvT1_
	.globl	_ZN7rocprim17ROCPRIM_400000_NS6detail17trampoline_kernelINS0_14default_configENS1_25partition_config_selectorILNS1_17partition_subalgoE8EiNS0_10empty_typeEbEEZZNS1_14partition_implILS5_8ELb0ES3_jPKiPS6_PKS6_NS0_5tupleIJPiS6_EEENSE_IJSB_SB_EEENS0_18inequality_wrapperIN6hipcub16HIPCUB_304000_NS8EqualityEEEPlJS6_EEE10hipError_tPvRmT3_T4_T5_T6_T7_T9_mT8_P12ihipStream_tbDpT10_ENKUlT_T0_E_clISt17integral_constantIbLb1EES17_EEDaS12_S13_EUlS12_E_NS1_11comp_targetILNS1_3genE2ELNS1_11target_archE906ELNS1_3gpuE6ELNS1_3repE0EEENS1_30default_config_static_selectorELNS0_4arch9wavefront6targetE0EEEvT1_
	.p2align	8
	.type	_ZN7rocprim17ROCPRIM_400000_NS6detail17trampoline_kernelINS0_14default_configENS1_25partition_config_selectorILNS1_17partition_subalgoE8EiNS0_10empty_typeEbEEZZNS1_14partition_implILS5_8ELb0ES3_jPKiPS6_PKS6_NS0_5tupleIJPiS6_EEENSE_IJSB_SB_EEENS0_18inequality_wrapperIN6hipcub16HIPCUB_304000_NS8EqualityEEEPlJS6_EEE10hipError_tPvRmT3_T4_T5_T6_T7_T9_mT8_P12ihipStream_tbDpT10_ENKUlT_T0_E_clISt17integral_constantIbLb1EES17_EEDaS12_S13_EUlS12_E_NS1_11comp_targetILNS1_3genE2ELNS1_11target_archE906ELNS1_3gpuE6ELNS1_3repE0EEENS1_30default_config_static_selectorELNS0_4arch9wavefront6targetE0EEEvT1_,@function
_ZN7rocprim17ROCPRIM_400000_NS6detail17trampoline_kernelINS0_14default_configENS1_25partition_config_selectorILNS1_17partition_subalgoE8EiNS0_10empty_typeEbEEZZNS1_14partition_implILS5_8ELb0ES3_jPKiPS6_PKS6_NS0_5tupleIJPiS6_EEENSE_IJSB_SB_EEENS0_18inequality_wrapperIN6hipcub16HIPCUB_304000_NS8EqualityEEEPlJS6_EEE10hipError_tPvRmT3_T4_T5_T6_T7_T9_mT8_P12ihipStream_tbDpT10_ENKUlT_T0_E_clISt17integral_constantIbLb1EES17_EEDaS12_S13_EUlS12_E_NS1_11comp_targetILNS1_3genE2ELNS1_11target_archE906ELNS1_3gpuE6ELNS1_3repE0EEENS1_30default_config_static_selectorELNS0_4arch9wavefront6targetE0EEEvT1_: ; @_ZN7rocprim17ROCPRIM_400000_NS6detail17trampoline_kernelINS0_14default_configENS1_25partition_config_selectorILNS1_17partition_subalgoE8EiNS0_10empty_typeEbEEZZNS1_14partition_implILS5_8ELb0ES3_jPKiPS6_PKS6_NS0_5tupleIJPiS6_EEENSE_IJSB_SB_EEENS0_18inequality_wrapperIN6hipcub16HIPCUB_304000_NS8EqualityEEEPlJS6_EEE10hipError_tPvRmT3_T4_T5_T6_T7_T9_mT8_P12ihipStream_tbDpT10_ENKUlT_T0_E_clISt17integral_constantIbLb1EES17_EEDaS12_S13_EUlS12_E_NS1_11comp_targetILNS1_3genE2ELNS1_11target_archE906ELNS1_3gpuE6ELNS1_3repE0EEENS1_30default_config_static_selectorELNS0_4arch9wavefront6targetE0EEEvT1_
; %bb.0:
	.section	.rodata,"a",@progbits
	.p2align	6, 0x0
	.amdhsa_kernel _ZN7rocprim17ROCPRIM_400000_NS6detail17trampoline_kernelINS0_14default_configENS1_25partition_config_selectorILNS1_17partition_subalgoE8EiNS0_10empty_typeEbEEZZNS1_14partition_implILS5_8ELb0ES3_jPKiPS6_PKS6_NS0_5tupleIJPiS6_EEENSE_IJSB_SB_EEENS0_18inequality_wrapperIN6hipcub16HIPCUB_304000_NS8EqualityEEEPlJS6_EEE10hipError_tPvRmT3_T4_T5_T6_T7_T9_mT8_P12ihipStream_tbDpT10_ENKUlT_T0_E_clISt17integral_constantIbLb1EES17_EEDaS12_S13_EUlS12_E_NS1_11comp_targetILNS1_3genE2ELNS1_11target_archE906ELNS1_3gpuE6ELNS1_3repE0EEENS1_30default_config_static_selectorELNS0_4arch9wavefront6targetE0EEEvT1_
		.amdhsa_group_segment_fixed_size 0
		.amdhsa_private_segment_fixed_size 0
		.amdhsa_kernarg_size 128
		.amdhsa_user_sgpr_count 6
		.amdhsa_user_sgpr_private_segment_buffer 1
		.amdhsa_user_sgpr_dispatch_ptr 0
		.amdhsa_user_sgpr_queue_ptr 0
		.amdhsa_user_sgpr_kernarg_segment_ptr 1
		.amdhsa_user_sgpr_dispatch_id 0
		.amdhsa_user_sgpr_flat_scratch_init 0
		.amdhsa_user_sgpr_private_segment_size 0
		.amdhsa_wavefront_size32 1
		.amdhsa_uses_dynamic_stack 0
		.amdhsa_system_sgpr_private_segment_wavefront_offset 0
		.amdhsa_system_sgpr_workgroup_id_x 1
		.amdhsa_system_sgpr_workgroup_id_y 0
		.amdhsa_system_sgpr_workgroup_id_z 0
		.amdhsa_system_sgpr_workgroup_info 0
		.amdhsa_system_vgpr_workitem_id 0
		.amdhsa_next_free_vgpr 1
		.amdhsa_next_free_sgpr 1
		.amdhsa_reserve_vcc 0
		.amdhsa_reserve_flat_scratch 0
		.amdhsa_float_round_mode_32 0
		.amdhsa_float_round_mode_16_64 0
		.amdhsa_float_denorm_mode_32 3
		.amdhsa_float_denorm_mode_16_64 3
		.amdhsa_dx10_clamp 1
		.amdhsa_ieee_mode 1
		.amdhsa_fp16_overflow 0
		.amdhsa_workgroup_processor_mode 1
		.amdhsa_memory_ordered 1
		.amdhsa_forward_progress 1
		.amdhsa_shared_vgpr_count 0
		.amdhsa_exception_fp_ieee_invalid_op 0
		.amdhsa_exception_fp_denorm_src 0
		.amdhsa_exception_fp_ieee_div_zero 0
		.amdhsa_exception_fp_ieee_overflow 0
		.amdhsa_exception_fp_ieee_underflow 0
		.amdhsa_exception_fp_ieee_inexact 0
		.amdhsa_exception_int_div_zero 0
	.end_amdhsa_kernel
	.section	.text._ZN7rocprim17ROCPRIM_400000_NS6detail17trampoline_kernelINS0_14default_configENS1_25partition_config_selectorILNS1_17partition_subalgoE8EiNS0_10empty_typeEbEEZZNS1_14partition_implILS5_8ELb0ES3_jPKiPS6_PKS6_NS0_5tupleIJPiS6_EEENSE_IJSB_SB_EEENS0_18inequality_wrapperIN6hipcub16HIPCUB_304000_NS8EqualityEEEPlJS6_EEE10hipError_tPvRmT3_T4_T5_T6_T7_T9_mT8_P12ihipStream_tbDpT10_ENKUlT_T0_E_clISt17integral_constantIbLb1EES17_EEDaS12_S13_EUlS12_E_NS1_11comp_targetILNS1_3genE2ELNS1_11target_archE906ELNS1_3gpuE6ELNS1_3repE0EEENS1_30default_config_static_selectorELNS0_4arch9wavefront6targetE0EEEvT1_,"axG",@progbits,_ZN7rocprim17ROCPRIM_400000_NS6detail17trampoline_kernelINS0_14default_configENS1_25partition_config_selectorILNS1_17partition_subalgoE8EiNS0_10empty_typeEbEEZZNS1_14partition_implILS5_8ELb0ES3_jPKiPS6_PKS6_NS0_5tupleIJPiS6_EEENSE_IJSB_SB_EEENS0_18inequality_wrapperIN6hipcub16HIPCUB_304000_NS8EqualityEEEPlJS6_EEE10hipError_tPvRmT3_T4_T5_T6_T7_T9_mT8_P12ihipStream_tbDpT10_ENKUlT_T0_E_clISt17integral_constantIbLb1EES17_EEDaS12_S13_EUlS12_E_NS1_11comp_targetILNS1_3genE2ELNS1_11target_archE906ELNS1_3gpuE6ELNS1_3repE0EEENS1_30default_config_static_selectorELNS0_4arch9wavefront6targetE0EEEvT1_,comdat
.Lfunc_end199:
	.size	_ZN7rocprim17ROCPRIM_400000_NS6detail17trampoline_kernelINS0_14default_configENS1_25partition_config_selectorILNS1_17partition_subalgoE8EiNS0_10empty_typeEbEEZZNS1_14partition_implILS5_8ELb0ES3_jPKiPS6_PKS6_NS0_5tupleIJPiS6_EEENSE_IJSB_SB_EEENS0_18inequality_wrapperIN6hipcub16HIPCUB_304000_NS8EqualityEEEPlJS6_EEE10hipError_tPvRmT3_T4_T5_T6_T7_T9_mT8_P12ihipStream_tbDpT10_ENKUlT_T0_E_clISt17integral_constantIbLb1EES17_EEDaS12_S13_EUlS12_E_NS1_11comp_targetILNS1_3genE2ELNS1_11target_archE906ELNS1_3gpuE6ELNS1_3repE0EEENS1_30default_config_static_selectorELNS0_4arch9wavefront6targetE0EEEvT1_, .Lfunc_end199-_ZN7rocprim17ROCPRIM_400000_NS6detail17trampoline_kernelINS0_14default_configENS1_25partition_config_selectorILNS1_17partition_subalgoE8EiNS0_10empty_typeEbEEZZNS1_14partition_implILS5_8ELb0ES3_jPKiPS6_PKS6_NS0_5tupleIJPiS6_EEENSE_IJSB_SB_EEENS0_18inequality_wrapperIN6hipcub16HIPCUB_304000_NS8EqualityEEEPlJS6_EEE10hipError_tPvRmT3_T4_T5_T6_T7_T9_mT8_P12ihipStream_tbDpT10_ENKUlT_T0_E_clISt17integral_constantIbLb1EES17_EEDaS12_S13_EUlS12_E_NS1_11comp_targetILNS1_3genE2ELNS1_11target_archE906ELNS1_3gpuE6ELNS1_3repE0EEENS1_30default_config_static_selectorELNS0_4arch9wavefront6targetE0EEEvT1_
                                        ; -- End function
	.set _ZN7rocprim17ROCPRIM_400000_NS6detail17trampoline_kernelINS0_14default_configENS1_25partition_config_selectorILNS1_17partition_subalgoE8EiNS0_10empty_typeEbEEZZNS1_14partition_implILS5_8ELb0ES3_jPKiPS6_PKS6_NS0_5tupleIJPiS6_EEENSE_IJSB_SB_EEENS0_18inequality_wrapperIN6hipcub16HIPCUB_304000_NS8EqualityEEEPlJS6_EEE10hipError_tPvRmT3_T4_T5_T6_T7_T9_mT8_P12ihipStream_tbDpT10_ENKUlT_T0_E_clISt17integral_constantIbLb1EES17_EEDaS12_S13_EUlS12_E_NS1_11comp_targetILNS1_3genE2ELNS1_11target_archE906ELNS1_3gpuE6ELNS1_3repE0EEENS1_30default_config_static_selectorELNS0_4arch9wavefront6targetE0EEEvT1_.num_vgpr, 0
	.set _ZN7rocprim17ROCPRIM_400000_NS6detail17trampoline_kernelINS0_14default_configENS1_25partition_config_selectorILNS1_17partition_subalgoE8EiNS0_10empty_typeEbEEZZNS1_14partition_implILS5_8ELb0ES3_jPKiPS6_PKS6_NS0_5tupleIJPiS6_EEENSE_IJSB_SB_EEENS0_18inequality_wrapperIN6hipcub16HIPCUB_304000_NS8EqualityEEEPlJS6_EEE10hipError_tPvRmT3_T4_T5_T6_T7_T9_mT8_P12ihipStream_tbDpT10_ENKUlT_T0_E_clISt17integral_constantIbLb1EES17_EEDaS12_S13_EUlS12_E_NS1_11comp_targetILNS1_3genE2ELNS1_11target_archE906ELNS1_3gpuE6ELNS1_3repE0EEENS1_30default_config_static_selectorELNS0_4arch9wavefront6targetE0EEEvT1_.num_agpr, 0
	.set _ZN7rocprim17ROCPRIM_400000_NS6detail17trampoline_kernelINS0_14default_configENS1_25partition_config_selectorILNS1_17partition_subalgoE8EiNS0_10empty_typeEbEEZZNS1_14partition_implILS5_8ELb0ES3_jPKiPS6_PKS6_NS0_5tupleIJPiS6_EEENSE_IJSB_SB_EEENS0_18inequality_wrapperIN6hipcub16HIPCUB_304000_NS8EqualityEEEPlJS6_EEE10hipError_tPvRmT3_T4_T5_T6_T7_T9_mT8_P12ihipStream_tbDpT10_ENKUlT_T0_E_clISt17integral_constantIbLb1EES17_EEDaS12_S13_EUlS12_E_NS1_11comp_targetILNS1_3genE2ELNS1_11target_archE906ELNS1_3gpuE6ELNS1_3repE0EEENS1_30default_config_static_selectorELNS0_4arch9wavefront6targetE0EEEvT1_.numbered_sgpr, 0
	.set _ZN7rocprim17ROCPRIM_400000_NS6detail17trampoline_kernelINS0_14default_configENS1_25partition_config_selectorILNS1_17partition_subalgoE8EiNS0_10empty_typeEbEEZZNS1_14partition_implILS5_8ELb0ES3_jPKiPS6_PKS6_NS0_5tupleIJPiS6_EEENSE_IJSB_SB_EEENS0_18inequality_wrapperIN6hipcub16HIPCUB_304000_NS8EqualityEEEPlJS6_EEE10hipError_tPvRmT3_T4_T5_T6_T7_T9_mT8_P12ihipStream_tbDpT10_ENKUlT_T0_E_clISt17integral_constantIbLb1EES17_EEDaS12_S13_EUlS12_E_NS1_11comp_targetILNS1_3genE2ELNS1_11target_archE906ELNS1_3gpuE6ELNS1_3repE0EEENS1_30default_config_static_selectorELNS0_4arch9wavefront6targetE0EEEvT1_.num_named_barrier, 0
	.set _ZN7rocprim17ROCPRIM_400000_NS6detail17trampoline_kernelINS0_14default_configENS1_25partition_config_selectorILNS1_17partition_subalgoE8EiNS0_10empty_typeEbEEZZNS1_14partition_implILS5_8ELb0ES3_jPKiPS6_PKS6_NS0_5tupleIJPiS6_EEENSE_IJSB_SB_EEENS0_18inequality_wrapperIN6hipcub16HIPCUB_304000_NS8EqualityEEEPlJS6_EEE10hipError_tPvRmT3_T4_T5_T6_T7_T9_mT8_P12ihipStream_tbDpT10_ENKUlT_T0_E_clISt17integral_constantIbLb1EES17_EEDaS12_S13_EUlS12_E_NS1_11comp_targetILNS1_3genE2ELNS1_11target_archE906ELNS1_3gpuE6ELNS1_3repE0EEENS1_30default_config_static_selectorELNS0_4arch9wavefront6targetE0EEEvT1_.private_seg_size, 0
	.set _ZN7rocprim17ROCPRIM_400000_NS6detail17trampoline_kernelINS0_14default_configENS1_25partition_config_selectorILNS1_17partition_subalgoE8EiNS0_10empty_typeEbEEZZNS1_14partition_implILS5_8ELb0ES3_jPKiPS6_PKS6_NS0_5tupleIJPiS6_EEENSE_IJSB_SB_EEENS0_18inequality_wrapperIN6hipcub16HIPCUB_304000_NS8EqualityEEEPlJS6_EEE10hipError_tPvRmT3_T4_T5_T6_T7_T9_mT8_P12ihipStream_tbDpT10_ENKUlT_T0_E_clISt17integral_constantIbLb1EES17_EEDaS12_S13_EUlS12_E_NS1_11comp_targetILNS1_3genE2ELNS1_11target_archE906ELNS1_3gpuE6ELNS1_3repE0EEENS1_30default_config_static_selectorELNS0_4arch9wavefront6targetE0EEEvT1_.uses_vcc, 0
	.set _ZN7rocprim17ROCPRIM_400000_NS6detail17trampoline_kernelINS0_14default_configENS1_25partition_config_selectorILNS1_17partition_subalgoE8EiNS0_10empty_typeEbEEZZNS1_14partition_implILS5_8ELb0ES3_jPKiPS6_PKS6_NS0_5tupleIJPiS6_EEENSE_IJSB_SB_EEENS0_18inequality_wrapperIN6hipcub16HIPCUB_304000_NS8EqualityEEEPlJS6_EEE10hipError_tPvRmT3_T4_T5_T6_T7_T9_mT8_P12ihipStream_tbDpT10_ENKUlT_T0_E_clISt17integral_constantIbLb1EES17_EEDaS12_S13_EUlS12_E_NS1_11comp_targetILNS1_3genE2ELNS1_11target_archE906ELNS1_3gpuE6ELNS1_3repE0EEENS1_30default_config_static_selectorELNS0_4arch9wavefront6targetE0EEEvT1_.uses_flat_scratch, 0
	.set _ZN7rocprim17ROCPRIM_400000_NS6detail17trampoline_kernelINS0_14default_configENS1_25partition_config_selectorILNS1_17partition_subalgoE8EiNS0_10empty_typeEbEEZZNS1_14partition_implILS5_8ELb0ES3_jPKiPS6_PKS6_NS0_5tupleIJPiS6_EEENSE_IJSB_SB_EEENS0_18inequality_wrapperIN6hipcub16HIPCUB_304000_NS8EqualityEEEPlJS6_EEE10hipError_tPvRmT3_T4_T5_T6_T7_T9_mT8_P12ihipStream_tbDpT10_ENKUlT_T0_E_clISt17integral_constantIbLb1EES17_EEDaS12_S13_EUlS12_E_NS1_11comp_targetILNS1_3genE2ELNS1_11target_archE906ELNS1_3gpuE6ELNS1_3repE0EEENS1_30default_config_static_selectorELNS0_4arch9wavefront6targetE0EEEvT1_.has_dyn_sized_stack, 0
	.set _ZN7rocprim17ROCPRIM_400000_NS6detail17trampoline_kernelINS0_14default_configENS1_25partition_config_selectorILNS1_17partition_subalgoE8EiNS0_10empty_typeEbEEZZNS1_14partition_implILS5_8ELb0ES3_jPKiPS6_PKS6_NS0_5tupleIJPiS6_EEENSE_IJSB_SB_EEENS0_18inequality_wrapperIN6hipcub16HIPCUB_304000_NS8EqualityEEEPlJS6_EEE10hipError_tPvRmT3_T4_T5_T6_T7_T9_mT8_P12ihipStream_tbDpT10_ENKUlT_T0_E_clISt17integral_constantIbLb1EES17_EEDaS12_S13_EUlS12_E_NS1_11comp_targetILNS1_3genE2ELNS1_11target_archE906ELNS1_3gpuE6ELNS1_3repE0EEENS1_30default_config_static_selectorELNS0_4arch9wavefront6targetE0EEEvT1_.has_recursion, 0
	.set _ZN7rocprim17ROCPRIM_400000_NS6detail17trampoline_kernelINS0_14default_configENS1_25partition_config_selectorILNS1_17partition_subalgoE8EiNS0_10empty_typeEbEEZZNS1_14partition_implILS5_8ELb0ES3_jPKiPS6_PKS6_NS0_5tupleIJPiS6_EEENSE_IJSB_SB_EEENS0_18inequality_wrapperIN6hipcub16HIPCUB_304000_NS8EqualityEEEPlJS6_EEE10hipError_tPvRmT3_T4_T5_T6_T7_T9_mT8_P12ihipStream_tbDpT10_ENKUlT_T0_E_clISt17integral_constantIbLb1EES17_EEDaS12_S13_EUlS12_E_NS1_11comp_targetILNS1_3genE2ELNS1_11target_archE906ELNS1_3gpuE6ELNS1_3repE0EEENS1_30default_config_static_selectorELNS0_4arch9wavefront6targetE0EEEvT1_.has_indirect_call, 0
	.section	.AMDGPU.csdata,"",@progbits
; Kernel info:
; codeLenInByte = 0
; TotalNumSgprs: 0
; NumVgprs: 0
; ScratchSize: 0
; MemoryBound: 0
; FloatMode: 240
; IeeeMode: 1
; LDSByteSize: 0 bytes/workgroup (compile time only)
; SGPRBlocks: 0
; VGPRBlocks: 0
; NumSGPRsForWavesPerEU: 1
; NumVGPRsForWavesPerEU: 1
; Occupancy: 16
; WaveLimiterHint : 0
; COMPUTE_PGM_RSRC2:SCRATCH_EN: 0
; COMPUTE_PGM_RSRC2:USER_SGPR: 6
; COMPUTE_PGM_RSRC2:TRAP_HANDLER: 0
; COMPUTE_PGM_RSRC2:TGID_X_EN: 1
; COMPUTE_PGM_RSRC2:TGID_Y_EN: 0
; COMPUTE_PGM_RSRC2:TGID_Z_EN: 0
; COMPUTE_PGM_RSRC2:TIDIG_COMP_CNT: 0
	.section	.text._ZN7rocprim17ROCPRIM_400000_NS6detail17trampoline_kernelINS0_14default_configENS1_25partition_config_selectorILNS1_17partition_subalgoE8EiNS0_10empty_typeEbEEZZNS1_14partition_implILS5_8ELb0ES3_jPKiPS6_PKS6_NS0_5tupleIJPiS6_EEENSE_IJSB_SB_EEENS0_18inequality_wrapperIN6hipcub16HIPCUB_304000_NS8EqualityEEEPlJS6_EEE10hipError_tPvRmT3_T4_T5_T6_T7_T9_mT8_P12ihipStream_tbDpT10_ENKUlT_T0_E_clISt17integral_constantIbLb1EES17_EEDaS12_S13_EUlS12_E_NS1_11comp_targetILNS1_3genE10ELNS1_11target_archE1200ELNS1_3gpuE4ELNS1_3repE0EEENS1_30default_config_static_selectorELNS0_4arch9wavefront6targetE0EEEvT1_,"axG",@progbits,_ZN7rocprim17ROCPRIM_400000_NS6detail17trampoline_kernelINS0_14default_configENS1_25partition_config_selectorILNS1_17partition_subalgoE8EiNS0_10empty_typeEbEEZZNS1_14partition_implILS5_8ELb0ES3_jPKiPS6_PKS6_NS0_5tupleIJPiS6_EEENSE_IJSB_SB_EEENS0_18inequality_wrapperIN6hipcub16HIPCUB_304000_NS8EqualityEEEPlJS6_EEE10hipError_tPvRmT3_T4_T5_T6_T7_T9_mT8_P12ihipStream_tbDpT10_ENKUlT_T0_E_clISt17integral_constantIbLb1EES17_EEDaS12_S13_EUlS12_E_NS1_11comp_targetILNS1_3genE10ELNS1_11target_archE1200ELNS1_3gpuE4ELNS1_3repE0EEENS1_30default_config_static_selectorELNS0_4arch9wavefront6targetE0EEEvT1_,comdat
	.protected	_ZN7rocprim17ROCPRIM_400000_NS6detail17trampoline_kernelINS0_14default_configENS1_25partition_config_selectorILNS1_17partition_subalgoE8EiNS0_10empty_typeEbEEZZNS1_14partition_implILS5_8ELb0ES3_jPKiPS6_PKS6_NS0_5tupleIJPiS6_EEENSE_IJSB_SB_EEENS0_18inequality_wrapperIN6hipcub16HIPCUB_304000_NS8EqualityEEEPlJS6_EEE10hipError_tPvRmT3_T4_T5_T6_T7_T9_mT8_P12ihipStream_tbDpT10_ENKUlT_T0_E_clISt17integral_constantIbLb1EES17_EEDaS12_S13_EUlS12_E_NS1_11comp_targetILNS1_3genE10ELNS1_11target_archE1200ELNS1_3gpuE4ELNS1_3repE0EEENS1_30default_config_static_selectorELNS0_4arch9wavefront6targetE0EEEvT1_ ; -- Begin function _ZN7rocprim17ROCPRIM_400000_NS6detail17trampoline_kernelINS0_14default_configENS1_25partition_config_selectorILNS1_17partition_subalgoE8EiNS0_10empty_typeEbEEZZNS1_14partition_implILS5_8ELb0ES3_jPKiPS6_PKS6_NS0_5tupleIJPiS6_EEENSE_IJSB_SB_EEENS0_18inequality_wrapperIN6hipcub16HIPCUB_304000_NS8EqualityEEEPlJS6_EEE10hipError_tPvRmT3_T4_T5_T6_T7_T9_mT8_P12ihipStream_tbDpT10_ENKUlT_T0_E_clISt17integral_constantIbLb1EES17_EEDaS12_S13_EUlS12_E_NS1_11comp_targetILNS1_3genE10ELNS1_11target_archE1200ELNS1_3gpuE4ELNS1_3repE0EEENS1_30default_config_static_selectorELNS0_4arch9wavefront6targetE0EEEvT1_
	.globl	_ZN7rocprim17ROCPRIM_400000_NS6detail17trampoline_kernelINS0_14default_configENS1_25partition_config_selectorILNS1_17partition_subalgoE8EiNS0_10empty_typeEbEEZZNS1_14partition_implILS5_8ELb0ES3_jPKiPS6_PKS6_NS0_5tupleIJPiS6_EEENSE_IJSB_SB_EEENS0_18inequality_wrapperIN6hipcub16HIPCUB_304000_NS8EqualityEEEPlJS6_EEE10hipError_tPvRmT3_T4_T5_T6_T7_T9_mT8_P12ihipStream_tbDpT10_ENKUlT_T0_E_clISt17integral_constantIbLb1EES17_EEDaS12_S13_EUlS12_E_NS1_11comp_targetILNS1_3genE10ELNS1_11target_archE1200ELNS1_3gpuE4ELNS1_3repE0EEENS1_30default_config_static_selectorELNS0_4arch9wavefront6targetE0EEEvT1_
	.p2align	8
	.type	_ZN7rocprim17ROCPRIM_400000_NS6detail17trampoline_kernelINS0_14default_configENS1_25partition_config_selectorILNS1_17partition_subalgoE8EiNS0_10empty_typeEbEEZZNS1_14partition_implILS5_8ELb0ES3_jPKiPS6_PKS6_NS0_5tupleIJPiS6_EEENSE_IJSB_SB_EEENS0_18inequality_wrapperIN6hipcub16HIPCUB_304000_NS8EqualityEEEPlJS6_EEE10hipError_tPvRmT3_T4_T5_T6_T7_T9_mT8_P12ihipStream_tbDpT10_ENKUlT_T0_E_clISt17integral_constantIbLb1EES17_EEDaS12_S13_EUlS12_E_NS1_11comp_targetILNS1_3genE10ELNS1_11target_archE1200ELNS1_3gpuE4ELNS1_3repE0EEENS1_30default_config_static_selectorELNS0_4arch9wavefront6targetE0EEEvT1_,@function
_ZN7rocprim17ROCPRIM_400000_NS6detail17trampoline_kernelINS0_14default_configENS1_25partition_config_selectorILNS1_17partition_subalgoE8EiNS0_10empty_typeEbEEZZNS1_14partition_implILS5_8ELb0ES3_jPKiPS6_PKS6_NS0_5tupleIJPiS6_EEENSE_IJSB_SB_EEENS0_18inequality_wrapperIN6hipcub16HIPCUB_304000_NS8EqualityEEEPlJS6_EEE10hipError_tPvRmT3_T4_T5_T6_T7_T9_mT8_P12ihipStream_tbDpT10_ENKUlT_T0_E_clISt17integral_constantIbLb1EES17_EEDaS12_S13_EUlS12_E_NS1_11comp_targetILNS1_3genE10ELNS1_11target_archE1200ELNS1_3gpuE4ELNS1_3repE0EEENS1_30default_config_static_selectorELNS0_4arch9wavefront6targetE0EEEvT1_: ; @_ZN7rocprim17ROCPRIM_400000_NS6detail17trampoline_kernelINS0_14default_configENS1_25partition_config_selectorILNS1_17partition_subalgoE8EiNS0_10empty_typeEbEEZZNS1_14partition_implILS5_8ELb0ES3_jPKiPS6_PKS6_NS0_5tupleIJPiS6_EEENSE_IJSB_SB_EEENS0_18inequality_wrapperIN6hipcub16HIPCUB_304000_NS8EqualityEEEPlJS6_EEE10hipError_tPvRmT3_T4_T5_T6_T7_T9_mT8_P12ihipStream_tbDpT10_ENKUlT_T0_E_clISt17integral_constantIbLb1EES17_EEDaS12_S13_EUlS12_E_NS1_11comp_targetILNS1_3genE10ELNS1_11target_archE1200ELNS1_3gpuE4ELNS1_3repE0EEENS1_30default_config_static_selectorELNS0_4arch9wavefront6targetE0EEEvT1_
; %bb.0:
	.section	.rodata,"a",@progbits
	.p2align	6, 0x0
	.amdhsa_kernel _ZN7rocprim17ROCPRIM_400000_NS6detail17trampoline_kernelINS0_14default_configENS1_25partition_config_selectorILNS1_17partition_subalgoE8EiNS0_10empty_typeEbEEZZNS1_14partition_implILS5_8ELb0ES3_jPKiPS6_PKS6_NS0_5tupleIJPiS6_EEENSE_IJSB_SB_EEENS0_18inequality_wrapperIN6hipcub16HIPCUB_304000_NS8EqualityEEEPlJS6_EEE10hipError_tPvRmT3_T4_T5_T6_T7_T9_mT8_P12ihipStream_tbDpT10_ENKUlT_T0_E_clISt17integral_constantIbLb1EES17_EEDaS12_S13_EUlS12_E_NS1_11comp_targetILNS1_3genE10ELNS1_11target_archE1200ELNS1_3gpuE4ELNS1_3repE0EEENS1_30default_config_static_selectorELNS0_4arch9wavefront6targetE0EEEvT1_
		.amdhsa_group_segment_fixed_size 0
		.amdhsa_private_segment_fixed_size 0
		.amdhsa_kernarg_size 128
		.amdhsa_user_sgpr_count 6
		.amdhsa_user_sgpr_private_segment_buffer 1
		.amdhsa_user_sgpr_dispatch_ptr 0
		.amdhsa_user_sgpr_queue_ptr 0
		.amdhsa_user_sgpr_kernarg_segment_ptr 1
		.amdhsa_user_sgpr_dispatch_id 0
		.amdhsa_user_sgpr_flat_scratch_init 0
		.amdhsa_user_sgpr_private_segment_size 0
		.amdhsa_wavefront_size32 1
		.amdhsa_uses_dynamic_stack 0
		.amdhsa_system_sgpr_private_segment_wavefront_offset 0
		.amdhsa_system_sgpr_workgroup_id_x 1
		.amdhsa_system_sgpr_workgroup_id_y 0
		.amdhsa_system_sgpr_workgroup_id_z 0
		.amdhsa_system_sgpr_workgroup_info 0
		.amdhsa_system_vgpr_workitem_id 0
		.amdhsa_next_free_vgpr 1
		.amdhsa_next_free_sgpr 1
		.amdhsa_reserve_vcc 0
		.amdhsa_reserve_flat_scratch 0
		.amdhsa_float_round_mode_32 0
		.amdhsa_float_round_mode_16_64 0
		.amdhsa_float_denorm_mode_32 3
		.amdhsa_float_denorm_mode_16_64 3
		.amdhsa_dx10_clamp 1
		.amdhsa_ieee_mode 1
		.amdhsa_fp16_overflow 0
		.amdhsa_workgroup_processor_mode 1
		.amdhsa_memory_ordered 1
		.amdhsa_forward_progress 1
		.amdhsa_shared_vgpr_count 0
		.amdhsa_exception_fp_ieee_invalid_op 0
		.amdhsa_exception_fp_denorm_src 0
		.amdhsa_exception_fp_ieee_div_zero 0
		.amdhsa_exception_fp_ieee_overflow 0
		.amdhsa_exception_fp_ieee_underflow 0
		.amdhsa_exception_fp_ieee_inexact 0
		.amdhsa_exception_int_div_zero 0
	.end_amdhsa_kernel
	.section	.text._ZN7rocprim17ROCPRIM_400000_NS6detail17trampoline_kernelINS0_14default_configENS1_25partition_config_selectorILNS1_17partition_subalgoE8EiNS0_10empty_typeEbEEZZNS1_14partition_implILS5_8ELb0ES3_jPKiPS6_PKS6_NS0_5tupleIJPiS6_EEENSE_IJSB_SB_EEENS0_18inequality_wrapperIN6hipcub16HIPCUB_304000_NS8EqualityEEEPlJS6_EEE10hipError_tPvRmT3_T4_T5_T6_T7_T9_mT8_P12ihipStream_tbDpT10_ENKUlT_T0_E_clISt17integral_constantIbLb1EES17_EEDaS12_S13_EUlS12_E_NS1_11comp_targetILNS1_3genE10ELNS1_11target_archE1200ELNS1_3gpuE4ELNS1_3repE0EEENS1_30default_config_static_selectorELNS0_4arch9wavefront6targetE0EEEvT1_,"axG",@progbits,_ZN7rocprim17ROCPRIM_400000_NS6detail17trampoline_kernelINS0_14default_configENS1_25partition_config_selectorILNS1_17partition_subalgoE8EiNS0_10empty_typeEbEEZZNS1_14partition_implILS5_8ELb0ES3_jPKiPS6_PKS6_NS0_5tupleIJPiS6_EEENSE_IJSB_SB_EEENS0_18inequality_wrapperIN6hipcub16HIPCUB_304000_NS8EqualityEEEPlJS6_EEE10hipError_tPvRmT3_T4_T5_T6_T7_T9_mT8_P12ihipStream_tbDpT10_ENKUlT_T0_E_clISt17integral_constantIbLb1EES17_EEDaS12_S13_EUlS12_E_NS1_11comp_targetILNS1_3genE10ELNS1_11target_archE1200ELNS1_3gpuE4ELNS1_3repE0EEENS1_30default_config_static_selectorELNS0_4arch9wavefront6targetE0EEEvT1_,comdat
.Lfunc_end200:
	.size	_ZN7rocprim17ROCPRIM_400000_NS6detail17trampoline_kernelINS0_14default_configENS1_25partition_config_selectorILNS1_17partition_subalgoE8EiNS0_10empty_typeEbEEZZNS1_14partition_implILS5_8ELb0ES3_jPKiPS6_PKS6_NS0_5tupleIJPiS6_EEENSE_IJSB_SB_EEENS0_18inequality_wrapperIN6hipcub16HIPCUB_304000_NS8EqualityEEEPlJS6_EEE10hipError_tPvRmT3_T4_T5_T6_T7_T9_mT8_P12ihipStream_tbDpT10_ENKUlT_T0_E_clISt17integral_constantIbLb1EES17_EEDaS12_S13_EUlS12_E_NS1_11comp_targetILNS1_3genE10ELNS1_11target_archE1200ELNS1_3gpuE4ELNS1_3repE0EEENS1_30default_config_static_selectorELNS0_4arch9wavefront6targetE0EEEvT1_, .Lfunc_end200-_ZN7rocprim17ROCPRIM_400000_NS6detail17trampoline_kernelINS0_14default_configENS1_25partition_config_selectorILNS1_17partition_subalgoE8EiNS0_10empty_typeEbEEZZNS1_14partition_implILS5_8ELb0ES3_jPKiPS6_PKS6_NS0_5tupleIJPiS6_EEENSE_IJSB_SB_EEENS0_18inequality_wrapperIN6hipcub16HIPCUB_304000_NS8EqualityEEEPlJS6_EEE10hipError_tPvRmT3_T4_T5_T6_T7_T9_mT8_P12ihipStream_tbDpT10_ENKUlT_T0_E_clISt17integral_constantIbLb1EES17_EEDaS12_S13_EUlS12_E_NS1_11comp_targetILNS1_3genE10ELNS1_11target_archE1200ELNS1_3gpuE4ELNS1_3repE0EEENS1_30default_config_static_selectorELNS0_4arch9wavefront6targetE0EEEvT1_
                                        ; -- End function
	.set _ZN7rocprim17ROCPRIM_400000_NS6detail17trampoline_kernelINS0_14default_configENS1_25partition_config_selectorILNS1_17partition_subalgoE8EiNS0_10empty_typeEbEEZZNS1_14partition_implILS5_8ELb0ES3_jPKiPS6_PKS6_NS0_5tupleIJPiS6_EEENSE_IJSB_SB_EEENS0_18inequality_wrapperIN6hipcub16HIPCUB_304000_NS8EqualityEEEPlJS6_EEE10hipError_tPvRmT3_T4_T5_T6_T7_T9_mT8_P12ihipStream_tbDpT10_ENKUlT_T0_E_clISt17integral_constantIbLb1EES17_EEDaS12_S13_EUlS12_E_NS1_11comp_targetILNS1_3genE10ELNS1_11target_archE1200ELNS1_3gpuE4ELNS1_3repE0EEENS1_30default_config_static_selectorELNS0_4arch9wavefront6targetE0EEEvT1_.num_vgpr, 0
	.set _ZN7rocprim17ROCPRIM_400000_NS6detail17trampoline_kernelINS0_14default_configENS1_25partition_config_selectorILNS1_17partition_subalgoE8EiNS0_10empty_typeEbEEZZNS1_14partition_implILS5_8ELb0ES3_jPKiPS6_PKS6_NS0_5tupleIJPiS6_EEENSE_IJSB_SB_EEENS0_18inequality_wrapperIN6hipcub16HIPCUB_304000_NS8EqualityEEEPlJS6_EEE10hipError_tPvRmT3_T4_T5_T6_T7_T9_mT8_P12ihipStream_tbDpT10_ENKUlT_T0_E_clISt17integral_constantIbLb1EES17_EEDaS12_S13_EUlS12_E_NS1_11comp_targetILNS1_3genE10ELNS1_11target_archE1200ELNS1_3gpuE4ELNS1_3repE0EEENS1_30default_config_static_selectorELNS0_4arch9wavefront6targetE0EEEvT1_.num_agpr, 0
	.set _ZN7rocprim17ROCPRIM_400000_NS6detail17trampoline_kernelINS0_14default_configENS1_25partition_config_selectorILNS1_17partition_subalgoE8EiNS0_10empty_typeEbEEZZNS1_14partition_implILS5_8ELb0ES3_jPKiPS6_PKS6_NS0_5tupleIJPiS6_EEENSE_IJSB_SB_EEENS0_18inequality_wrapperIN6hipcub16HIPCUB_304000_NS8EqualityEEEPlJS6_EEE10hipError_tPvRmT3_T4_T5_T6_T7_T9_mT8_P12ihipStream_tbDpT10_ENKUlT_T0_E_clISt17integral_constantIbLb1EES17_EEDaS12_S13_EUlS12_E_NS1_11comp_targetILNS1_3genE10ELNS1_11target_archE1200ELNS1_3gpuE4ELNS1_3repE0EEENS1_30default_config_static_selectorELNS0_4arch9wavefront6targetE0EEEvT1_.numbered_sgpr, 0
	.set _ZN7rocprim17ROCPRIM_400000_NS6detail17trampoline_kernelINS0_14default_configENS1_25partition_config_selectorILNS1_17partition_subalgoE8EiNS0_10empty_typeEbEEZZNS1_14partition_implILS5_8ELb0ES3_jPKiPS6_PKS6_NS0_5tupleIJPiS6_EEENSE_IJSB_SB_EEENS0_18inequality_wrapperIN6hipcub16HIPCUB_304000_NS8EqualityEEEPlJS6_EEE10hipError_tPvRmT3_T4_T5_T6_T7_T9_mT8_P12ihipStream_tbDpT10_ENKUlT_T0_E_clISt17integral_constantIbLb1EES17_EEDaS12_S13_EUlS12_E_NS1_11comp_targetILNS1_3genE10ELNS1_11target_archE1200ELNS1_3gpuE4ELNS1_3repE0EEENS1_30default_config_static_selectorELNS0_4arch9wavefront6targetE0EEEvT1_.num_named_barrier, 0
	.set _ZN7rocprim17ROCPRIM_400000_NS6detail17trampoline_kernelINS0_14default_configENS1_25partition_config_selectorILNS1_17partition_subalgoE8EiNS0_10empty_typeEbEEZZNS1_14partition_implILS5_8ELb0ES3_jPKiPS6_PKS6_NS0_5tupleIJPiS6_EEENSE_IJSB_SB_EEENS0_18inequality_wrapperIN6hipcub16HIPCUB_304000_NS8EqualityEEEPlJS6_EEE10hipError_tPvRmT3_T4_T5_T6_T7_T9_mT8_P12ihipStream_tbDpT10_ENKUlT_T0_E_clISt17integral_constantIbLb1EES17_EEDaS12_S13_EUlS12_E_NS1_11comp_targetILNS1_3genE10ELNS1_11target_archE1200ELNS1_3gpuE4ELNS1_3repE0EEENS1_30default_config_static_selectorELNS0_4arch9wavefront6targetE0EEEvT1_.private_seg_size, 0
	.set _ZN7rocprim17ROCPRIM_400000_NS6detail17trampoline_kernelINS0_14default_configENS1_25partition_config_selectorILNS1_17partition_subalgoE8EiNS0_10empty_typeEbEEZZNS1_14partition_implILS5_8ELb0ES3_jPKiPS6_PKS6_NS0_5tupleIJPiS6_EEENSE_IJSB_SB_EEENS0_18inequality_wrapperIN6hipcub16HIPCUB_304000_NS8EqualityEEEPlJS6_EEE10hipError_tPvRmT3_T4_T5_T6_T7_T9_mT8_P12ihipStream_tbDpT10_ENKUlT_T0_E_clISt17integral_constantIbLb1EES17_EEDaS12_S13_EUlS12_E_NS1_11comp_targetILNS1_3genE10ELNS1_11target_archE1200ELNS1_3gpuE4ELNS1_3repE0EEENS1_30default_config_static_selectorELNS0_4arch9wavefront6targetE0EEEvT1_.uses_vcc, 0
	.set _ZN7rocprim17ROCPRIM_400000_NS6detail17trampoline_kernelINS0_14default_configENS1_25partition_config_selectorILNS1_17partition_subalgoE8EiNS0_10empty_typeEbEEZZNS1_14partition_implILS5_8ELb0ES3_jPKiPS6_PKS6_NS0_5tupleIJPiS6_EEENSE_IJSB_SB_EEENS0_18inequality_wrapperIN6hipcub16HIPCUB_304000_NS8EqualityEEEPlJS6_EEE10hipError_tPvRmT3_T4_T5_T6_T7_T9_mT8_P12ihipStream_tbDpT10_ENKUlT_T0_E_clISt17integral_constantIbLb1EES17_EEDaS12_S13_EUlS12_E_NS1_11comp_targetILNS1_3genE10ELNS1_11target_archE1200ELNS1_3gpuE4ELNS1_3repE0EEENS1_30default_config_static_selectorELNS0_4arch9wavefront6targetE0EEEvT1_.uses_flat_scratch, 0
	.set _ZN7rocprim17ROCPRIM_400000_NS6detail17trampoline_kernelINS0_14default_configENS1_25partition_config_selectorILNS1_17partition_subalgoE8EiNS0_10empty_typeEbEEZZNS1_14partition_implILS5_8ELb0ES3_jPKiPS6_PKS6_NS0_5tupleIJPiS6_EEENSE_IJSB_SB_EEENS0_18inequality_wrapperIN6hipcub16HIPCUB_304000_NS8EqualityEEEPlJS6_EEE10hipError_tPvRmT3_T4_T5_T6_T7_T9_mT8_P12ihipStream_tbDpT10_ENKUlT_T0_E_clISt17integral_constantIbLb1EES17_EEDaS12_S13_EUlS12_E_NS1_11comp_targetILNS1_3genE10ELNS1_11target_archE1200ELNS1_3gpuE4ELNS1_3repE0EEENS1_30default_config_static_selectorELNS0_4arch9wavefront6targetE0EEEvT1_.has_dyn_sized_stack, 0
	.set _ZN7rocprim17ROCPRIM_400000_NS6detail17trampoline_kernelINS0_14default_configENS1_25partition_config_selectorILNS1_17partition_subalgoE8EiNS0_10empty_typeEbEEZZNS1_14partition_implILS5_8ELb0ES3_jPKiPS6_PKS6_NS0_5tupleIJPiS6_EEENSE_IJSB_SB_EEENS0_18inequality_wrapperIN6hipcub16HIPCUB_304000_NS8EqualityEEEPlJS6_EEE10hipError_tPvRmT3_T4_T5_T6_T7_T9_mT8_P12ihipStream_tbDpT10_ENKUlT_T0_E_clISt17integral_constantIbLb1EES17_EEDaS12_S13_EUlS12_E_NS1_11comp_targetILNS1_3genE10ELNS1_11target_archE1200ELNS1_3gpuE4ELNS1_3repE0EEENS1_30default_config_static_selectorELNS0_4arch9wavefront6targetE0EEEvT1_.has_recursion, 0
	.set _ZN7rocprim17ROCPRIM_400000_NS6detail17trampoline_kernelINS0_14default_configENS1_25partition_config_selectorILNS1_17partition_subalgoE8EiNS0_10empty_typeEbEEZZNS1_14partition_implILS5_8ELb0ES3_jPKiPS6_PKS6_NS0_5tupleIJPiS6_EEENSE_IJSB_SB_EEENS0_18inequality_wrapperIN6hipcub16HIPCUB_304000_NS8EqualityEEEPlJS6_EEE10hipError_tPvRmT3_T4_T5_T6_T7_T9_mT8_P12ihipStream_tbDpT10_ENKUlT_T0_E_clISt17integral_constantIbLb1EES17_EEDaS12_S13_EUlS12_E_NS1_11comp_targetILNS1_3genE10ELNS1_11target_archE1200ELNS1_3gpuE4ELNS1_3repE0EEENS1_30default_config_static_selectorELNS0_4arch9wavefront6targetE0EEEvT1_.has_indirect_call, 0
	.section	.AMDGPU.csdata,"",@progbits
; Kernel info:
; codeLenInByte = 0
; TotalNumSgprs: 0
; NumVgprs: 0
; ScratchSize: 0
; MemoryBound: 0
; FloatMode: 240
; IeeeMode: 1
; LDSByteSize: 0 bytes/workgroup (compile time only)
; SGPRBlocks: 0
; VGPRBlocks: 0
; NumSGPRsForWavesPerEU: 1
; NumVGPRsForWavesPerEU: 1
; Occupancy: 16
; WaveLimiterHint : 0
; COMPUTE_PGM_RSRC2:SCRATCH_EN: 0
; COMPUTE_PGM_RSRC2:USER_SGPR: 6
; COMPUTE_PGM_RSRC2:TRAP_HANDLER: 0
; COMPUTE_PGM_RSRC2:TGID_X_EN: 1
; COMPUTE_PGM_RSRC2:TGID_Y_EN: 0
; COMPUTE_PGM_RSRC2:TGID_Z_EN: 0
; COMPUTE_PGM_RSRC2:TIDIG_COMP_CNT: 0
	.section	.text._ZN7rocprim17ROCPRIM_400000_NS6detail17trampoline_kernelINS0_14default_configENS1_25partition_config_selectorILNS1_17partition_subalgoE8EiNS0_10empty_typeEbEEZZNS1_14partition_implILS5_8ELb0ES3_jPKiPS6_PKS6_NS0_5tupleIJPiS6_EEENSE_IJSB_SB_EEENS0_18inequality_wrapperIN6hipcub16HIPCUB_304000_NS8EqualityEEEPlJS6_EEE10hipError_tPvRmT3_T4_T5_T6_T7_T9_mT8_P12ihipStream_tbDpT10_ENKUlT_T0_E_clISt17integral_constantIbLb1EES17_EEDaS12_S13_EUlS12_E_NS1_11comp_targetILNS1_3genE9ELNS1_11target_archE1100ELNS1_3gpuE3ELNS1_3repE0EEENS1_30default_config_static_selectorELNS0_4arch9wavefront6targetE0EEEvT1_,"axG",@progbits,_ZN7rocprim17ROCPRIM_400000_NS6detail17trampoline_kernelINS0_14default_configENS1_25partition_config_selectorILNS1_17partition_subalgoE8EiNS0_10empty_typeEbEEZZNS1_14partition_implILS5_8ELb0ES3_jPKiPS6_PKS6_NS0_5tupleIJPiS6_EEENSE_IJSB_SB_EEENS0_18inequality_wrapperIN6hipcub16HIPCUB_304000_NS8EqualityEEEPlJS6_EEE10hipError_tPvRmT3_T4_T5_T6_T7_T9_mT8_P12ihipStream_tbDpT10_ENKUlT_T0_E_clISt17integral_constantIbLb1EES17_EEDaS12_S13_EUlS12_E_NS1_11comp_targetILNS1_3genE9ELNS1_11target_archE1100ELNS1_3gpuE3ELNS1_3repE0EEENS1_30default_config_static_selectorELNS0_4arch9wavefront6targetE0EEEvT1_,comdat
	.protected	_ZN7rocprim17ROCPRIM_400000_NS6detail17trampoline_kernelINS0_14default_configENS1_25partition_config_selectorILNS1_17partition_subalgoE8EiNS0_10empty_typeEbEEZZNS1_14partition_implILS5_8ELb0ES3_jPKiPS6_PKS6_NS0_5tupleIJPiS6_EEENSE_IJSB_SB_EEENS0_18inequality_wrapperIN6hipcub16HIPCUB_304000_NS8EqualityEEEPlJS6_EEE10hipError_tPvRmT3_T4_T5_T6_T7_T9_mT8_P12ihipStream_tbDpT10_ENKUlT_T0_E_clISt17integral_constantIbLb1EES17_EEDaS12_S13_EUlS12_E_NS1_11comp_targetILNS1_3genE9ELNS1_11target_archE1100ELNS1_3gpuE3ELNS1_3repE0EEENS1_30default_config_static_selectorELNS0_4arch9wavefront6targetE0EEEvT1_ ; -- Begin function _ZN7rocprim17ROCPRIM_400000_NS6detail17trampoline_kernelINS0_14default_configENS1_25partition_config_selectorILNS1_17partition_subalgoE8EiNS0_10empty_typeEbEEZZNS1_14partition_implILS5_8ELb0ES3_jPKiPS6_PKS6_NS0_5tupleIJPiS6_EEENSE_IJSB_SB_EEENS0_18inequality_wrapperIN6hipcub16HIPCUB_304000_NS8EqualityEEEPlJS6_EEE10hipError_tPvRmT3_T4_T5_T6_T7_T9_mT8_P12ihipStream_tbDpT10_ENKUlT_T0_E_clISt17integral_constantIbLb1EES17_EEDaS12_S13_EUlS12_E_NS1_11comp_targetILNS1_3genE9ELNS1_11target_archE1100ELNS1_3gpuE3ELNS1_3repE0EEENS1_30default_config_static_selectorELNS0_4arch9wavefront6targetE0EEEvT1_
	.globl	_ZN7rocprim17ROCPRIM_400000_NS6detail17trampoline_kernelINS0_14default_configENS1_25partition_config_selectorILNS1_17partition_subalgoE8EiNS0_10empty_typeEbEEZZNS1_14partition_implILS5_8ELb0ES3_jPKiPS6_PKS6_NS0_5tupleIJPiS6_EEENSE_IJSB_SB_EEENS0_18inequality_wrapperIN6hipcub16HIPCUB_304000_NS8EqualityEEEPlJS6_EEE10hipError_tPvRmT3_T4_T5_T6_T7_T9_mT8_P12ihipStream_tbDpT10_ENKUlT_T0_E_clISt17integral_constantIbLb1EES17_EEDaS12_S13_EUlS12_E_NS1_11comp_targetILNS1_3genE9ELNS1_11target_archE1100ELNS1_3gpuE3ELNS1_3repE0EEENS1_30default_config_static_selectorELNS0_4arch9wavefront6targetE0EEEvT1_
	.p2align	8
	.type	_ZN7rocprim17ROCPRIM_400000_NS6detail17trampoline_kernelINS0_14default_configENS1_25partition_config_selectorILNS1_17partition_subalgoE8EiNS0_10empty_typeEbEEZZNS1_14partition_implILS5_8ELb0ES3_jPKiPS6_PKS6_NS0_5tupleIJPiS6_EEENSE_IJSB_SB_EEENS0_18inequality_wrapperIN6hipcub16HIPCUB_304000_NS8EqualityEEEPlJS6_EEE10hipError_tPvRmT3_T4_T5_T6_T7_T9_mT8_P12ihipStream_tbDpT10_ENKUlT_T0_E_clISt17integral_constantIbLb1EES17_EEDaS12_S13_EUlS12_E_NS1_11comp_targetILNS1_3genE9ELNS1_11target_archE1100ELNS1_3gpuE3ELNS1_3repE0EEENS1_30default_config_static_selectorELNS0_4arch9wavefront6targetE0EEEvT1_,@function
_ZN7rocprim17ROCPRIM_400000_NS6detail17trampoline_kernelINS0_14default_configENS1_25partition_config_selectorILNS1_17partition_subalgoE8EiNS0_10empty_typeEbEEZZNS1_14partition_implILS5_8ELb0ES3_jPKiPS6_PKS6_NS0_5tupleIJPiS6_EEENSE_IJSB_SB_EEENS0_18inequality_wrapperIN6hipcub16HIPCUB_304000_NS8EqualityEEEPlJS6_EEE10hipError_tPvRmT3_T4_T5_T6_T7_T9_mT8_P12ihipStream_tbDpT10_ENKUlT_T0_E_clISt17integral_constantIbLb1EES17_EEDaS12_S13_EUlS12_E_NS1_11comp_targetILNS1_3genE9ELNS1_11target_archE1100ELNS1_3gpuE3ELNS1_3repE0EEENS1_30default_config_static_selectorELNS0_4arch9wavefront6targetE0EEEvT1_: ; @_ZN7rocprim17ROCPRIM_400000_NS6detail17trampoline_kernelINS0_14default_configENS1_25partition_config_selectorILNS1_17partition_subalgoE8EiNS0_10empty_typeEbEEZZNS1_14partition_implILS5_8ELb0ES3_jPKiPS6_PKS6_NS0_5tupleIJPiS6_EEENSE_IJSB_SB_EEENS0_18inequality_wrapperIN6hipcub16HIPCUB_304000_NS8EqualityEEEPlJS6_EEE10hipError_tPvRmT3_T4_T5_T6_T7_T9_mT8_P12ihipStream_tbDpT10_ENKUlT_T0_E_clISt17integral_constantIbLb1EES17_EEDaS12_S13_EUlS12_E_NS1_11comp_targetILNS1_3genE9ELNS1_11target_archE1100ELNS1_3gpuE3ELNS1_3repE0EEENS1_30default_config_static_selectorELNS0_4arch9wavefront6targetE0EEEvT1_
; %bb.0:
	.section	.rodata,"a",@progbits
	.p2align	6, 0x0
	.amdhsa_kernel _ZN7rocprim17ROCPRIM_400000_NS6detail17trampoline_kernelINS0_14default_configENS1_25partition_config_selectorILNS1_17partition_subalgoE8EiNS0_10empty_typeEbEEZZNS1_14partition_implILS5_8ELb0ES3_jPKiPS6_PKS6_NS0_5tupleIJPiS6_EEENSE_IJSB_SB_EEENS0_18inequality_wrapperIN6hipcub16HIPCUB_304000_NS8EqualityEEEPlJS6_EEE10hipError_tPvRmT3_T4_T5_T6_T7_T9_mT8_P12ihipStream_tbDpT10_ENKUlT_T0_E_clISt17integral_constantIbLb1EES17_EEDaS12_S13_EUlS12_E_NS1_11comp_targetILNS1_3genE9ELNS1_11target_archE1100ELNS1_3gpuE3ELNS1_3repE0EEENS1_30default_config_static_selectorELNS0_4arch9wavefront6targetE0EEEvT1_
		.amdhsa_group_segment_fixed_size 0
		.amdhsa_private_segment_fixed_size 0
		.amdhsa_kernarg_size 128
		.amdhsa_user_sgpr_count 6
		.amdhsa_user_sgpr_private_segment_buffer 1
		.amdhsa_user_sgpr_dispatch_ptr 0
		.amdhsa_user_sgpr_queue_ptr 0
		.amdhsa_user_sgpr_kernarg_segment_ptr 1
		.amdhsa_user_sgpr_dispatch_id 0
		.amdhsa_user_sgpr_flat_scratch_init 0
		.amdhsa_user_sgpr_private_segment_size 0
		.amdhsa_wavefront_size32 1
		.amdhsa_uses_dynamic_stack 0
		.amdhsa_system_sgpr_private_segment_wavefront_offset 0
		.amdhsa_system_sgpr_workgroup_id_x 1
		.amdhsa_system_sgpr_workgroup_id_y 0
		.amdhsa_system_sgpr_workgroup_id_z 0
		.amdhsa_system_sgpr_workgroup_info 0
		.amdhsa_system_vgpr_workitem_id 0
		.amdhsa_next_free_vgpr 1
		.amdhsa_next_free_sgpr 1
		.amdhsa_reserve_vcc 0
		.amdhsa_reserve_flat_scratch 0
		.amdhsa_float_round_mode_32 0
		.amdhsa_float_round_mode_16_64 0
		.amdhsa_float_denorm_mode_32 3
		.amdhsa_float_denorm_mode_16_64 3
		.amdhsa_dx10_clamp 1
		.amdhsa_ieee_mode 1
		.amdhsa_fp16_overflow 0
		.amdhsa_workgroup_processor_mode 1
		.amdhsa_memory_ordered 1
		.amdhsa_forward_progress 1
		.amdhsa_shared_vgpr_count 0
		.amdhsa_exception_fp_ieee_invalid_op 0
		.amdhsa_exception_fp_denorm_src 0
		.amdhsa_exception_fp_ieee_div_zero 0
		.amdhsa_exception_fp_ieee_overflow 0
		.amdhsa_exception_fp_ieee_underflow 0
		.amdhsa_exception_fp_ieee_inexact 0
		.amdhsa_exception_int_div_zero 0
	.end_amdhsa_kernel
	.section	.text._ZN7rocprim17ROCPRIM_400000_NS6detail17trampoline_kernelINS0_14default_configENS1_25partition_config_selectorILNS1_17partition_subalgoE8EiNS0_10empty_typeEbEEZZNS1_14partition_implILS5_8ELb0ES3_jPKiPS6_PKS6_NS0_5tupleIJPiS6_EEENSE_IJSB_SB_EEENS0_18inequality_wrapperIN6hipcub16HIPCUB_304000_NS8EqualityEEEPlJS6_EEE10hipError_tPvRmT3_T4_T5_T6_T7_T9_mT8_P12ihipStream_tbDpT10_ENKUlT_T0_E_clISt17integral_constantIbLb1EES17_EEDaS12_S13_EUlS12_E_NS1_11comp_targetILNS1_3genE9ELNS1_11target_archE1100ELNS1_3gpuE3ELNS1_3repE0EEENS1_30default_config_static_selectorELNS0_4arch9wavefront6targetE0EEEvT1_,"axG",@progbits,_ZN7rocprim17ROCPRIM_400000_NS6detail17trampoline_kernelINS0_14default_configENS1_25partition_config_selectorILNS1_17partition_subalgoE8EiNS0_10empty_typeEbEEZZNS1_14partition_implILS5_8ELb0ES3_jPKiPS6_PKS6_NS0_5tupleIJPiS6_EEENSE_IJSB_SB_EEENS0_18inequality_wrapperIN6hipcub16HIPCUB_304000_NS8EqualityEEEPlJS6_EEE10hipError_tPvRmT3_T4_T5_T6_T7_T9_mT8_P12ihipStream_tbDpT10_ENKUlT_T0_E_clISt17integral_constantIbLb1EES17_EEDaS12_S13_EUlS12_E_NS1_11comp_targetILNS1_3genE9ELNS1_11target_archE1100ELNS1_3gpuE3ELNS1_3repE0EEENS1_30default_config_static_selectorELNS0_4arch9wavefront6targetE0EEEvT1_,comdat
.Lfunc_end201:
	.size	_ZN7rocprim17ROCPRIM_400000_NS6detail17trampoline_kernelINS0_14default_configENS1_25partition_config_selectorILNS1_17partition_subalgoE8EiNS0_10empty_typeEbEEZZNS1_14partition_implILS5_8ELb0ES3_jPKiPS6_PKS6_NS0_5tupleIJPiS6_EEENSE_IJSB_SB_EEENS0_18inequality_wrapperIN6hipcub16HIPCUB_304000_NS8EqualityEEEPlJS6_EEE10hipError_tPvRmT3_T4_T5_T6_T7_T9_mT8_P12ihipStream_tbDpT10_ENKUlT_T0_E_clISt17integral_constantIbLb1EES17_EEDaS12_S13_EUlS12_E_NS1_11comp_targetILNS1_3genE9ELNS1_11target_archE1100ELNS1_3gpuE3ELNS1_3repE0EEENS1_30default_config_static_selectorELNS0_4arch9wavefront6targetE0EEEvT1_, .Lfunc_end201-_ZN7rocprim17ROCPRIM_400000_NS6detail17trampoline_kernelINS0_14default_configENS1_25partition_config_selectorILNS1_17partition_subalgoE8EiNS0_10empty_typeEbEEZZNS1_14partition_implILS5_8ELb0ES3_jPKiPS6_PKS6_NS0_5tupleIJPiS6_EEENSE_IJSB_SB_EEENS0_18inequality_wrapperIN6hipcub16HIPCUB_304000_NS8EqualityEEEPlJS6_EEE10hipError_tPvRmT3_T4_T5_T6_T7_T9_mT8_P12ihipStream_tbDpT10_ENKUlT_T0_E_clISt17integral_constantIbLb1EES17_EEDaS12_S13_EUlS12_E_NS1_11comp_targetILNS1_3genE9ELNS1_11target_archE1100ELNS1_3gpuE3ELNS1_3repE0EEENS1_30default_config_static_selectorELNS0_4arch9wavefront6targetE0EEEvT1_
                                        ; -- End function
	.set _ZN7rocprim17ROCPRIM_400000_NS6detail17trampoline_kernelINS0_14default_configENS1_25partition_config_selectorILNS1_17partition_subalgoE8EiNS0_10empty_typeEbEEZZNS1_14partition_implILS5_8ELb0ES3_jPKiPS6_PKS6_NS0_5tupleIJPiS6_EEENSE_IJSB_SB_EEENS0_18inequality_wrapperIN6hipcub16HIPCUB_304000_NS8EqualityEEEPlJS6_EEE10hipError_tPvRmT3_T4_T5_T6_T7_T9_mT8_P12ihipStream_tbDpT10_ENKUlT_T0_E_clISt17integral_constantIbLb1EES17_EEDaS12_S13_EUlS12_E_NS1_11comp_targetILNS1_3genE9ELNS1_11target_archE1100ELNS1_3gpuE3ELNS1_3repE0EEENS1_30default_config_static_selectorELNS0_4arch9wavefront6targetE0EEEvT1_.num_vgpr, 0
	.set _ZN7rocprim17ROCPRIM_400000_NS6detail17trampoline_kernelINS0_14default_configENS1_25partition_config_selectorILNS1_17partition_subalgoE8EiNS0_10empty_typeEbEEZZNS1_14partition_implILS5_8ELb0ES3_jPKiPS6_PKS6_NS0_5tupleIJPiS6_EEENSE_IJSB_SB_EEENS0_18inequality_wrapperIN6hipcub16HIPCUB_304000_NS8EqualityEEEPlJS6_EEE10hipError_tPvRmT3_T4_T5_T6_T7_T9_mT8_P12ihipStream_tbDpT10_ENKUlT_T0_E_clISt17integral_constantIbLb1EES17_EEDaS12_S13_EUlS12_E_NS1_11comp_targetILNS1_3genE9ELNS1_11target_archE1100ELNS1_3gpuE3ELNS1_3repE0EEENS1_30default_config_static_selectorELNS0_4arch9wavefront6targetE0EEEvT1_.num_agpr, 0
	.set _ZN7rocprim17ROCPRIM_400000_NS6detail17trampoline_kernelINS0_14default_configENS1_25partition_config_selectorILNS1_17partition_subalgoE8EiNS0_10empty_typeEbEEZZNS1_14partition_implILS5_8ELb0ES3_jPKiPS6_PKS6_NS0_5tupleIJPiS6_EEENSE_IJSB_SB_EEENS0_18inequality_wrapperIN6hipcub16HIPCUB_304000_NS8EqualityEEEPlJS6_EEE10hipError_tPvRmT3_T4_T5_T6_T7_T9_mT8_P12ihipStream_tbDpT10_ENKUlT_T0_E_clISt17integral_constantIbLb1EES17_EEDaS12_S13_EUlS12_E_NS1_11comp_targetILNS1_3genE9ELNS1_11target_archE1100ELNS1_3gpuE3ELNS1_3repE0EEENS1_30default_config_static_selectorELNS0_4arch9wavefront6targetE0EEEvT1_.numbered_sgpr, 0
	.set _ZN7rocprim17ROCPRIM_400000_NS6detail17trampoline_kernelINS0_14default_configENS1_25partition_config_selectorILNS1_17partition_subalgoE8EiNS0_10empty_typeEbEEZZNS1_14partition_implILS5_8ELb0ES3_jPKiPS6_PKS6_NS0_5tupleIJPiS6_EEENSE_IJSB_SB_EEENS0_18inequality_wrapperIN6hipcub16HIPCUB_304000_NS8EqualityEEEPlJS6_EEE10hipError_tPvRmT3_T4_T5_T6_T7_T9_mT8_P12ihipStream_tbDpT10_ENKUlT_T0_E_clISt17integral_constantIbLb1EES17_EEDaS12_S13_EUlS12_E_NS1_11comp_targetILNS1_3genE9ELNS1_11target_archE1100ELNS1_3gpuE3ELNS1_3repE0EEENS1_30default_config_static_selectorELNS0_4arch9wavefront6targetE0EEEvT1_.num_named_barrier, 0
	.set _ZN7rocprim17ROCPRIM_400000_NS6detail17trampoline_kernelINS0_14default_configENS1_25partition_config_selectorILNS1_17partition_subalgoE8EiNS0_10empty_typeEbEEZZNS1_14partition_implILS5_8ELb0ES3_jPKiPS6_PKS6_NS0_5tupleIJPiS6_EEENSE_IJSB_SB_EEENS0_18inequality_wrapperIN6hipcub16HIPCUB_304000_NS8EqualityEEEPlJS6_EEE10hipError_tPvRmT3_T4_T5_T6_T7_T9_mT8_P12ihipStream_tbDpT10_ENKUlT_T0_E_clISt17integral_constantIbLb1EES17_EEDaS12_S13_EUlS12_E_NS1_11comp_targetILNS1_3genE9ELNS1_11target_archE1100ELNS1_3gpuE3ELNS1_3repE0EEENS1_30default_config_static_selectorELNS0_4arch9wavefront6targetE0EEEvT1_.private_seg_size, 0
	.set _ZN7rocprim17ROCPRIM_400000_NS6detail17trampoline_kernelINS0_14default_configENS1_25partition_config_selectorILNS1_17partition_subalgoE8EiNS0_10empty_typeEbEEZZNS1_14partition_implILS5_8ELb0ES3_jPKiPS6_PKS6_NS0_5tupleIJPiS6_EEENSE_IJSB_SB_EEENS0_18inequality_wrapperIN6hipcub16HIPCUB_304000_NS8EqualityEEEPlJS6_EEE10hipError_tPvRmT3_T4_T5_T6_T7_T9_mT8_P12ihipStream_tbDpT10_ENKUlT_T0_E_clISt17integral_constantIbLb1EES17_EEDaS12_S13_EUlS12_E_NS1_11comp_targetILNS1_3genE9ELNS1_11target_archE1100ELNS1_3gpuE3ELNS1_3repE0EEENS1_30default_config_static_selectorELNS0_4arch9wavefront6targetE0EEEvT1_.uses_vcc, 0
	.set _ZN7rocprim17ROCPRIM_400000_NS6detail17trampoline_kernelINS0_14default_configENS1_25partition_config_selectorILNS1_17partition_subalgoE8EiNS0_10empty_typeEbEEZZNS1_14partition_implILS5_8ELb0ES3_jPKiPS6_PKS6_NS0_5tupleIJPiS6_EEENSE_IJSB_SB_EEENS0_18inequality_wrapperIN6hipcub16HIPCUB_304000_NS8EqualityEEEPlJS6_EEE10hipError_tPvRmT3_T4_T5_T6_T7_T9_mT8_P12ihipStream_tbDpT10_ENKUlT_T0_E_clISt17integral_constantIbLb1EES17_EEDaS12_S13_EUlS12_E_NS1_11comp_targetILNS1_3genE9ELNS1_11target_archE1100ELNS1_3gpuE3ELNS1_3repE0EEENS1_30default_config_static_selectorELNS0_4arch9wavefront6targetE0EEEvT1_.uses_flat_scratch, 0
	.set _ZN7rocprim17ROCPRIM_400000_NS6detail17trampoline_kernelINS0_14default_configENS1_25partition_config_selectorILNS1_17partition_subalgoE8EiNS0_10empty_typeEbEEZZNS1_14partition_implILS5_8ELb0ES3_jPKiPS6_PKS6_NS0_5tupleIJPiS6_EEENSE_IJSB_SB_EEENS0_18inequality_wrapperIN6hipcub16HIPCUB_304000_NS8EqualityEEEPlJS6_EEE10hipError_tPvRmT3_T4_T5_T6_T7_T9_mT8_P12ihipStream_tbDpT10_ENKUlT_T0_E_clISt17integral_constantIbLb1EES17_EEDaS12_S13_EUlS12_E_NS1_11comp_targetILNS1_3genE9ELNS1_11target_archE1100ELNS1_3gpuE3ELNS1_3repE0EEENS1_30default_config_static_selectorELNS0_4arch9wavefront6targetE0EEEvT1_.has_dyn_sized_stack, 0
	.set _ZN7rocprim17ROCPRIM_400000_NS6detail17trampoline_kernelINS0_14default_configENS1_25partition_config_selectorILNS1_17partition_subalgoE8EiNS0_10empty_typeEbEEZZNS1_14partition_implILS5_8ELb0ES3_jPKiPS6_PKS6_NS0_5tupleIJPiS6_EEENSE_IJSB_SB_EEENS0_18inequality_wrapperIN6hipcub16HIPCUB_304000_NS8EqualityEEEPlJS6_EEE10hipError_tPvRmT3_T4_T5_T6_T7_T9_mT8_P12ihipStream_tbDpT10_ENKUlT_T0_E_clISt17integral_constantIbLb1EES17_EEDaS12_S13_EUlS12_E_NS1_11comp_targetILNS1_3genE9ELNS1_11target_archE1100ELNS1_3gpuE3ELNS1_3repE0EEENS1_30default_config_static_selectorELNS0_4arch9wavefront6targetE0EEEvT1_.has_recursion, 0
	.set _ZN7rocprim17ROCPRIM_400000_NS6detail17trampoline_kernelINS0_14default_configENS1_25partition_config_selectorILNS1_17partition_subalgoE8EiNS0_10empty_typeEbEEZZNS1_14partition_implILS5_8ELb0ES3_jPKiPS6_PKS6_NS0_5tupleIJPiS6_EEENSE_IJSB_SB_EEENS0_18inequality_wrapperIN6hipcub16HIPCUB_304000_NS8EqualityEEEPlJS6_EEE10hipError_tPvRmT3_T4_T5_T6_T7_T9_mT8_P12ihipStream_tbDpT10_ENKUlT_T0_E_clISt17integral_constantIbLb1EES17_EEDaS12_S13_EUlS12_E_NS1_11comp_targetILNS1_3genE9ELNS1_11target_archE1100ELNS1_3gpuE3ELNS1_3repE0EEENS1_30default_config_static_selectorELNS0_4arch9wavefront6targetE0EEEvT1_.has_indirect_call, 0
	.section	.AMDGPU.csdata,"",@progbits
; Kernel info:
; codeLenInByte = 0
; TotalNumSgprs: 0
; NumVgprs: 0
; ScratchSize: 0
; MemoryBound: 0
; FloatMode: 240
; IeeeMode: 1
; LDSByteSize: 0 bytes/workgroup (compile time only)
; SGPRBlocks: 0
; VGPRBlocks: 0
; NumSGPRsForWavesPerEU: 1
; NumVGPRsForWavesPerEU: 1
; Occupancy: 16
; WaveLimiterHint : 0
; COMPUTE_PGM_RSRC2:SCRATCH_EN: 0
; COMPUTE_PGM_RSRC2:USER_SGPR: 6
; COMPUTE_PGM_RSRC2:TRAP_HANDLER: 0
; COMPUTE_PGM_RSRC2:TGID_X_EN: 1
; COMPUTE_PGM_RSRC2:TGID_Y_EN: 0
; COMPUTE_PGM_RSRC2:TGID_Z_EN: 0
; COMPUTE_PGM_RSRC2:TIDIG_COMP_CNT: 0
	.section	.text._ZN7rocprim17ROCPRIM_400000_NS6detail17trampoline_kernelINS0_14default_configENS1_25partition_config_selectorILNS1_17partition_subalgoE8EiNS0_10empty_typeEbEEZZNS1_14partition_implILS5_8ELb0ES3_jPKiPS6_PKS6_NS0_5tupleIJPiS6_EEENSE_IJSB_SB_EEENS0_18inequality_wrapperIN6hipcub16HIPCUB_304000_NS8EqualityEEEPlJS6_EEE10hipError_tPvRmT3_T4_T5_T6_T7_T9_mT8_P12ihipStream_tbDpT10_ENKUlT_T0_E_clISt17integral_constantIbLb1EES17_EEDaS12_S13_EUlS12_E_NS1_11comp_targetILNS1_3genE8ELNS1_11target_archE1030ELNS1_3gpuE2ELNS1_3repE0EEENS1_30default_config_static_selectorELNS0_4arch9wavefront6targetE0EEEvT1_,"axG",@progbits,_ZN7rocprim17ROCPRIM_400000_NS6detail17trampoline_kernelINS0_14default_configENS1_25partition_config_selectorILNS1_17partition_subalgoE8EiNS0_10empty_typeEbEEZZNS1_14partition_implILS5_8ELb0ES3_jPKiPS6_PKS6_NS0_5tupleIJPiS6_EEENSE_IJSB_SB_EEENS0_18inequality_wrapperIN6hipcub16HIPCUB_304000_NS8EqualityEEEPlJS6_EEE10hipError_tPvRmT3_T4_T5_T6_T7_T9_mT8_P12ihipStream_tbDpT10_ENKUlT_T0_E_clISt17integral_constantIbLb1EES17_EEDaS12_S13_EUlS12_E_NS1_11comp_targetILNS1_3genE8ELNS1_11target_archE1030ELNS1_3gpuE2ELNS1_3repE0EEENS1_30default_config_static_selectorELNS0_4arch9wavefront6targetE0EEEvT1_,comdat
	.protected	_ZN7rocprim17ROCPRIM_400000_NS6detail17trampoline_kernelINS0_14default_configENS1_25partition_config_selectorILNS1_17partition_subalgoE8EiNS0_10empty_typeEbEEZZNS1_14partition_implILS5_8ELb0ES3_jPKiPS6_PKS6_NS0_5tupleIJPiS6_EEENSE_IJSB_SB_EEENS0_18inequality_wrapperIN6hipcub16HIPCUB_304000_NS8EqualityEEEPlJS6_EEE10hipError_tPvRmT3_T4_T5_T6_T7_T9_mT8_P12ihipStream_tbDpT10_ENKUlT_T0_E_clISt17integral_constantIbLb1EES17_EEDaS12_S13_EUlS12_E_NS1_11comp_targetILNS1_3genE8ELNS1_11target_archE1030ELNS1_3gpuE2ELNS1_3repE0EEENS1_30default_config_static_selectorELNS0_4arch9wavefront6targetE0EEEvT1_ ; -- Begin function _ZN7rocprim17ROCPRIM_400000_NS6detail17trampoline_kernelINS0_14default_configENS1_25partition_config_selectorILNS1_17partition_subalgoE8EiNS0_10empty_typeEbEEZZNS1_14partition_implILS5_8ELb0ES3_jPKiPS6_PKS6_NS0_5tupleIJPiS6_EEENSE_IJSB_SB_EEENS0_18inequality_wrapperIN6hipcub16HIPCUB_304000_NS8EqualityEEEPlJS6_EEE10hipError_tPvRmT3_T4_T5_T6_T7_T9_mT8_P12ihipStream_tbDpT10_ENKUlT_T0_E_clISt17integral_constantIbLb1EES17_EEDaS12_S13_EUlS12_E_NS1_11comp_targetILNS1_3genE8ELNS1_11target_archE1030ELNS1_3gpuE2ELNS1_3repE0EEENS1_30default_config_static_selectorELNS0_4arch9wavefront6targetE0EEEvT1_
	.globl	_ZN7rocprim17ROCPRIM_400000_NS6detail17trampoline_kernelINS0_14default_configENS1_25partition_config_selectorILNS1_17partition_subalgoE8EiNS0_10empty_typeEbEEZZNS1_14partition_implILS5_8ELb0ES3_jPKiPS6_PKS6_NS0_5tupleIJPiS6_EEENSE_IJSB_SB_EEENS0_18inequality_wrapperIN6hipcub16HIPCUB_304000_NS8EqualityEEEPlJS6_EEE10hipError_tPvRmT3_T4_T5_T6_T7_T9_mT8_P12ihipStream_tbDpT10_ENKUlT_T0_E_clISt17integral_constantIbLb1EES17_EEDaS12_S13_EUlS12_E_NS1_11comp_targetILNS1_3genE8ELNS1_11target_archE1030ELNS1_3gpuE2ELNS1_3repE0EEENS1_30default_config_static_selectorELNS0_4arch9wavefront6targetE0EEEvT1_
	.p2align	8
	.type	_ZN7rocprim17ROCPRIM_400000_NS6detail17trampoline_kernelINS0_14default_configENS1_25partition_config_selectorILNS1_17partition_subalgoE8EiNS0_10empty_typeEbEEZZNS1_14partition_implILS5_8ELb0ES3_jPKiPS6_PKS6_NS0_5tupleIJPiS6_EEENSE_IJSB_SB_EEENS0_18inequality_wrapperIN6hipcub16HIPCUB_304000_NS8EqualityEEEPlJS6_EEE10hipError_tPvRmT3_T4_T5_T6_T7_T9_mT8_P12ihipStream_tbDpT10_ENKUlT_T0_E_clISt17integral_constantIbLb1EES17_EEDaS12_S13_EUlS12_E_NS1_11comp_targetILNS1_3genE8ELNS1_11target_archE1030ELNS1_3gpuE2ELNS1_3repE0EEENS1_30default_config_static_selectorELNS0_4arch9wavefront6targetE0EEEvT1_,@function
_ZN7rocprim17ROCPRIM_400000_NS6detail17trampoline_kernelINS0_14default_configENS1_25partition_config_selectorILNS1_17partition_subalgoE8EiNS0_10empty_typeEbEEZZNS1_14partition_implILS5_8ELb0ES3_jPKiPS6_PKS6_NS0_5tupleIJPiS6_EEENSE_IJSB_SB_EEENS0_18inequality_wrapperIN6hipcub16HIPCUB_304000_NS8EqualityEEEPlJS6_EEE10hipError_tPvRmT3_T4_T5_T6_T7_T9_mT8_P12ihipStream_tbDpT10_ENKUlT_T0_E_clISt17integral_constantIbLb1EES17_EEDaS12_S13_EUlS12_E_NS1_11comp_targetILNS1_3genE8ELNS1_11target_archE1030ELNS1_3gpuE2ELNS1_3repE0EEENS1_30default_config_static_selectorELNS0_4arch9wavefront6targetE0EEEvT1_: ; @_ZN7rocprim17ROCPRIM_400000_NS6detail17trampoline_kernelINS0_14default_configENS1_25partition_config_selectorILNS1_17partition_subalgoE8EiNS0_10empty_typeEbEEZZNS1_14partition_implILS5_8ELb0ES3_jPKiPS6_PKS6_NS0_5tupleIJPiS6_EEENSE_IJSB_SB_EEENS0_18inequality_wrapperIN6hipcub16HIPCUB_304000_NS8EqualityEEEPlJS6_EEE10hipError_tPvRmT3_T4_T5_T6_T7_T9_mT8_P12ihipStream_tbDpT10_ENKUlT_T0_E_clISt17integral_constantIbLb1EES17_EEDaS12_S13_EUlS12_E_NS1_11comp_targetILNS1_3genE8ELNS1_11target_archE1030ELNS1_3gpuE2ELNS1_3repE0EEENS1_30default_config_static_selectorELNS0_4arch9wavefront6targetE0EEEvT1_
; %bb.0:
	s_endpgm
	.section	.rodata,"a",@progbits
	.p2align	6, 0x0
	.amdhsa_kernel _ZN7rocprim17ROCPRIM_400000_NS6detail17trampoline_kernelINS0_14default_configENS1_25partition_config_selectorILNS1_17partition_subalgoE8EiNS0_10empty_typeEbEEZZNS1_14partition_implILS5_8ELb0ES3_jPKiPS6_PKS6_NS0_5tupleIJPiS6_EEENSE_IJSB_SB_EEENS0_18inequality_wrapperIN6hipcub16HIPCUB_304000_NS8EqualityEEEPlJS6_EEE10hipError_tPvRmT3_T4_T5_T6_T7_T9_mT8_P12ihipStream_tbDpT10_ENKUlT_T0_E_clISt17integral_constantIbLb1EES17_EEDaS12_S13_EUlS12_E_NS1_11comp_targetILNS1_3genE8ELNS1_11target_archE1030ELNS1_3gpuE2ELNS1_3repE0EEENS1_30default_config_static_selectorELNS0_4arch9wavefront6targetE0EEEvT1_
		.amdhsa_group_segment_fixed_size 0
		.amdhsa_private_segment_fixed_size 0
		.amdhsa_kernarg_size 128
		.amdhsa_user_sgpr_count 6
		.amdhsa_user_sgpr_private_segment_buffer 1
		.amdhsa_user_sgpr_dispatch_ptr 0
		.amdhsa_user_sgpr_queue_ptr 0
		.amdhsa_user_sgpr_kernarg_segment_ptr 1
		.amdhsa_user_sgpr_dispatch_id 0
		.amdhsa_user_sgpr_flat_scratch_init 0
		.amdhsa_user_sgpr_private_segment_size 0
		.amdhsa_wavefront_size32 1
		.amdhsa_uses_dynamic_stack 0
		.amdhsa_system_sgpr_private_segment_wavefront_offset 0
		.amdhsa_system_sgpr_workgroup_id_x 1
		.amdhsa_system_sgpr_workgroup_id_y 0
		.amdhsa_system_sgpr_workgroup_id_z 0
		.amdhsa_system_sgpr_workgroup_info 0
		.amdhsa_system_vgpr_workitem_id 0
		.amdhsa_next_free_vgpr 1
		.amdhsa_next_free_sgpr 1
		.amdhsa_reserve_vcc 0
		.amdhsa_reserve_flat_scratch 0
		.amdhsa_float_round_mode_32 0
		.amdhsa_float_round_mode_16_64 0
		.amdhsa_float_denorm_mode_32 3
		.amdhsa_float_denorm_mode_16_64 3
		.amdhsa_dx10_clamp 1
		.amdhsa_ieee_mode 1
		.amdhsa_fp16_overflow 0
		.amdhsa_workgroup_processor_mode 1
		.amdhsa_memory_ordered 1
		.amdhsa_forward_progress 1
		.amdhsa_shared_vgpr_count 0
		.amdhsa_exception_fp_ieee_invalid_op 0
		.amdhsa_exception_fp_denorm_src 0
		.amdhsa_exception_fp_ieee_div_zero 0
		.amdhsa_exception_fp_ieee_overflow 0
		.amdhsa_exception_fp_ieee_underflow 0
		.amdhsa_exception_fp_ieee_inexact 0
		.amdhsa_exception_int_div_zero 0
	.end_amdhsa_kernel
	.section	.text._ZN7rocprim17ROCPRIM_400000_NS6detail17trampoline_kernelINS0_14default_configENS1_25partition_config_selectorILNS1_17partition_subalgoE8EiNS0_10empty_typeEbEEZZNS1_14partition_implILS5_8ELb0ES3_jPKiPS6_PKS6_NS0_5tupleIJPiS6_EEENSE_IJSB_SB_EEENS0_18inequality_wrapperIN6hipcub16HIPCUB_304000_NS8EqualityEEEPlJS6_EEE10hipError_tPvRmT3_T4_T5_T6_T7_T9_mT8_P12ihipStream_tbDpT10_ENKUlT_T0_E_clISt17integral_constantIbLb1EES17_EEDaS12_S13_EUlS12_E_NS1_11comp_targetILNS1_3genE8ELNS1_11target_archE1030ELNS1_3gpuE2ELNS1_3repE0EEENS1_30default_config_static_selectorELNS0_4arch9wavefront6targetE0EEEvT1_,"axG",@progbits,_ZN7rocprim17ROCPRIM_400000_NS6detail17trampoline_kernelINS0_14default_configENS1_25partition_config_selectorILNS1_17partition_subalgoE8EiNS0_10empty_typeEbEEZZNS1_14partition_implILS5_8ELb0ES3_jPKiPS6_PKS6_NS0_5tupleIJPiS6_EEENSE_IJSB_SB_EEENS0_18inequality_wrapperIN6hipcub16HIPCUB_304000_NS8EqualityEEEPlJS6_EEE10hipError_tPvRmT3_T4_T5_T6_T7_T9_mT8_P12ihipStream_tbDpT10_ENKUlT_T0_E_clISt17integral_constantIbLb1EES17_EEDaS12_S13_EUlS12_E_NS1_11comp_targetILNS1_3genE8ELNS1_11target_archE1030ELNS1_3gpuE2ELNS1_3repE0EEENS1_30default_config_static_selectorELNS0_4arch9wavefront6targetE0EEEvT1_,comdat
.Lfunc_end202:
	.size	_ZN7rocprim17ROCPRIM_400000_NS6detail17trampoline_kernelINS0_14default_configENS1_25partition_config_selectorILNS1_17partition_subalgoE8EiNS0_10empty_typeEbEEZZNS1_14partition_implILS5_8ELb0ES3_jPKiPS6_PKS6_NS0_5tupleIJPiS6_EEENSE_IJSB_SB_EEENS0_18inequality_wrapperIN6hipcub16HIPCUB_304000_NS8EqualityEEEPlJS6_EEE10hipError_tPvRmT3_T4_T5_T6_T7_T9_mT8_P12ihipStream_tbDpT10_ENKUlT_T0_E_clISt17integral_constantIbLb1EES17_EEDaS12_S13_EUlS12_E_NS1_11comp_targetILNS1_3genE8ELNS1_11target_archE1030ELNS1_3gpuE2ELNS1_3repE0EEENS1_30default_config_static_selectorELNS0_4arch9wavefront6targetE0EEEvT1_, .Lfunc_end202-_ZN7rocprim17ROCPRIM_400000_NS6detail17trampoline_kernelINS0_14default_configENS1_25partition_config_selectorILNS1_17partition_subalgoE8EiNS0_10empty_typeEbEEZZNS1_14partition_implILS5_8ELb0ES3_jPKiPS6_PKS6_NS0_5tupleIJPiS6_EEENSE_IJSB_SB_EEENS0_18inequality_wrapperIN6hipcub16HIPCUB_304000_NS8EqualityEEEPlJS6_EEE10hipError_tPvRmT3_T4_T5_T6_T7_T9_mT8_P12ihipStream_tbDpT10_ENKUlT_T0_E_clISt17integral_constantIbLb1EES17_EEDaS12_S13_EUlS12_E_NS1_11comp_targetILNS1_3genE8ELNS1_11target_archE1030ELNS1_3gpuE2ELNS1_3repE0EEENS1_30default_config_static_selectorELNS0_4arch9wavefront6targetE0EEEvT1_
                                        ; -- End function
	.set _ZN7rocprim17ROCPRIM_400000_NS6detail17trampoline_kernelINS0_14default_configENS1_25partition_config_selectorILNS1_17partition_subalgoE8EiNS0_10empty_typeEbEEZZNS1_14partition_implILS5_8ELb0ES3_jPKiPS6_PKS6_NS0_5tupleIJPiS6_EEENSE_IJSB_SB_EEENS0_18inequality_wrapperIN6hipcub16HIPCUB_304000_NS8EqualityEEEPlJS6_EEE10hipError_tPvRmT3_T4_T5_T6_T7_T9_mT8_P12ihipStream_tbDpT10_ENKUlT_T0_E_clISt17integral_constantIbLb1EES17_EEDaS12_S13_EUlS12_E_NS1_11comp_targetILNS1_3genE8ELNS1_11target_archE1030ELNS1_3gpuE2ELNS1_3repE0EEENS1_30default_config_static_selectorELNS0_4arch9wavefront6targetE0EEEvT1_.num_vgpr, 0
	.set _ZN7rocprim17ROCPRIM_400000_NS6detail17trampoline_kernelINS0_14default_configENS1_25partition_config_selectorILNS1_17partition_subalgoE8EiNS0_10empty_typeEbEEZZNS1_14partition_implILS5_8ELb0ES3_jPKiPS6_PKS6_NS0_5tupleIJPiS6_EEENSE_IJSB_SB_EEENS0_18inequality_wrapperIN6hipcub16HIPCUB_304000_NS8EqualityEEEPlJS6_EEE10hipError_tPvRmT3_T4_T5_T6_T7_T9_mT8_P12ihipStream_tbDpT10_ENKUlT_T0_E_clISt17integral_constantIbLb1EES17_EEDaS12_S13_EUlS12_E_NS1_11comp_targetILNS1_3genE8ELNS1_11target_archE1030ELNS1_3gpuE2ELNS1_3repE0EEENS1_30default_config_static_selectorELNS0_4arch9wavefront6targetE0EEEvT1_.num_agpr, 0
	.set _ZN7rocprim17ROCPRIM_400000_NS6detail17trampoline_kernelINS0_14default_configENS1_25partition_config_selectorILNS1_17partition_subalgoE8EiNS0_10empty_typeEbEEZZNS1_14partition_implILS5_8ELb0ES3_jPKiPS6_PKS6_NS0_5tupleIJPiS6_EEENSE_IJSB_SB_EEENS0_18inequality_wrapperIN6hipcub16HIPCUB_304000_NS8EqualityEEEPlJS6_EEE10hipError_tPvRmT3_T4_T5_T6_T7_T9_mT8_P12ihipStream_tbDpT10_ENKUlT_T0_E_clISt17integral_constantIbLb1EES17_EEDaS12_S13_EUlS12_E_NS1_11comp_targetILNS1_3genE8ELNS1_11target_archE1030ELNS1_3gpuE2ELNS1_3repE0EEENS1_30default_config_static_selectorELNS0_4arch9wavefront6targetE0EEEvT1_.numbered_sgpr, 0
	.set _ZN7rocprim17ROCPRIM_400000_NS6detail17trampoline_kernelINS0_14default_configENS1_25partition_config_selectorILNS1_17partition_subalgoE8EiNS0_10empty_typeEbEEZZNS1_14partition_implILS5_8ELb0ES3_jPKiPS6_PKS6_NS0_5tupleIJPiS6_EEENSE_IJSB_SB_EEENS0_18inequality_wrapperIN6hipcub16HIPCUB_304000_NS8EqualityEEEPlJS6_EEE10hipError_tPvRmT3_T4_T5_T6_T7_T9_mT8_P12ihipStream_tbDpT10_ENKUlT_T0_E_clISt17integral_constantIbLb1EES17_EEDaS12_S13_EUlS12_E_NS1_11comp_targetILNS1_3genE8ELNS1_11target_archE1030ELNS1_3gpuE2ELNS1_3repE0EEENS1_30default_config_static_selectorELNS0_4arch9wavefront6targetE0EEEvT1_.num_named_barrier, 0
	.set _ZN7rocprim17ROCPRIM_400000_NS6detail17trampoline_kernelINS0_14default_configENS1_25partition_config_selectorILNS1_17partition_subalgoE8EiNS0_10empty_typeEbEEZZNS1_14partition_implILS5_8ELb0ES3_jPKiPS6_PKS6_NS0_5tupleIJPiS6_EEENSE_IJSB_SB_EEENS0_18inequality_wrapperIN6hipcub16HIPCUB_304000_NS8EqualityEEEPlJS6_EEE10hipError_tPvRmT3_T4_T5_T6_T7_T9_mT8_P12ihipStream_tbDpT10_ENKUlT_T0_E_clISt17integral_constantIbLb1EES17_EEDaS12_S13_EUlS12_E_NS1_11comp_targetILNS1_3genE8ELNS1_11target_archE1030ELNS1_3gpuE2ELNS1_3repE0EEENS1_30default_config_static_selectorELNS0_4arch9wavefront6targetE0EEEvT1_.private_seg_size, 0
	.set _ZN7rocprim17ROCPRIM_400000_NS6detail17trampoline_kernelINS0_14default_configENS1_25partition_config_selectorILNS1_17partition_subalgoE8EiNS0_10empty_typeEbEEZZNS1_14partition_implILS5_8ELb0ES3_jPKiPS6_PKS6_NS0_5tupleIJPiS6_EEENSE_IJSB_SB_EEENS0_18inequality_wrapperIN6hipcub16HIPCUB_304000_NS8EqualityEEEPlJS6_EEE10hipError_tPvRmT3_T4_T5_T6_T7_T9_mT8_P12ihipStream_tbDpT10_ENKUlT_T0_E_clISt17integral_constantIbLb1EES17_EEDaS12_S13_EUlS12_E_NS1_11comp_targetILNS1_3genE8ELNS1_11target_archE1030ELNS1_3gpuE2ELNS1_3repE0EEENS1_30default_config_static_selectorELNS0_4arch9wavefront6targetE0EEEvT1_.uses_vcc, 0
	.set _ZN7rocprim17ROCPRIM_400000_NS6detail17trampoline_kernelINS0_14default_configENS1_25partition_config_selectorILNS1_17partition_subalgoE8EiNS0_10empty_typeEbEEZZNS1_14partition_implILS5_8ELb0ES3_jPKiPS6_PKS6_NS0_5tupleIJPiS6_EEENSE_IJSB_SB_EEENS0_18inequality_wrapperIN6hipcub16HIPCUB_304000_NS8EqualityEEEPlJS6_EEE10hipError_tPvRmT3_T4_T5_T6_T7_T9_mT8_P12ihipStream_tbDpT10_ENKUlT_T0_E_clISt17integral_constantIbLb1EES17_EEDaS12_S13_EUlS12_E_NS1_11comp_targetILNS1_3genE8ELNS1_11target_archE1030ELNS1_3gpuE2ELNS1_3repE0EEENS1_30default_config_static_selectorELNS0_4arch9wavefront6targetE0EEEvT1_.uses_flat_scratch, 0
	.set _ZN7rocprim17ROCPRIM_400000_NS6detail17trampoline_kernelINS0_14default_configENS1_25partition_config_selectorILNS1_17partition_subalgoE8EiNS0_10empty_typeEbEEZZNS1_14partition_implILS5_8ELb0ES3_jPKiPS6_PKS6_NS0_5tupleIJPiS6_EEENSE_IJSB_SB_EEENS0_18inequality_wrapperIN6hipcub16HIPCUB_304000_NS8EqualityEEEPlJS6_EEE10hipError_tPvRmT3_T4_T5_T6_T7_T9_mT8_P12ihipStream_tbDpT10_ENKUlT_T0_E_clISt17integral_constantIbLb1EES17_EEDaS12_S13_EUlS12_E_NS1_11comp_targetILNS1_3genE8ELNS1_11target_archE1030ELNS1_3gpuE2ELNS1_3repE0EEENS1_30default_config_static_selectorELNS0_4arch9wavefront6targetE0EEEvT1_.has_dyn_sized_stack, 0
	.set _ZN7rocprim17ROCPRIM_400000_NS6detail17trampoline_kernelINS0_14default_configENS1_25partition_config_selectorILNS1_17partition_subalgoE8EiNS0_10empty_typeEbEEZZNS1_14partition_implILS5_8ELb0ES3_jPKiPS6_PKS6_NS0_5tupleIJPiS6_EEENSE_IJSB_SB_EEENS0_18inequality_wrapperIN6hipcub16HIPCUB_304000_NS8EqualityEEEPlJS6_EEE10hipError_tPvRmT3_T4_T5_T6_T7_T9_mT8_P12ihipStream_tbDpT10_ENKUlT_T0_E_clISt17integral_constantIbLb1EES17_EEDaS12_S13_EUlS12_E_NS1_11comp_targetILNS1_3genE8ELNS1_11target_archE1030ELNS1_3gpuE2ELNS1_3repE0EEENS1_30default_config_static_selectorELNS0_4arch9wavefront6targetE0EEEvT1_.has_recursion, 0
	.set _ZN7rocprim17ROCPRIM_400000_NS6detail17trampoline_kernelINS0_14default_configENS1_25partition_config_selectorILNS1_17partition_subalgoE8EiNS0_10empty_typeEbEEZZNS1_14partition_implILS5_8ELb0ES3_jPKiPS6_PKS6_NS0_5tupleIJPiS6_EEENSE_IJSB_SB_EEENS0_18inequality_wrapperIN6hipcub16HIPCUB_304000_NS8EqualityEEEPlJS6_EEE10hipError_tPvRmT3_T4_T5_T6_T7_T9_mT8_P12ihipStream_tbDpT10_ENKUlT_T0_E_clISt17integral_constantIbLb1EES17_EEDaS12_S13_EUlS12_E_NS1_11comp_targetILNS1_3genE8ELNS1_11target_archE1030ELNS1_3gpuE2ELNS1_3repE0EEENS1_30default_config_static_selectorELNS0_4arch9wavefront6targetE0EEEvT1_.has_indirect_call, 0
	.section	.AMDGPU.csdata,"",@progbits
; Kernel info:
; codeLenInByte = 4
; TotalNumSgprs: 0
; NumVgprs: 0
; ScratchSize: 0
; MemoryBound: 0
; FloatMode: 240
; IeeeMode: 1
; LDSByteSize: 0 bytes/workgroup (compile time only)
; SGPRBlocks: 0
; VGPRBlocks: 0
; NumSGPRsForWavesPerEU: 1
; NumVGPRsForWavesPerEU: 1
; Occupancy: 16
; WaveLimiterHint : 0
; COMPUTE_PGM_RSRC2:SCRATCH_EN: 0
; COMPUTE_PGM_RSRC2:USER_SGPR: 6
; COMPUTE_PGM_RSRC2:TRAP_HANDLER: 0
; COMPUTE_PGM_RSRC2:TGID_X_EN: 1
; COMPUTE_PGM_RSRC2:TGID_Y_EN: 0
; COMPUTE_PGM_RSRC2:TGID_Z_EN: 0
; COMPUTE_PGM_RSRC2:TIDIG_COMP_CNT: 0
	.section	.text._ZN7rocprim17ROCPRIM_400000_NS6detail31init_lookback_scan_state_kernelINS1_19lookback_scan_stateIjLb1ELb1EEENS1_16block_id_wrapperIjLb0EEEEEvT_jT0_jPNS7_10value_typeE,"axG",@progbits,_ZN7rocprim17ROCPRIM_400000_NS6detail31init_lookback_scan_state_kernelINS1_19lookback_scan_stateIjLb1ELb1EEENS1_16block_id_wrapperIjLb0EEEEEvT_jT0_jPNS7_10value_typeE,comdat
	.protected	_ZN7rocprim17ROCPRIM_400000_NS6detail31init_lookback_scan_state_kernelINS1_19lookback_scan_stateIjLb1ELb1EEENS1_16block_id_wrapperIjLb0EEEEEvT_jT0_jPNS7_10value_typeE ; -- Begin function _ZN7rocprim17ROCPRIM_400000_NS6detail31init_lookback_scan_state_kernelINS1_19lookback_scan_stateIjLb1ELb1EEENS1_16block_id_wrapperIjLb0EEEEEvT_jT0_jPNS7_10value_typeE
	.globl	_ZN7rocprim17ROCPRIM_400000_NS6detail31init_lookback_scan_state_kernelINS1_19lookback_scan_stateIjLb1ELb1EEENS1_16block_id_wrapperIjLb0EEEEEvT_jT0_jPNS7_10value_typeE
	.p2align	8
	.type	_ZN7rocprim17ROCPRIM_400000_NS6detail31init_lookback_scan_state_kernelINS1_19lookback_scan_stateIjLb1ELb1EEENS1_16block_id_wrapperIjLb0EEEEEvT_jT0_jPNS7_10value_typeE,@function
_ZN7rocprim17ROCPRIM_400000_NS6detail31init_lookback_scan_state_kernelINS1_19lookback_scan_stateIjLb1ELb1EEENS1_16block_id_wrapperIjLb0EEEEEvT_jT0_jPNS7_10value_typeE: ; @_ZN7rocprim17ROCPRIM_400000_NS6detail31init_lookback_scan_state_kernelINS1_19lookback_scan_stateIjLb1ELb1EEENS1_16block_id_wrapperIjLb0EEEEEvT_jT0_jPNS7_10value_typeE
; %bb.0:
	s_clause 0x3
	s_load_dword s8, s[4:5], 0x2c
	s_load_dwordx2 s[2:3], s[4:5], 0x18
	s_load_dwordx2 s[0:1], s[4:5], 0x0
	s_load_dword s7, s[4:5], 0x8
	s_waitcnt lgkmcnt(0)
	s_and_b32 s8, s8, 0xffff
	s_cmp_eq_u64 s[2:3], 0
	v_mad_u64_u32 v[0:1], null, s6, s8, v[0:1]
	s_cbranch_scc1 .LBB203_9
; %bb.1:
	s_load_dword s4, s[4:5], 0x10
	s_waitcnt lgkmcnt(0)
	s_cmp_lt_u32 s4, s7
	s_cselect_b32 s5, s4, 0
	v_cmp_eq_u32_e32 vcc_lo, s5, v0
	s_mov_b32 s5, 0
	s_and_saveexec_b32 s6, vcc_lo
	s_cbranch_execz .LBB203_8
; %bb.2:
	s_add_i32 s4, s4, 32
	v_mov_b32_e32 v1, 0
	s_lshl_b64 s[4:5], s[4:5], 3
	s_add_u32 s4, s0, s4
	s_addc_u32 s5, s1, s5
	global_load_dwordx2 v[3:4], v1, s[4:5] glc dlc
	s_waitcnt vmcnt(0)
	v_and_b32_e32 v2, 0xff, v4
	v_cmp_ne_u64_e32 vcc_lo, 0, v[1:2]
	s_cbranch_vccnz .LBB203_7
; %bb.3:
	s_mov_b32 s8, 1
.LBB203_4:                              ; =>This Loop Header: Depth=1
                                        ;     Child Loop BB203_5 Depth 2
	s_mov_b32 s9, s8
.LBB203_5:                              ;   Parent Loop BB203_4 Depth=1
                                        ; =>  This Inner Loop Header: Depth=2
	s_add_i32 s9, s9, -1
	s_sleep 1
	s_cmp_eq_u32 s9, 0
	s_cbranch_scc0 .LBB203_5
; %bb.6:                                ;   in Loop: Header=BB203_4 Depth=1
	global_load_dwordx2 v[3:4], v1, s[4:5] glc dlc
	s_cmp_lt_u32 s8, 32
	s_cselect_b32 s9, -1, 0
	s_cmp_lg_u32 s9, 0
	s_addc_u32 s8, s8, 0
	s_waitcnt vmcnt(0)
	v_and_b32_e32 v2, 0xff, v4
	v_cmp_ne_u64_e32 vcc_lo, 0, v[1:2]
	s_cbranch_vccz .LBB203_4
.LBB203_7:
	v_mov_b32_e32 v1, 0
	global_store_dword v1, v3, s[2:3]
.LBB203_8:
	s_or_b32 exec_lo, exec_lo, s6
.LBB203_9:
	s_mov_b32 s2, exec_lo
	v_cmpx_gt_u32_e64 s7, v0
	s_cbranch_execz .LBB203_11
; %bb.10:
	v_add_nc_u32_e32 v1, 32, v0
	v_mov_b32_e32 v2, 0
	v_lshlrev_b64 v[3:4], 3, v[1:2]
	v_mov_b32_e32 v1, v2
	v_add_co_u32 v3, vcc_lo, s0, v3
	v_add_co_ci_u32_e64 v4, null, s1, v4, vcc_lo
	global_store_dwordx2 v[3:4], v[1:2], off
.LBB203_11:
	s_or_b32 exec_lo, exec_lo, s2
	s_mov_b32 s2, exec_lo
	v_cmpx_gt_u32_e32 32, v0
	s_cbranch_execz .LBB203_13
; %bb.12:
	v_mov_b32_e32 v1, 0
	v_mov_b32_e32 v4, 0xff
	v_lshlrev_b64 v[2:3], 3, v[0:1]
	v_add_co_u32 v5, vcc_lo, s0, v2
	v_add_co_ci_u32_e64 v6, null, s1, v3, vcc_lo
	v_mov_b32_e32 v3, v1
	global_store_dwordx2 v[5:6], v[3:4], off
.LBB203_13:
	s_endpgm
	.section	.rodata,"a",@progbits
	.p2align	6, 0x0
	.amdhsa_kernel _ZN7rocprim17ROCPRIM_400000_NS6detail31init_lookback_scan_state_kernelINS1_19lookback_scan_stateIjLb1ELb1EEENS1_16block_id_wrapperIjLb0EEEEEvT_jT0_jPNS7_10value_typeE
		.amdhsa_group_segment_fixed_size 0
		.amdhsa_private_segment_fixed_size 0
		.amdhsa_kernarg_size 288
		.amdhsa_user_sgpr_count 6
		.amdhsa_user_sgpr_private_segment_buffer 1
		.amdhsa_user_sgpr_dispatch_ptr 0
		.amdhsa_user_sgpr_queue_ptr 0
		.amdhsa_user_sgpr_kernarg_segment_ptr 1
		.amdhsa_user_sgpr_dispatch_id 0
		.amdhsa_user_sgpr_flat_scratch_init 0
		.amdhsa_user_sgpr_private_segment_size 0
		.amdhsa_wavefront_size32 1
		.amdhsa_uses_dynamic_stack 0
		.amdhsa_system_sgpr_private_segment_wavefront_offset 0
		.amdhsa_system_sgpr_workgroup_id_x 1
		.amdhsa_system_sgpr_workgroup_id_y 0
		.amdhsa_system_sgpr_workgroup_id_z 0
		.amdhsa_system_sgpr_workgroup_info 0
		.amdhsa_system_vgpr_workitem_id 0
		.amdhsa_next_free_vgpr 7
		.amdhsa_next_free_sgpr 10
		.amdhsa_reserve_vcc 1
		.amdhsa_reserve_flat_scratch 0
		.amdhsa_float_round_mode_32 0
		.amdhsa_float_round_mode_16_64 0
		.amdhsa_float_denorm_mode_32 3
		.amdhsa_float_denorm_mode_16_64 3
		.amdhsa_dx10_clamp 1
		.amdhsa_ieee_mode 1
		.amdhsa_fp16_overflow 0
		.amdhsa_workgroup_processor_mode 1
		.amdhsa_memory_ordered 1
		.amdhsa_forward_progress 1
		.amdhsa_shared_vgpr_count 0
		.amdhsa_exception_fp_ieee_invalid_op 0
		.amdhsa_exception_fp_denorm_src 0
		.amdhsa_exception_fp_ieee_div_zero 0
		.amdhsa_exception_fp_ieee_overflow 0
		.amdhsa_exception_fp_ieee_underflow 0
		.amdhsa_exception_fp_ieee_inexact 0
		.amdhsa_exception_int_div_zero 0
	.end_amdhsa_kernel
	.section	.text._ZN7rocprim17ROCPRIM_400000_NS6detail31init_lookback_scan_state_kernelINS1_19lookback_scan_stateIjLb1ELb1EEENS1_16block_id_wrapperIjLb0EEEEEvT_jT0_jPNS7_10value_typeE,"axG",@progbits,_ZN7rocprim17ROCPRIM_400000_NS6detail31init_lookback_scan_state_kernelINS1_19lookback_scan_stateIjLb1ELb1EEENS1_16block_id_wrapperIjLb0EEEEEvT_jT0_jPNS7_10value_typeE,comdat
.Lfunc_end203:
	.size	_ZN7rocprim17ROCPRIM_400000_NS6detail31init_lookback_scan_state_kernelINS1_19lookback_scan_stateIjLb1ELb1EEENS1_16block_id_wrapperIjLb0EEEEEvT_jT0_jPNS7_10value_typeE, .Lfunc_end203-_ZN7rocprim17ROCPRIM_400000_NS6detail31init_lookback_scan_state_kernelINS1_19lookback_scan_stateIjLb1ELb1EEENS1_16block_id_wrapperIjLb0EEEEEvT_jT0_jPNS7_10value_typeE
                                        ; -- End function
	.set _ZN7rocprim17ROCPRIM_400000_NS6detail31init_lookback_scan_state_kernelINS1_19lookback_scan_stateIjLb1ELb1EEENS1_16block_id_wrapperIjLb0EEEEEvT_jT0_jPNS7_10value_typeE.num_vgpr, 7
	.set _ZN7rocprim17ROCPRIM_400000_NS6detail31init_lookback_scan_state_kernelINS1_19lookback_scan_stateIjLb1ELb1EEENS1_16block_id_wrapperIjLb0EEEEEvT_jT0_jPNS7_10value_typeE.num_agpr, 0
	.set _ZN7rocprim17ROCPRIM_400000_NS6detail31init_lookback_scan_state_kernelINS1_19lookback_scan_stateIjLb1ELb1EEENS1_16block_id_wrapperIjLb0EEEEEvT_jT0_jPNS7_10value_typeE.numbered_sgpr, 10
	.set _ZN7rocprim17ROCPRIM_400000_NS6detail31init_lookback_scan_state_kernelINS1_19lookback_scan_stateIjLb1ELb1EEENS1_16block_id_wrapperIjLb0EEEEEvT_jT0_jPNS7_10value_typeE.num_named_barrier, 0
	.set _ZN7rocprim17ROCPRIM_400000_NS6detail31init_lookback_scan_state_kernelINS1_19lookback_scan_stateIjLb1ELb1EEENS1_16block_id_wrapperIjLb0EEEEEvT_jT0_jPNS7_10value_typeE.private_seg_size, 0
	.set _ZN7rocprim17ROCPRIM_400000_NS6detail31init_lookback_scan_state_kernelINS1_19lookback_scan_stateIjLb1ELb1EEENS1_16block_id_wrapperIjLb0EEEEEvT_jT0_jPNS7_10value_typeE.uses_vcc, 1
	.set _ZN7rocprim17ROCPRIM_400000_NS6detail31init_lookback_scan_state_kernelINS1_19lookback_scan_stateIjLb1ELb1EEENS1_16block_id_wrapperIjLb0EEEEEvT_jT0_jPNS7_10value_typeE.uses_flat_scratch, 0
	.set _ZN7rocprim17ROCPRIM_400000_NS6detail31init_lookback_scan_state_kernelINS1_19lookback_scan_stateIjLb1ELb1EEENS1_16block_id_wrapperIjLb0EEEEEvT_jT0_jPNS7_10value_typeE.has_dyn_sized_stack, 0
	.set _ZN7rocprim17ROCPRIM_400000_NS6detail31init_lookback_scan_state_kernelINS1_19lookback_scan_stateIjLb1ELb1EEENS1_16block_id_wrapperIjLb0EEEEEvT_jT0_jPNS7_10value_typeE.has_recursion, 0
	.set _ZN7rocprim17ROCPRIM_400000_NS6detail31init_lookback_scan_state_kernelINS1_19lookback_scan_stateIjLb1ELb1EEENS1_16block_id_wrapperIjLb0EEEEEvT_jT0_jPNS7_10value_typeE.has_indirect_call, 0
	.section	.AMDGPU.csdata,"",@progbits
; Kernel info:
; codeLenInByte = 360
; TotalNumSgprs: 12
; NumVgprs: 7
; ScratchSize: 0
; MemoryBound: 0
; FloatMode: 240
; IeeeMode: 1
; LDSByteSize: 0 bytes/workgroup (compile time only)
; SGPRBlocks: 0
; VGPRBlocks: 0
; NumSGPRsForWavesPerEU: 12
; NumVGPRsForWavesPerEU: 7
; Occupancy: 16
; WaveLimiterHint : 0
; COMPUTE_PGM_RSRC2:SCRATCH_EN: 0
; COMPUTE_PGM_RSRC2:USER_SGPR: 6
; COMPUTE_PGM_RSRC2:TRAP_HANDLER: 0
; COMPUTE_PGM_RSRC2:TGID_X_EN: 1
; COMPUTE_PGM_RSRC2:TGID_Y_EN: 0
; COMPUTE_PGM_RSRC2:TGID_Z_EN: 0
; COMPUTE_PGM_RSRC2:TIDIG_COMP_CNT: 0
	.section	.text._ZN7rocprim17ROCPRIM_400000_NS6detail17trampoline_kernelINS0_14default_configENS1_25partition_config_selectorILNS1_17partition_subalgoE8EiNS0_10empty_typeEbEEZZNS1_14partition_implILS5_8ELb0ES3_jPKiPS6_PKS6_NS0_5tupleIJPiS6_EEENSE_IJSB_SB_EEENS0_18inequality_wrapperIN6hipcub16HIPCUB_304000_NS8EqualityEEEPlJS6_EEE10hipError_tPvRmT3_T4_T5_T6_T7_T9_mT8_P12ihipStream_tbDpT10_ENKUlT_T0_E_clISt17integral_constantIbLb1EES16_IbLb0EEEEDaS12_S13_EUlS12_E_NS1_11comp_targetILNS1_3genE0ELNS1_11target_archE4294967295ELNS1_3gpuE0ELNS1_3repE0EEENS1_30default_config_static_selectorELNS0_4arch9wavefront6targetE0EEEvT1_,"axG",@progbits,_ZN7rocprim17ROCPRIM_400000_NS6detail17trampoline_kernelINS0_14default_configENS1_25partition_config_selectorILNS1_17partition_subalgoE8EiNS0_10empty_typeEbEEZZNS1_14partition_implILS5_8ELb0ES3_jPKiPS6_PKS6_NS0_5tupleIJPiS6_EEENSE_IJSB_SB_EEENS0_18inequality_wrapperIN6hipcub16HIPCUB_304000_NS8EqualityEEEPlJS6_EEE10hipError_tPvRmT3_T4_T5_T6_T7_T9_mT8_P12ihipStream_tbDpT10_ENKUlT_T0_E_clISt17integral_constantIbLb1EES16_IbLb0EEEEDaS12_S13_EUlS12_E_NS1_11comp_targetILNS1_3genE0ELNS1_11target_archE4294967295ELNS1_3gpuE0ELNS1_3repE0EEENS1_30default_config_static_selectorELNS0_4arch9wavefront6targetE0EEEvT1_,comdat
	.protected	_ZN7rocprim17ROCPRIM_400000_NS6detail17trampoline_kernelINS0_14default_configENS1_25partition_config_selectorILNS1_17partition_subalgoE8EiNS0_10empty_typeEbEEZZNS1_14partition_implILS5_8ELb0ES3_jPKiPS6_PKS6_NS0_5tupleIJPiS6_EEENSE_IJSB_SB_EEENS0_18inequality_wrapperIN6hipcub16HIPCUB_304000_NS8EqualityEEEPlJS6_EEE10hipError_tPvRmT3_T4_T5_T6_T7_T9_mT8_P12ihipStream_tbDpT10_ENKUlT_T0_E_clISt17integral_constantIbLb1EES16_IbLb0EEEEDaS12_S13_EUlS12_E_NS1_11comp_targetILNS1_3genE0ELNS1_11target_archE4294967295ELNS1_3gpuE0ELNS1_3repE0EEENS1_30default_config_static_selectorELNS0_4arch9wavefront6targetE0EEEvT1_ ; -- Begin function _ZN7rocprim17ROCPRIM_400000_NS6detail17trampoline_kernelINS0_14default_configENS1_25partition_config_selectorILNS1_17partition_subalgoE8EiNS0_10empty_typeEbEEZZNS1_14partition_implILS5_8ELb0ES3_jPKiPS6_PKS6_NS0_5tupleIJPiS6_EEENSE_IJSB_SB_EEENS0_18inequality_wrapperIN6hipcub16HIPCUB_304000_NS8EqualityEEEPlJS6_EEE10hipError_tPvRmT3_T4_T5_T6_T7_T9_mT8_P12ihipStream_tbDpT10_ENKUlT_T0_E_clISt17integral_constantIbLb1EES16_IbLb0EEEEDaS12_S13_EUlS12_E_NS1_11comp_targetILNS1_3genE0ELNS1_11target_archE4294967295ELNS1_3gpuE0ELNS1_3repE0EEENS1_30default_config_static_selectorELNS0_4arch9wavefront6targetE0EEEvT1_
	.globl	_ZN7rocprim17ROCPRIM_400000_NS6detail17trampoline_kernelINS0_14default_configENS1_25partition_config_selectorILNS1_17partition_subalgoE8EiNS0_10empty_typeEbEEZZNS1_14partition_implILS5_8ELb0ES3_jPKiPS6_PKS6_NS0_5tupleIJPiS6_EEENSE_IJSB_SB_EEENS0_18inequality_wrapperIN6hipcub16HIPCUB_304000_NS8EqualityEEEPlJS6_EEE10hipError_tPvRmT3_T4_T5_T6_T7_T9_mT8_P12ihipStream_tbDpT10_ENKUlT_T0_E_clISt17integral_constantIbLb1EES16_IbLb0EEEEDaS12_S13_EUlS12_E_NS1_11comp_targetILNS1_3genE0ELNS1_11target_archE4294967295ELNS1_3gpuE0ELNS1_3repE0EEENS1_30default_config_static_selectorELNS0_4arch9wavefront6targetE0EEEvT1_
	.p2align	8
	.type	_ZN7rocprim17ROCPRIM_400000_NS6detail17trampoline_kernelINS0_14default_configENS1_25partition_config_selectorILNS1_17partition_subalgoE8EiNS0_10empty_typeEbEEZZNS1_14partition_implILS5_8ELb0ES3_jPKiPS6_PKS6_NS0_5tupleIJPiS6_EEENSE_IJSB_SB_EEENS0_18inequality_wrapperIN6hipcub16HIPCUB_304000_NS8EqualityEEEPlJS6_EEE10hipError_tPvRmT3_T4_T5_T6_T7_T9_mT8_P12ihipStream_tbDpT10_ENKUlT_T0_E_clISt17integral_constantIbLb1EES16_IbLb0EEEEDaS12_S13_EUlS12_E_NS1_11comp_targetILNS1_3genE0ELNS1_11target_archE4294967295ELNS1_3gpuE0ELNS1_3repE0EEENS1_30default_config_static_selectorELNS0_4arch9wavefront6targetE0EEEvT1_,@function
_ZN7rocprim17ROCPRIM_400000_NS6detail17trampoline_kernelINS0_14default_configENS1_25partition_config_selectorILNS1_17partition_subalgoE8EiNS0_10empty_typeEbEEZZNS1_14partition_implILS5_8ELb0ES3_jPKiPS6_PKS6_NS0_5tupleIJPiS6_EEENSE_IJSB_SB_EEENS0_18inequality_wrapperIN6hipcub16HIPCUB_304000_NS8EqualityEEEPlJS6_EEE10hipError_tPvRmT3_T4_T5_T6_T7_T9_mT8_P12ihipStream_tbDpT10_ENKUlT_T0_E_clISt17integral_constantIbLb1EES16_IbLb0EEEEDaS12_S13_EUlS12_E_NS1_11comp_targetILNS1_3genE0ELNS1_11target_archE4294967295ELNS1_3gpuE0ELNS1_3repE0EEENS1_30default_config_static_selectorELNS0_4arch9wavefront6targetE0EEEvT1_: ; @_ZN7rocprim17ROCPRIM_400000_NS6detail17trampoline_kernelINS0_14default_configENS1_25partition_config_selectorILNS1_17partition_subalgoE8EiNS0_10empty_typeEbEEZZNS1_14partition_implILS5_8ELb0ES3_jPKiPS6_PKS6_NS0_5tupleIJPiS6_EEENSE_IJSB_SB_EEENS0_18inequality_wrapperIN6hipcub16HIPCUB_304000_NS8EqualityEEEPlJS6_EEE10hipError_tPvRmT3_T4_T5_T6_T7_T9_mT8_P12ihipStream_tbDpT10_ENKUlT_T0_E_clISt17integral_constantIbLb1EES16_IbLb0EEEEDaS12_S13_EUlS12_E_NS1_11comp_targetILNS1_3genE0ELNS1_11target_archE4294967295ELNS1_3gpuE0ELNS1_3repE0EEENS1_30default_config_static_selectorELNS0_4arch9wavefront6targetE0EEEvT1_
; %bb.0:
	.section	.rodata,"a",@progbits
	.p2align	6, 0x0
	.amdhsa_kernel _ZN7rocprim17ROCPRIM_400000_NS6detail17trampoline_kernelINS0_14default_configENS1_25partition_config_selectorILNS1_17partition_subalgoE8EiNS0_10empty_typeEbEEZZNS1_14partition_implILS5_8ELb0ES3_jPKiPS6_PKS6_NS0_5tupleIJPiS6_EEENSE_IJSB_SB_EEENS0_18inequality_wrapperIN6hipcub16HIPCUB_304000_NS8EqualityEEEPlJS6_EEE10hipError_tPvRmT3_T4_T5_T6_T7_T9_mT8_P12ihipStream_tbDpT10_ENKUlT_T0_E_clISt17integral_constantIbLb1EES16_IbLb0EEEEDaS12_S13_EUlS12_E_NS1_11comp_targetILNS1_3genE0ELNS1_11target_archE4294967295ELNS1_3gpuE0ELNS1_3repE0EEENS1_30default_config_static_selectorELNS0_4arch9wavefront6targetE0EEEvT1_
		.amdhsa_group_segment_fixed_size 0
		.amdhsa_private_segment_fixed_size 0
		.amdhsa_kernarg_size 112
		.amdhsa_user_sgpr_count 6
		.amdhsa_user_sgpr_private_segment_buffer 1
		.amdhsa_user_sgpr_dispatch_ptr 0
		.amdhsa_user_sgpr_queue_ptr 0
		.amdhsa_user_sgpr_kernarg_segment_ptr 1
		.amdhsa_user_sgpr_dispatch_id 0
		.amdhsa_user_sgpr_flat_scratch_init 0
		.amdhsa_user_sgpr_private_segment_size 0
		.amdhsa_wavefront_size32 1
		.amdhsa_uses_dynamic_stack 0
		.amdhsa_system_sgpr_private_segment_wavefront_offset 0
		.amdhsa_system_sgpr_workgroup_id_x 1
		.amdhsa_system_sgpr_workgroup_id_y 0
		.amdhsa_system_sgpr_workgroup_id_z 0
		.amdhsa_system_sgpr_workgroup_info 0
		.amdhsa_system_vgpr_workitem_id 0
		.amdhsa_next_free_vgpr 1
		.amdhsa_next_free_sgpr 1
		.amdhsa_reserve_vcc 0
		.amdhsa_reserve_flat_scratch 0
		.amdhsa_float_round_mode_32 0
		.amdhsa_float_round_mode_16_64 0
		.amdhsa_float_denorm_mode_32 3
		.amdhsa_float_denorm_mode_16_64 3
		.amdhsa_dx10_clamp 1
		.amdhsa_ieee_mode 1
		.amdhsa_fp16_overflow 0
		.amdhsa_workgroup_processor_mode 1
		.amdhsa_memory_ordered 1
		.amdhsa_forward_progress 1
		.amdhsa_shared_vgpr_count 0
		.amdhsa_exception_fp_ieee_invalid_op 0
		.amdhsa_exception_fp_denorm_src 0
		.amdhsa_exception_fp_ieee_div_zero 0
		.amdhsa_exception_fp_ieee_overflow 0
		.amdhsa_exception_fp_ieee_underflow 0
		.amdhsa_exception_fp_ieee_inexact 0
		.amdhsa_exception_int_div_zero 0
	.end_amdhsa_kernel
	.section	.text._ZN7rocprim17ROCPRIM_400000_NS6detail17trampoline_kernelINS0_14default_configENS1_25partition_config_selectorILNS1_17partition_subalgoE8EiNS0_10empty_typeEbEEZZNS1_14partition_implILS5_8ELb0ES3_jPKiPS6_PKS6_NS0_5tupleIJPiS6_EEENSE_IJSB_SB_EEENS0_18inequality_wrapperIN6hipcub16HIPCUB_304000_NS8EqualityEEEPlJS6_EEE10hipError_tPvRmT3_T4_T5_T6_T7_T9_mT8_P12ihipStream_tbDpT10_ENKUlT_T0_E_clISt17integral_constantIbLb1EES16_IbLb0EEEEDaS12_S13_EUlS12_E_NS1_11comp_targetILNS1_3genE0ELNS1_11target_archE4294967295ELNS1_3gpuE0ELNS1_3repE0EEENS1_30default_config_static_selectorELNS0_4arch9wavefront6targetE0EEEvT1_,"axG",@progbits,_ZN7rocprim17ROCPRIM_400000_NS6detail17trampoline_kernelINS0_14default_configENS1_25partition_config_selectorILNS1_17partition_subalgoE8EiNS0_10empty_typeEbEEZZNS1_14partition_implILS5_8ELb0ES3_jPKiPS6_PKS6_NS0_5tupleIJPiS6_EEENSE_IJSB_SB_EEENS0_18inequality_wrapperIN6hipcub16HIPCUB_304000_NS8EqualityEEEPlJS6_EEE10hipError_tPvRmT3_T4_T5_T6_T7_T9_mT8_P12ihipStream_tbDpT10_ENKUlT_T0_E_clISt17integral_constantIbLb1EES16_IbLb0EEEEDaS12_S13_EUlS12_E_NS1_11comp_targetILNS1_3genE0ELNS1_11target_archE4294967295ELNS1_3gpuE0ELNS1_3repE0EEENS1_30default_config_static_selectorELNS0_4arch9wavefront6targetE0EEEvT1_,comdat
.Lfunc_end204:
	.size	_ZN7rocprim17ROCPRIM_400000_NS6detail17trampoline_kernelINS0_14default_configENS1_25partition_config_selectorILNS1_17partition_subalgoE8EiNS0_10empty_typeEbEEZZNS1_14partition_implILS5_8ELb0ES3_jPKiPS6_PKS6_NS0_5tupleIJPiS6_EEENSE_IJSB_SB_EEENS0_18inequality_wrapperIN6hipcub16HIPCUB_304000_NS8EqualityEEEPlJS6_EEE10hipError_tPvRmT3_T4_T5_T6_T7_T9_mT8_P12ihipStream_tbDpT10_ENKUlT_T0_E_clISt17integral_constantIbLb1EES16_IbLb0EEEEDaS12_S13_EUlS12_E_NS1_11comp_targetILNS1_3genE0ELNS1_11target_archE4294967295ELNS1_3gpuE0ELNS1_3repE0EEENS1_30default_config_static_selectorELNS0_4arch9wavefront6targetE0EEEvT1_, .Lfunc_end204-_ZN7rocprim17ROCPRIM_400000_NS6detail17trampoline_kernelINS0_14default_configENS1_25partition_config_selectorILNS1_17partition_subalgoE8EiNS0_10empty_typeEbEEZZNS1_14partition_implILS5_8ELb0ES3_jPKiPS6_PKS6_NS0_5tupleIJPiS6_EEENSE_IJSB_SB_EEENS0_18inequality_wrapperIN6hipcub16HIPCUB_304000_NS8EqualityEEEPlJS6_EEE10hipError_tPvRmT3_T4_T5_T6_T7_T9_mT8_P12ihipStream_tbDpT10_ENKUlT_T0_E_clISt17integral_constantIbLb1EES16_IbLb0EEEEDaS12_S13_EUlS12_E_NS1_11comp_targetILNS1_3genE0ELNS1_11target_archE4294967295ELNS1_3gpuE0ELNS1_3repE0EEENS1_30default_config_static_selectorELNS0_4arch9wavefront6targetE0EEEvT1_
                                        ; -- End function
	.set _ZN7rocprim17ROCPRIM_400000_NS6detail17trampoline_kernelINS0_14default_configENS1_25partition_config_selectorILNS1_17partition_subalgoE8EiNS0_10empty_typeEbEEZZNS1_14partition_implILS5_8ELb0ES3_jPKiPS6_PKS6_NS0_5tupleIJPiS6_EEENSE_IJSB_SB_EEENS0_18inequality_wrapperIN6hipcub16HIPCUB_304000_NS8EqualityEEEPlJS6_EEE10hipError_tPvRmT3_T4_T5_T6_T7_T9_mT8_P12ihipStream_tbDpT10_ENKUlT_T0_E_clISt17integral_constantIbLb1EES16_IbLb0EEEEDaS12_S13_EUlS12_E_NS1_11comp_targetILNS1_3genE0ELNS1_11target_archE4294967295ELNS1_3gpuE0ELNS1_3repE0EEENS1_30default_config_static_selectorELNS0_4arch9wavefront6targetE0EEEvT1_.num_vgpr, 0
	.set _ZN7rocprim17ROCPRIM_400000_NS6detail17trampoline_kernelINS0_14default_configENS1_25partition_config_selectorILNS1_17partition_subalgoE8EiNS0_10empty_typeEbEEZZNS1_14partition_implILS5_8ELb0ES3_jPKiPS6_PKS6_NS0_5tupleIJPiS6_EEENSE_IJSB_SB_EEENS0_18inequality_wrapperIN6hipcub16HIPCUB_304000_NS8EqualityEEEPlJS6_EEE10hipError_tPvRmT3_T4_T5_T6_T7_T9_mT8_P12ihipStream_tbDpT10_ENKUlT_T0_E_clISt17integral_constantIbLb1EES16_IbLb0EEEEDaS12_S13_EUlS12_E_NS1_11comp_targetILNS1_3genE0ELNS1_11target_archE4294967295ELNS1_3gpuE0ELNS1_3repE0EEENS1_30default_config_static_selectorELNS0_4arch9wavefront6targetE0EEEvT1_.num_agpr, 0
	.set _ZN7rocprim17ROCPRIM_400000_NS6detail17trampoline_kernelINS0_14default_configENS1_25partition_config_selectorILNS1_17partition_subalgoE8EiNS0_10empty_typeEbEEZZNS1_14partition_implILS5_8ELb0ES3_jPKiPS6_PKS6_NS0_5tupleIJPiS6_EEENSE_IJSB_SB_EEENS0_18inequality_wrapperIN6hipcub16HIPCUB_304000_NS8EqualityEEEPlJS6_EEE10hipError_tPvRmT3_T4_T5_T6_T7_T9_mT8_P12ihipStream_tbDpT10_ENKUlT_T0_E_clISt17integral_constantIbLb1EES16_IbLb0EEEEDaS12_S13_EUlS12_E_NS1_11comp_targetILNS1_3genE0ELNS1_11target_archE4294967295ELNS1_3gpuE0ELNS1_3repE0EEENS1_30default_config_static_selectorELNS0_4arch9wavefront6targetE0EEEvT1_.numbered_sgpr, 0
	.set _ZN7rocprim17ROCPRIM_400000_NS6detail17trampoline_kernelINS0_14default_configENS1_25partition_config_selectorILNS1_17partition_subalgoE8EiNS0_10empty_typeEbEEZZNS1_14partition_implILS5_8ELb0ES3_jPKiPS6_PKS6_NS0_5tupleIJPiS6_EEENSE_IJSB_SB_EEENS0_18inequality_wrapperIN6hipcub16HIPCUB_304000_NS8EqualityEEEPlJS6_EEE10hipError_tPvRmT3_T4_T5_T6_T7_T9_mT8_P12ihipStream_tbDpT10_ENKUlT_T0_E_clISt17integral_constantIbLb1EES16_IbLb0EEEEDaS12_S13_EUlS12_E_NS1_11comp_targetILNS1_3genE0ELNS1_11target_archE4294967295ELNS1_3gpuE0ELNS1_3repE0EEENS1_30default_config_static_selectorELNS0_4arch9wavefront6targetE0EEEvT1_.num_named_barrier, 0
	.set _ZN7rocprim17ROCPRIM_400000_NS6detail17trampoline_kernelINS0_14default_configENS1_25partition_config_selectorILNS1_17partition_subalgoE8EiNS0_10empty_typeEbEEZZNS1_14partition_implILS5_8ELb0ES3_jPKiPS6_PKS6_NS0_5tupleIJPiS6_EEENSE_IJSB_SB_EEENS0_18inequality_wrapperIN6hipcub16HIPCUB_304000_NS8EqualityEEEPlJS6_EEE10hipError_tPvRmT3_T4_T5_T6_T7_T9_mT8_P12ihipStream_tbDpT10_ENKUlT_T0_E_clISt17integral_constantIbLb1EES16_IbLb0EEEEDaS12_S13_EUlS12_E_NS1_11comp_targetILNS1_3genE0ELNS1_11target_archE4294967295ELNS1_3gpuE0ELNS1_3repE0EEENS1_30default_config_static_selectorELNS0_4arch9wavefront6targetE0EEEvT1_.private_seg_size, 0
	.set _ZN7rocprim17ROCPRIM_400000_NS6detail17trampoline_kernelINS0_14default_configENS1_25partition_config_selectorILNS1_17partition_subalgoE8EiNS0_10empty_typeEbEEZZNS1_14partition_implILS5_8ELb0ES3_jPKiPS6_PKS6_NS0_5tupleIJPiS6_EEENSE_IJSB_SB_EEENS0_18inequality_wrapperIN6hipcub16HIPCUB_304000_NS8EqualityEEEPlJS6_EEE10hipError_tPvRmT3_T4_T5_T6_T7_T9_mT8_P12ihipStream_tbDpT10_ENKUlT_T0_E_clISt17integral_constantIbLb1EES16_IbLb0EEEEDaS12_S13_EUlS12_E_NS1_11comp_targetILNS1_3genE0ELNS1_11target_archE4294967295ELNS1_3gpuE0ELNS1_3repE0EEENS1_30default_config_static_selectorELNS0_4arch9wavefront6targetE0EEEvT1_.uses_vcc, 0
	.set _ZN7rocprim17ROCPRIM_400000_NS6detail17trampoline_kernelINS0_14default_configENS1_25partition_config_selectorILNS1_17partition_subalgoE8EiNS0_10empty_typeEbEEZZNS1_14partition_implILS5_8ELb0ES3_jPKiPS6_PKS6_NS0_5tupleIJPiS6_EEENSE_IJSB_SB_EEENS0_18inequality_wrapperIN6hipcub16HIPCUB_304000_NS8EqualityEEEPlJS6_EEE10hipError_tPvRmT3_T4_T5_T6_T7_T9_mT8_P12ihipStream_tbDpT10_ENKUlT_T0_E_clISt17integral_constantIbLb1EES16_IbLb0EEEEDaS12_S13_EUlS12_E_NS1_11comp_targetILNS1_3genE0ELNS1_11target_archE4294967295ELNS1_3gpuE0ELNS1_3repE0EEENS1_30default_config_static_selectorELNS0_4arch9wavefront6targetE0EEEvT1_.uses_flat_scratch, 0
	.set _ZN7rocprim17ROCPRIM_400000_NS6detail17trampoline_kernelINS0_14default_configENS1_25partition_config_selectorILNS1_17partition_subalgoE8EiNS0_10empty_typeEbEEZZNS1_14partition_implILS5_8ELb0ES3_jPKiPS6_PKS6_NS0_5tupleIJPiS6_EEENSE_IJSB_SB_EEENS0_18inequality_wrapperIN6hipcub16HIPCUB_304000_NS8EqualityEEEPlJS6_EEE10hipError_tPvRmT3_T4_T5_T6_T7_T9_mT8_P12ihipStream_tbDpT10_ENKUlT_T0_E_clISt17integral_constantIbLb1EES16_IbLb0EEEEDaS12_S13_EUlS12_E_NS1_11comp_targetILNS1_3genE0ELNS1_11target_archE4294967295ELNS1_3gpuE0ELNS1_3repE0EEENS1_30default_config_static_selectorELNS0_4arch9wavefront6targetE0EEEvT1_.has_dyn_sized_stack, 0
	.set _ZN7rocprim17ROCPRIM_400000_NS6detail17trampoline_kernelINS0_14default_configENS1_25partition_config_selectorILNS1_17partition_subalgoE8EiNS0_10empty_typeEbEEZZNS1_14partition_implILS5_8ELb0ES3_jPKiPS6_PKS6_NS0_5tupleIJPiS6_EEENSE_IJSB_SB_EEENS0_18inequality_wrapperIN6hipcub16HIPCUB_304000_NS8EqualityEEEPlJS6_EEE10hipError_tPvRmT3_T4_T5_T6_T7_T9_mT8_P12ihipStream_tbDpT10_ENKUlT_T0_E_clISt17integral_constantIbLb1EES16_IbLb0EEEEDaS12_S13_EUlS12_E_NS1_11comp_targetILNS1_3genE0ELNS1_11target_archE4294967295ELNS1_3gpuE0ELNS1_3repE0EEENS1_30default_config_static_selectorELNS0_4arch9wavefront6targetE0EEEvT1_.has_recursion, 0
	.set _ZN7rocprim17ROCPRIM_400000_NS6detail17trampoline_kernelINS0_14default_configENS1_25partition_config_selectorILNS1_17partition_subalgoE8EiNS0_10empty_typeEbEEZZNS1_14partition_implILS5_8ELb0ES3_jPKiPS6_PKS6_NS0_5tupleIJPiS6_EEENSE_IJSB_SB_EEENS0_18inequality_wrapperIN6hipcub16HIPCUB_304000_NS8EqualityEEEPlJS6_EEE10hipError_tPvRmT3_T4_T5_T6_T7_T9_mT8_P12ihipStream_tbDpT10_ENKUlT_T0_E_clISt17integral_constantIbLb1EES16_IbLb0EEEEDaS12_S13_EUlS12_E_NS1_11comp_targetILNS1_3genE0ELNS1_11target_archE4294967295ELNS1_3gpuE0ELNS1_3repE0EEENS1_30default_config_static_selectorELNS0_4arch9wavefront6targetE0EEEvT1_.has_indirect_call, 0
	.section	.AMDGPU.csdata,"",@progbits
; Kernel info:
; codeLenInByte = 0
; TotalNumSgprs: 0
; NumVgprs: 0
; ScratchSize: 0
; MemoryBound: 0
; FloatMode: 240
; IeeeMode: 1
; LDSByteSize: 0 bytes/workgroup (compile time only)
; SGPRBlocks: 0
; VGPRBlocks: 0
; NumSGPRsForWavesPerEU: 1
; NumVGPRsForWavesPerEU: 1
; Occupancy: 16
; WaveLimiterHint : 0
; COMPUTE_PGM_RSRC2:SCRATCH_EN: 0
; COMPUTE_PGM_RSRC2:USER_SGPR: 6
; COMPUTE_PGM_RSRC2:TRAP_HANDLER: 0
; COMPUTE_PGM_RSRC2:TGID_X_EN: 1
; COMPUTE_PGM_RSRC2:TGID_Y_EN: 0
; COMPUTE_PGM_RSRC2:TGID_Z_EN: 0
; COMPUTE_PGM_RSRC2:TIDIG_COMP_CNT: 0
	.section	.text._ZN7rocprim17ROCPRIM_400000_NS6detail17trampoline_kernelINS0_14default_configENS1_25partition_config_selectorILNS1_17partition_subalgoE8EiNS0_10empty_typeEbEEZZNS1_14partition_implILS5_8ELb0ES3_jPKiPS6_PKS6_NS0_5tupleIJPiS6_EEENSE_IJSB_SB_EEENS0_18inequality_wrapperIN6hipcub16HIPCUB_304000_NS8EqualityEEEPlJS6_EEE10hipError_tPvRmT3_T4_T5_T6_T7_T9_mT8_P12ihipStream_tbDpT10_ENKUlT_T0_E_clISt17integral_constantIbLb1EES16_IbLb0EEEEDaS12_S13_EUlS12_E_NS1_11comp_targetILNS1_3genE5ELNS1_11target_archE942ELNS1_3gpuE9ELNS1_3repE0EEENS1_30default_config_static_selectorELNS0_4arch9wavefront6targetE0EEEvT1_,"axG",@progbits,_ZN7rocprim17ROCPRIM_400000_NS6detail17trampoline_kernelINS0_14default_configENS1_25partition_config_selectorILNS1_17partition_subalgoE8EiNS0_10empty_typeEbEEZZNS1_14partition_implILS5_8ELb0ES3_jPKiPS6_PKS6_NS0_5tupleIJPiS6_EEENSE_IJSB_SB_EEENS0_18inequality_wrapperIN6hipcub16HIPCUB_304000_NS8EqualityEEEPlJS6_EEE10hipError_tPvRmT3_T4_T5_T6_T7_T9_mT8_P12ihipStream_tbDpT10_ENKUlT_T0_E_clISt17integral_constantIbLb1EES16_IbLb0EEEEDaS12_S13_EUlS12_E_NS1_11comp_targetILNS1_3genE5ELNS1_11target_archE942ELNS1_3gpuE9ELNS1_3repE0EEENS1_30default_config_static_selectorELNS0_4arch9wavefront6targetE0EEEvT1_,comdat
	.protected	_ZN7rocprim17ROCPRIM_400000_NS6detail17trampoline_kernelINS0_14default_configENS1_25partition_config_selectorILNS1_17partition_subalgoE8EiNS0_10empty_typeEbEEZZNS1_14partition_implILS5_8ELb0ES3_jPKiPS6_PKS6_NS0_5tupleIJPiS6_EEENSE_IJSB_SB_EEENS0_18inequality_wrapperIN6hipcub16HIPCUB_304000_NS8EqualityEEEPlJS6_EEE10hipError_tPvRmT3_T4_T5_T6_T7_T9_mT8_P12ihipStream_tbDpT10_ENKUlT_T0_E_clISt17integral_constantIbLb1EES16_IbLb0EEEEDaS12_S13_EUlS12_E_NS1_11comp_targetILNS1_3genE5ELNS1_11target_archE942ELNS1_3gpuE9ELNS1_3repE0EEENS1_30default_config_static_selectorELNS0_4arch9wavefront6targetE0EEEvT1_ ; -- Begin function _ZN7rocprim17ROCPRIM_400000_NS6detail17trampoline_kernelINS0_14default_configENS1_25partition_config_selectorILNS1_17partition_subalgoE8EiNS0_10empty_typeEbEEZZNS1_14partition_implILS5_8ELb0ES3_jPKiPS6_PKS6_NS0_5tupleIJPiS6_EEENSE_IJSB_SB_EEENS0_18inequality_wrapperIN6hipcub16HIPCUB_304000_NS8EqualityEEEPlJS6_EEE10hipError_tPvRmT3_T4_T5_T6_T7_T9_mT8_P12ihipStream_tbDpT10_ENKUlT_T0_E_clISt17integral_constantIbLb1EES16_IbLb0EEEEDaS12_S13_EUlS12_E_NS1_11comp_targetILNS1_3genE5ELNS1_11target_archE942ELNS1_3gpuE9ELNS1_3repE0EEENS1_30default_config_static_selectorELNS0_4arch9wavefront6targetE0EEEvT1_
	.globl	_ZN7rocprim17ROCPRIM_400000_NS6detail17trampoline_kernelINS0_14default_configENS1_25partition_config_selectorILNS1_17partition_subalgoE8EiNS0_10empty_typeEbEEZZNS1_14partition_implILS5_8ELb0ES3_jPKiPS6_PKS6_NS0_5tupleIJPiS6_EEENSE_IJSB_SB_EEENS0_18inequality_wrapperIN6hipcub16HIPCUB_304000_NS8EqualityEEEPlJS6_EEE10hipError_tPvRmT3_T4_T5_T6_T7_T9_mT8_P12ihipStream_tbDpT10_ENKUlT_T0_E_clISt17integral_constantIbLb1EES16_IbLb0EEEEDaS12_S13_EUlS12_E_NS1_11comp_targetILNS1_3genE5ELNS1_11target_archE942ELNS1_3gpuE9ELNS1_3repE0EEENS1_30default_config_static_selectorELNS0_4arch9wavefront6targetE0EEEvT1_
	.p2align	8
	.type	_ZN7rocprim17ROCPRIM_400000_NS6detail17trampoline_kernelINS0_14default_configENS1_25partition_config_selectorILNS1_17partition_subalgoE8EiNS0_10empty_typeEbEEZZNS1_14partition_implILS5_8ELb0ES3_jPKiPS6_PKS6_NS0_5tupleIJPiS6_EEENSE_IJSB_SB_EEENS0_18inequality_wrapperIN6hipcub16HIPCUB_304000_NS8EqualityEEEPlJS6_EEE10hipError_tPvRmT3_T4_T5_T6_T7_T9_mT8_P12ihipStream_tbDpT10_ENKUlT_T0_E_clISt17integral_constantIbLb1EES16_IbLb0EEEEDaS12_S13_EUlS12_E_NS1_11comp_targetILNS1_3genE5ELNS1_11target_archE942ELNS1_3gpuE9ELNS1_3repE0EEENS1_30default_config_static_selectorELNS0_4arch9wavefront6targetE0EEEvT1_,@function
_ZN7rocprim17ROCPRIM_400000_NS6detail17trampoline_kernelINS0_14default_configENS1_25partition_config_selectorILNS1_17partition_subalgoE8EiNS0_10empty_typeEbEEZZNS1_14partition_implILS5_8ELb0ES3_jPKiPS6_PKS6_NS0_5tupleIJPiS6_EEENSE_IJSB_SB_EEENS0_18inequality_wrapperIN6hipcub16HIPCUB_304000_NS8EqualityEEEPlJS6_EEE10hipError_tPvRmT3_T4_T5_T6_T7_T9_mT8_P12ihipStream_tbDpT10_ENKUlT_T0_E_clISt17integral_constantIbLb1EES16_IbLb0EEEEDaS12_S13_EUlS12_E_NS1_11comp_targetILNS1_3genE5ELNS1_11target_archE942ELNS1_3gpuE9ELNS1_3repE0EEENS1_30default_config_static_selectorELNS0_4arch9wavefront6targetE0EEEvT1_: ; @_ZN7rocprim17ROCPRIM_400000_NS6detail17trampoline_kernelINS0_14default_configENS1_25partition_config_selectorILNS1_17partition_subalgoE8EiNS0_10empty_typeEbEEZZNS1_14partition_implILS5_8ELb0ES3_jPKiPS6_PKS6_NS0_5tupleIJPiS6_EEENSE_IJSB_SB_EEENS0_18inequality_wrapperIN6hipcub16HIPCUB_304000_NS8EqualityEEEPlJS6_EEE10hipError_tPvRmT3_T4_T5_T6_T7_T9_mT8_P12ihipStream_tbDpT10_ENKUlT_T0_E_clISt17integral_constantIbLb1EES16_IbLb0EEEEDaS12_S13_EUlS12_E_NS1_11comp_targetILNS1_3genE5ELNS1_11target_archE942ELNS1_3gpuE9ELNS1_3repE0EEENS1_30default_config_static_selectorELNS0_4arch9wavefront6targetE0EEEvT1_
; %bb.0:
	.section	.rodata,"a",@progbits
	.p2align	6, 0x0
	.amdhsa_kernel _ZN7rocprim17ROCPRIM_400000_NS6detail17trampoline_kernelINS0_14default_configENS1_25partition_config_selectorILNS1_17partition_subalgoE8EiNS0_10empty_typeEbEEZZNS1_14partition_implILS5_8ELb0ES3_jPKiPS6_PKS6_NS0_5tupleIJPiS6_EEENSE_IJSB_SB_EEENS0_18inequality_wrapperIN6hipcub16HIPCUB_304000_NS8EqualityEEEPlJS6_EEE10hipError_tPvRmT3_T4_T5_T6_T7_T9_mT8_P12ihipStream_tbDpT10_ENKUlT_T0_E_clISt17integral_constantIbLb1EES16_IbLb0EEEEDaS12_S13_EUlS12_E_NS1_11comp_targetILNS1_3genE5ELNS1_11target_archE942ELNS1_3gpuE9ELNS1_3repE0EEENS1_30default_config_static_selectorELNS0_4arch9wavefront6targetE0EEEvT1_
		.amdhsa_group_segment_fixed_size 0
		.amdhsa_private_segment_fixed_size 0
		.amdhsa_kernarg_size 112
		.amdhsa_user_sgpr_count 6
		.amdhsa_user_sgpr_private_segment_buffer 1
		.amdhsa_user_sgpr_dispatch_ptr 0
		.amdhsa_user_sgpr_queue_ptr 0
		.amdhsa_user_sgpr_kernarg_segment_ptr 1
		.amdhsa_user_sgpr_dispatch_id 0
		.amdhsa_user_sgpr_flat_scratch_init 0
		.amdhsa_user_sgpr_private_segment_size 0
		.amdhsa_wavefront_size32 1
		.amdhsa_uses_dynamic_stack 0
		.amdhsa_system_sgpr_private_segment_wavefront_offset 0
		.amdhsa_system_sgpr_workgroup_id_x 1
		.amdhsa_system_sgpr_workgroup_id_y 0
		.amdhsa_system_sgpr_workgroup_id_z 0
		.amdhsa_system_sgpr_workgroup_info 0
		.amdhsa_system_vgpr_workitem_id 0
		.amdhsa_next_free_vgpr 1
		.amdhsa_next_free_sgpr 1
		.amdhsa_reserve_vcc 0
		.amdhsa_reserve_flat_scratch 0
		.amdhsa_float_round_mode_32 0
		.amdhsa_float_round_mode_16_64 0
		.amdhsa_float_denorm_mode_32 3
		.amdhsa_float_denorm_mode_16_64 3
		.amdhsa_dx10_clamp 1
		.amdhsa_ieee_mode 1
		.amdhsa_fp16_overflow 0
		.amdhsa_workgroup_processor_mode 1
		.amdhsa_memory_ordered 1
		.amdhsa_forward_progress 1
		.amdhsa_shared_vgpr_count 0
		.amdhsa_exception_fp_ieee_invalid_op 0
		.amdhsa_exception_fp_denorm_src 0
		.amdhsa_exception_fp_ieee_div_zero 0
		.amdhsa_exception_fp_ieee_overflow 0
		.amdhsa_exception_fp_ieee_underflow 0
		.amdhsa_exception_fp_ieee_inexact 0
		.amdhsa_exception_int_div_zero 0
	.end_amdhsa_kernel
	.section	.text._ZN7rocprim17ROCPRIM_400000_NS6detail17trampoline_kernelINS0_14default_configENS1_25partition_config_selectorILNS1_17partition_subalgoE8EiNS0_10empty_typeEbEEZZNS1_14partition_implILS5_8ELb0ES3_jPKiPS6_PKS6_NS0_5tupleIJPiS6_EEENSE_IJSB_SB_EEENS0_18inequality_wrapperIN6hipcub16HIPCUB_304000_NS8EqualityEEEPlJS6_EEE10hipError_tPvRmT3_T4_T5_T6_T7_T9_mT8_P12ihipStream_tbDpT10_ENKUlT_T0_E_clISt17integral_constantIbLb1EES16_IbLb0EEEEDaS12_S13_EUlS12_E_NS1_11comp_targetILNS1_3genE5ELNS1_11target_archE942ELNS1_3gpuE9ELNS1_3repE0EEENS1_30default_config_static_selectorELNS0_4arch9wavefront6targetE0EEEvT1_,"axG",@progbits,_ZN7rocprim17ROCPRIM_400000_NS6detail17trampoline_kernelINS0_14default_configENS1_25partition_config_selectorILNS1_17partition_subalgoE8EiNS0_10empty_typeEbEEZZNS1_14partition_implILS5_8ELb0ES3_jPKiPS6_PKS6_NS0_5tupleIJPiS6_EEENSE_IJSB_SB_EEENS0_18inequality_wrapperIN6hipcub16HIPCUB_304000_NS8EqualityEEEPlJS6_EEE10hipError_tPvRmT3_T4_T5_T6_T7_T9_mT8_P12ihipStream_tbDpT10_ENKUlT_T0_E_clISt17integral_constantIbLb1EES16_IbLb0EEEEDaS12_S13_EUlS12_E_NS1_11comp_targetILNS1_3genE5ELNS1_11target_archE942ELNS1_3gpuE9ELNS1_3repE0EEENS1_30default_config_static_selectorELNS0_4arch9wavefront6targetE0EEEvT1_,comdat
.Lfunc_end205:
	.size	_ZN7rocprim17ROCPRIM_400000_NS6detail17trampoline_kernelINS0_14default_configENS1_25partition_config_selectorILNS1_17partition_subalgoE8EiNS0_10empty_typeEbEEZZNS1_14partition_implILS5_8ELb0ES3_jPKiPS6_PKS6_NS0_5tupleIJPiS6_EEENSE_IJSB_SB_EEENS0_18inequality_wrapperIN6hipcub16HIPCUB_304000_NS8EqualityEEEPlJS6_EEE10hipError_tPvRmT3_T4_T5_T6_T7_T9_mT8_P12ihipStream_tbDpT10_ENKUlT_T0_E_clISt17integral_constantIbLb1EES16_IbLb0EEEEDaS12_S13_EUlS12_E_NS1_11comp_targetILNS1_3genE5ELNS1_11target_archE942ELNS1_3gpuE9ELNS1_3repE0EEENS1_30default_config_static_selectorELNS0_4arch9wavefront6targetE0EEEvT1_, .Lfunc_end205-_ZN7rocprim17ROCPRIM_400000_NS6detail17trampoline_kernelINS0_14default_configENS1_25partition_config_selectorILNS1_17partition_subalgoE8EiNS0_10empty_typeEbEEZZNS1_14partition_implILS5_8ELb0ES3_jPKiPS6_PKS6_NS0_5tupleIJPiS6_EEENSE_IJSB_SB_EEENS0_18inequality_wrapperIN6hipcub16HIPCUB_304000_NS8EqualityEEEPlJS6_EEE10hipError_tPvRmT3_T4_T5_T6_T7_T9_mT8_P12ihipStream_tbDpT10_ENKUlT_T0_E_clISt17integral_constantIbLb1EES16_IbLb0EEEEDaS12_S13_EUlS12_E_NS1_11comp_targetILNS1_3genE5ELNS1_11target_archE942ELNS1_3gpuE9ELNS1_3repE0EEENS1_30default_config_static_selectorELNS0_4arch9wavefront6targetE0EEEvT1_
                                        ; -- End function
	.set _ZN7rocprim17ROCPRIM_400000_NS6detail17trampoline_kernelINS0_14default_configENS1_25partition_config_selectorILNS1_17partition_subalgoE8EiNS0_10empty_typeEbEEZZNS1_14partition_implILS5_8ELb0ES3_jPKiPS6_PKS6_NS0_5tupleIJPiS6_EEENSE_IJSB_SB_EEENS0_18inequality_wrapperIN6hipcub16HIPCUB_304000_NS8EqualityEEEPlJS6_EEE10hipError_tPvRmT3_T4_T5_T6_T7_T9_mT8_P12ihipStream_tbDpT10_ENKUlT_T0_E_clISt17integral_constantIbLb1EES16_IbLb0EEEEDaS12_S13_EUlS12_E_NS1_11comp_targetILNS1_3genE5ELNS1_11target_archE942ELNS1_3gpuE9ELNS1_3repE0EEENS1_30default_config_static_selectorELNS0_4arch9wavefront6targetE0EEEvT1_.num_vgpr, 0
	.set _ZN7rocprim17ROCPRIM_400000_NS6detail17trampoline_kernelINS0_14default_configENS1_25partition_config_selectorILNS1_17partition_subalgoE8EiNS0_10empty_typeEbEEZZNS1_14partition_implILS5_8ELb0ES3_jPKiPS6_PKS6_NS0_5tupleIJPiS6_EEENSE_IJSB_SB_EEENS0_18inequality_wrapperIN6hipcub16HIPCUB_304000_NS8EqualityEEEPlJS6_EEE10hipError_tPvRmT3_T4_T5_T6_T7_T9_mT8_P12ihipStream_tbDpT10_ENKUlT_T0_E_clISt17integral_constantIbLb1EES16_IbLb0EEEEDaS12_S13_EUlS12_E_NS1_11comp_targetILNS1_3genE5ELNS1_11target_archE942ELNS1_3gpuE9ELNS1_3repE0EEENS1_30default_config_static_selectorELNS0_4arch9wavefront6targetE0EEEvT1_.num_agpr, 0
	.set _ZN7rocprim17ROCPRIM_400000_NS6detail17trampoline_kernelINS0_14default_configENS1_25partition_config_selectorILNS1_17partition_subalgoE8EiNS0_10empty_typeEbEEZZNS1_14partition_implILS5_8ELb0ES3_jPKiPS6_PKS6_NS0_5tupleIJPiS6_EEENSE_IJSB_SB_EEENS0_18inequality_wrapperIN6hipcub16HIPCUB_304000_NS8EqualityEEEPlJS6_EEE10hipError_tPvRmT3_T4_T5_T6_T7_T9_mT8_P12ihipStream_tbDpT10_ENKUlT_T0_E_clISt17integral_constantIbLb1EES16_IbLb0EEEEDaS12_S13_EUlS12_E_NS1_11comp_targetILNS1_3genE5ELNS1_11target_archE942ELNS1_3gpuE9ELNS1_3repE0EEENS1_30default_config_static_selectorELNS0_4arch9wavefront6targetE0EEEvT1_.numbered_sgpr, 0
	.set _ZN7rocprim17ROCPRIM_400000_NS6detail17trampoline_kernelINS0_14default_configENS1_25partition_config_selectorILNS1_17partition_subalgoE8EiNS0_10empty_typeEbEEZZNS1_14partition_implILS5_8ELb0ES3_jPKiPS6_PKS6_NS0_5tupleIJPiS6_EEENSE_IJSB_SB_EEENS0_18inequality_wrapperIN6hipcub16HIPCUB_304000_NS8EqualityEEEPlJS6_EEE10hipError_tPvRmT3_T4_T5_T6_T7_T9_mT8_P12ihipStream_tbDpT10_ENKUlT_T0_E_clISt17integral_constantIbLb1EES16_IbLb0EEEEDaS12_S13_EUlS12_E_NS1_11comp_targetILNS1_3genE5ELNS1_11target_archE942ELNS1_3gpuE9ELNS1_3repE0EEENS1_30default_config_static_selectorELNS0_4arch9wavefront6targetE0EEEvT1_.num_named_barrier, 0
	.set _ZN7rocprim17ROCPRIM_400000_NS6detail17trampoline_kernelINS0_14default_configENS1_25partition_config_selectorILNS1_17partition_subalgoE8EiNS0_10empty_typeEbEEZZNS1_14partition_implILS5_8ELb0ES3_jPKiPS6_PKS6_NS0_5tupleIJPiS6_EEENSE_IJSB_SB_EEENS0_18inequality_wrapperIN6hipcub16HIPCUB_304000_NS8EqualityEEEPlJS6_EEE10hipError_tPvRmT3_T4_T5_T6_T7_T9_mT8_P12ihipStream_tbDpT10_ENKUlT_T0_E_clISt17integral_constantIbLb1EES16_IbLb0EEEEDaS12_S13_EUlS12_E_NS1_11comp_targetILNS1_3genE5ELNS1_11target_archE942ELNS1_3gpuE9ELNS1_3repE0EEENS1_30default_config_static_selectorELNS0_4arch9wavefront6targetE0EEEvT1_.private_seg_size, 0
	.set _ZN7rocprim17ROCPRIM_400000_NS6detail17trampoline_kernelINS0_14default_configENS1_25partition_config_selectorILNS1_17partition_subalgoE8EiNS0_10empty_typeEbEEZZNS1_14partition_implILS5_8ELb0ES3_jPKiPS6_PKS6_NS0_5tupleIJPiS6_EEENSE_IJSB_SB_EEENS0_18inequality_wrapperIN6hipcub16HIPCUB_304000_NS8EqualityEEEPlJS6_EEE10hipError_tPvRmT3_T4_T5_T6_T7_T9_mT8_P12ihipStream_tbDpT10_ENKUlT_T0_E_clISt17integral_constantIbLb1EES16_IbLb0EEEEDaS12_S13_EUlS12_E_NS1_11comp_targetILNS1_3genE5ELNS1_11target_archE942ELNS1_3gpuE9ELNS1_3repE0EEENS1_30default_config_static_selectorELNS0_4arch9wavefront6targetE0EEEvT1_.uses_vcc, 0
	.set _ZN7rocprim17ROCPRIM_400000_NS6detail17trampoline_kernelINS0_14default_configENS1_25partition_config_selectorILNS1_17partition_subalgoE8EiNS0_10empty_typeEbEEZZNS1_14partition_implILS5_8ELb0ES3_jPKiPS6_PKS6_NS0_5tupleIJPiS6_EEENSE_IJSB_SB_EEENS0_18inequality_wrapperIN6hipcub16HIPCUB_304000_NS8EqualityEEEPlJS6_EEE10hipError_tPvRmT3_T4_T5_T6_T7_T9_mT8_P12ihipStream_tbDpT10_ENKUlT_T0_E_clISt17integral_constantIbLb1EES16_IbLb0EEEEDaS12_S13_EUlS12_E_NS1_11comp_targetILNS1_3genE5ELNS1_11target_archE942ELNS1_3gpuE9ELNS1_3repE0EEENS1_30default_config_static_selectorELNS0_4arch9wavefront6targetE0EEEvT1_.uses_flat_scratch, 0
	.set _ZN7rocprim17ROCPRIM_400000_NS6detail17trampoline_kernelINS0_14default_configENS1_25partition_config_selectorILNS1_17partition_subalgoE8EiNS0_10empty_typeEbEEZZNS1_14partition_implILS5_8ELb0ES3_jPKiPS6_PKS6_NS0_5tupleIJPiS6_EEENSE_IJSB_SB_EEENS0_18inequality_wrapperIN6hipcub16HIPCUB_304000_NS8EqualityEEEPlJS6_EEE10hipError_tPvRmT3_T4_T5_T6_T7_T9_mT8_P12ihipStream_tbDpT10_ENKUlT_T0_E_clISt17integral_constantIbLb1EES16_IbLb0EEEEDaS12_S13_EUlS12_E_NS1_11comp_targetILNS1_3genE5ELNS1_11target_archE942ELNS1_3gpuE9ELNS1_3repE0EEENS1_30default_config_static_selectorELNS0_4arch9wavefront6targetE0EEEvT1_.has_dyn_sized_stack, 0
	.set _ZN7rocprim17ROCPRIM_400000_NS6detail17trampoline_kernelINS0_14default_configENS1_25partition_config_selectorILNS1_17partition_subalgoE8EiNS0_10empty_typeEbEEZZNS1_14partition_implILS5_8ELb0ES3_jPKiPS6_PKS6_NS0_5tupleIJPiS6_EEENSE_IJSB_SB_EEENS0_18inequality_wrapperIN6hipcub16HIPCUB_304000_NS8EqualityEEEPlJS6_EEE10hipError_tPvRmT3_T4_T5_T6_T7_T9_mT8_P12ihipStream_tbDpT10_ENKUlT_T0_E_clISt17integral_constantIbLb1EES16_IbLb0EEEEDaS12_S13_EUlS12_E_NS1_11comp_targetILNS1_3genE5ELNS1_11target_archE942ELNS1_3gpuE9ELNS1_3repE0EEENS1_30default_config_static_selectorELNS0_4arch9wavefront6targetE0EEEvT1_.has_recursion, 0
	.set _ZN7rocprim17ROCPRIM_400000_NS6detail17trampoline_kernelINS0_14default_configENS1_25partition_config_selectorILNS1_17partition_subalgoE8EiNS0_10empty_typeEbEEZZNS1_14partition_implILS5_8ELb0ES3_jPKiPS6_PKS6_NS0_5tupleIJPiS6_EEENSE_IJSB_SB_EEENS0_18inequality_wrapperIN6hipcub16HIPCUB_304000_NS8EqualityEEEPlJS6_EEE10hipError_tPvRmT3_T4_T5_T6_T7_T9_mT8_P12ihipStream_tbDpT10_ENKUlT_T0_E_clISt17integral_constantIbLb1EES16_IbLb0EEEEDaS12_S13_EUlS12_E_NS1_11comp_targetILNS1_3genE5ELNS1_11target_archE942ELNS1_3gpuE9ELNS1_3repE0EEENS1_30default_config_static_selectorELNS0_4arch9wavefront6targetE0EEEvT1_.has_indirect_call, 0
	.section	.AMDGPU.csdata,"",@progbits
; Kernel info:
; codeLenInByte = 0
; TotalNumSgprs: 0
; NumVgprs: 0
; ScratchSize: 0
; MemoryBound: 0
; FloatMode: 240
; IeeeMode: 1
; LDSByteSize: 0 bytes/workgroup (compile time only)
; SGPRBlocks: 0
; VGPRBlocks: 0
; NumSGPRsForWavesPerEU: 1
; NumVGPRsForWavesPerEU: 1
; Occupancy: 16
; WaveLimiterHint : 0
; COMPUTE_PGM_RSRC2:SCRATCH_EN: 0
; COMPUTE_PGM_RSRC2:USER_SGPR: 6
; COMPUTE_PGM_RSRC2:TRAP_HANDLER: 0
; COMPUTE_PGM_RSRC2:TGID_X_EN: 1
; COMPUTE_PGM_RSRC2:TGID_Y_EN: 0
; COMPUTE_PGM_RSRC2:TGID_Z_EN: 0
; COMPUTE_PGM_RSRC2:TIDIG_COMP_CNT: 0
	.section	.text._ZN7rocprim17ROCPRIM_400000_NS6detail17trampoline_kernelINS0_14default_configENS1_25partition_config_selectorILNS1_17partition_subalgoE8EiNS0_10empty_typeEbEEZZNS1_14partition_implILS5_8ELb0ES3_jPKiPS6_PKS6_NS0_5tupleIJPiS6_EEENSE_IJSB_SB_EEENS0_18inequality_wrapperIN6hipcub16HIPCUB_304000_NS8EqualityEEEPlJS6_EEE10hipError_tPvRmT3_T4_T5_T6_T7_T9_mT8_P12ihipStream_tbDpT10_ENKUlT_T0_E_clISt17integral_constantIbLb1EES16_IbLb0EEEEDaS12_S13_EUlS12_E_NS1_11comp_targetILNS1_3genE4ELNS1_11target_archE910ELNS1_3gpuE8ELNS1_3repE0EEENS1_30default_config_static_selectorELNS0_4arch9wavefront6targetE0EEEvT1_,"axG",@progbits,_ZN7rocprim17ROCPRIM_400000_NS6detail17trampoline_kernelINS0_14default_configENS1_25partition_config_selectorILNS1_17partition_subalgoE8EiNS0_10empty_typeEbEEZZNS1_14partition_implILS5_8ELb0ES3_jPKiPS6_PKS6_NS0_5tupleIJPiS6_EEENSE_IJSB_SB_EEENS0_18inequality_wrapperIN6hipcub16HIPCUB_304000_NS8EqualityEEEPlJS6_EEE10hipError_tPvRmT3_T4_T5_T6_T7_T9_mT8_P12ihipStream_tbDpT10_ENKUlT_T0_E_clISt17integral_constantIbLb1EES16_IbLb0EEEEDaS12_S13_EUlS12_E_NS1_11comp_targetILNS1_3genE4ELNS1_11target_archE910ELNS1_3gpuE8ELNS1_3repE0EEENS1_30default_config_static_selectorELNS0_4arch9wavefront6targetE0EEEvT1_,comdat
	.protected	_ZN7rocprim17ROCPRIM_400000_NS6detail17trampoline_kernelINS0_14default_configENS1_25partition_config_selectorILNS1_17partition_subalgoE8EiNS0_10empty_typeEbEEZZNS1_14partition_implILS5_8ELb0ES3_jPKiPS6_PKS6_NS0_5tupleIJPiS6_EEENSE_IJSB_SB_EEENS0_18inequality_wrapperIN6hipcub16HIPCUB_304000_NS8EqualityEEEPlJS6_EEE10hipError_tPvRmT3_T4_T5_T6_T7_T9_mT8_P12ihipStream_tbDpT10_ENKUlT_T0_E_clISt17integral_constantIbLb1EES16_IbLb0EEEEDaS12_S13_EUlS12_E_NS1_11comp_targetILNS1_3genE4ELNS1_11target_archE910ELNS1_3gpuE8ELNS1_3repE0EEENS1_30default_config_static_selectorELNS0_4arch9wavefront6targetE0EEEvT1_ ; -- Begin function _ZN7rocprim17ROCPRIM_400000_NS6detail17trampoline_kernelINS0_14default_configENS1_25partition_config_selectorILNS1_17partition_subalgoE8EiNS0_10empty_typeEbEEZZNS1_14partition_implILS5_8ELb0ES3_jPKiPS6_PKS6_NS0_5tupleIJPiS6_EEENSE_IJSB_SB_EEENS0_18inequality_wrapperIN6hipcub16HIPCUB_304000_NS8EqualityEEEPlJS6_EEE10hipError_tPvRmT3_T4_T5_T6_T7_T9_mT8_P12ihipStream_tbDpT10_ENKUlT_T0_E_clISt17integral_constantIbLb1EES16_IbLb0EEEEDaS12_S13_EUlS12_E_NS1_11comp_targetILNS1_3genE4ELNS1_11target_archE910ELNS1_3gpuE8ELNS1_3repE0EEENS1_30default_config_static_selectorELNS0_4arch9wavefront6targetE0EEEvT1_
	.globl	_ZN7rocprim17ROCPRIM_400000_NS6detail17trampoline_kernelINS0_14default_configENS1_25partition_config_selectorILNS1_17partition_subalgoE8EiNS0_10empty_typeEbEEZZNS1_14partition_implILS5_8ELb0ES3_jPKiPS6_PKS6_NS0_5tupleIJPiS6_EEENSE_IJSB_SB_EEENS0_18inequality_wrapperIN6hipcub16HIPCUB_304000_NS8EqualityEEEPlJS6_EEE10hipError_tPvRmT3_T4_T5_T6_T7_T9_mT8_P12ihipStream_tbDpT10_ENKUlT_T0_E_clISt17integral_constantIbLb1EES16_IbLb0EEEEDaS12_S13_EUlS12_E_NS1_11comp_targetILNS1_3genE4ELNS1_11target_archE910ELNS1_3gpuE8ELNS1_3repE0EEENS1_30default_config_static_selectorELNS0_4arch9wavefront6targetE0EEEvT1_
	.p2align	8
	.type	_ZN7rocprim17ROCPRIM_400000_NS6detail17trampoline_kernelINS0_14default_configENS1_25partition_config_selectorILNS1_17partition_subalgoE8EiNS0_10empty_typeEbEEZZNS1_14partition_implILS5_8ELb0ES3_jPKiPS6_PKS6_NS0_5tupleIJPiS6_EEENSE_IJSB_SB_EEENS0_18inequality_wrapperIN6hipcub16HIPCUB_304000_NS8EqualityEEEPlJS6_EEE10hipError_tPvRmT3_T4_T5_T6_T7_T9_mT8_P12ihipStream_tbDpT10_ENKUlT_T0_E_clISt17integral_constantIbLb1EES16_IbLb0EEEEDaS12_S13_EUlS12_E_NS1_11comp_targetILNS1_3genE4ELNS1_11target_archE910ELNS1_3gpuE8ELNS1_3repE0EEENS1_30default_config_static_selectorELNS0_4arch9wavefront6targetE0EEEvT1_,@function
_ZN7rocprim17ROCPRIM_400000_NS6detail17trampoline_kernelINS0_14default_configENS1_25partition_config_selectorILNS1_17partition_subalgoE8EiNS0_10empty_typeEbEEZZNS1_14partition_implILS5_8ELb0ES3_jPKiPS6_PKS6_NS0_5tupleIJPiS6_EEENSE_IJSB_SB_EEENS0_18inequality_wrapperIN6hipcub16HIPCUB_304000_NS8EqualityEEEPlJS6_EEE10hipError_tPvRmT3_T4_T5_T6_T7_T9_mT8_P12ihipStream_tbDpT10_ENKUlT_T0_E_clISt17integral_constantIbLb1EES16_IbLb0EEEEDaS12_S13_EUlS12_E_NS1_11comp_targetILNS1_3genE4ELNS1_11target_archE910ELNS1_3gpuE8ELNS1_3repE0EEENS1_30default_config_static_selectorELNS0_4arch9wavefront6targetE0EEEvT1_: ; @_ZN7rocprim17ROCPRIM_400000_NS6detail17trampoline_kernelINS0_14default_configENS1_25partition_config_selectorILNS1_17partition_subalgoE8EiNS0_10empty_typeEbEEZZNS1_14partition_implILS5_8ELb0ES3_jPKiPS6_PKS6_NS0_5tupleIJPiS6_EEENSE_IJSB_SB_EEENS0_18inequality_wrapperIN6hipcub16HIPCUB_304000_NS8EqualityEEEPlJS6_EEE10hipError_tPvRmT3_T4_T5_T6_T7_T9_mT8_P12ihipStream_tbDpT10_ENKUlT_T0_E_clISt17integral_constantIbLb1EES16_IbLb0EEEEDaS12_S13_EUlS12_E_NS1_11comp_targetILNS1_3genE4ELNS1_11target_archE910ELNS1_3gpuE8ELNS1_3repE0EEENS1_30default_config_static_selectorELNS0_4arch9wavefront6targetE0EEEvT1_
; %bb.0:
	.section	.rodata,"a",@progbits
	.p2align	6, 0x0
	.amdhsa_kernel _ZN7rocprim17ROCPRIM_400000_NS6detail17trampoline_kernelINS0_14default_configENS1_25partition_config_selectorILNS1_17partition_subalgoE8EiNS0_10empty_typeEbEEZZNS1_14partition_implILS5_8ELb0ES3_jPKiPS6_PKS6_NS0_5tupleIJPiS6_EEENSE_IJSB_SB_EEENS0_18inequality_wrapperIN6hipcub16HIPCUB_304000_NS8EqualityEEEPlJS6_EEE10hipError_tPvRmT3_T4_T5_T6_T7_T9_mT8_P12ihipStream_tbDpT10_ENKUlT_T0_E_clISt17integral_constantIbLb1EES16_IbLb0EEEEDaS12_S13_EUlS12_E_NS1_11comp_targetILNS1_3genE4ELNS1_11target_archE910ELNS1_3gpuE8ELNS1_3repE0EEENS1_30default_config_static_selectorELNS0_4arch9wavefront6targetE0EEEvT1_
		.amdhsa_group_segment_fixed_size 0
		.amdhsa_private_segment_fixed_size 0
		.amdhsa_kernarg_size 112
		.amdhsa_user_sgpr_count 6
		.amdhsa_user_sgpr_private_segment_buffer 1
		.amdhsa_user_sgpr_dispatch_ptr 0
		.amdhsa_user_sgpr_queue_ptr 0
		.amdhsa_user_sgpr_kernarg_segment_ptr 1
		.amdhsa_user_sgpr_dispatch_id 0
		.amdhsa_user_sgpr_flat_scratch_init 0
		.amdhsa_user_sgpr_private_segment_size 0
		.amdhsa_wavefront_size32 1
		.amdhsa_uses_dynamic_stack 0
		.amdhsa_system_sgpr_private_segment_wavefront_offset 0
		.amdhsa_system_sgpr_workgroup_id_x 1
		.amdhsa_system_sgpr_workgroup_id_y 0
		.amdhsa_system_sgpr_workgroup_id_z 0
		.amdhsa_system_sgpr_workgroup_info 0
		.amdhsa_system_vgpr_workitem_id 0
		.amdhsa_next_free_vgpr 1
		.amdhsa_next_free_sgpr 1
		.amdhsa_reserve_vcc 0
		.amdhsa_reserve_flat_scratch 0
		.amdhsa_float_round_mode_32 0
		.amdhsa_float_round_mode_16_64 0
		.amdhsa_float_denorm_mode_32 3
		.amdhsa_float_denorm_mode_16_64 3
		.amdhsa_dx10_clamp 1
		.amdhsa_ieee_mode 1
		.amdhsa_fp16_overflow 0
		.amdhsa_workgroup_processor_mode 1
		.amdhsa_memory_ordered 1
		.amdhsa_forward_progress 1
		.amdhsa_shared_vgpr_count 0
		.amdhsa_exception_fp_ieee_invalid_op 0
		.amdhsa_exception_fp_denorm_src 0
		.amdhsa_exception_fp_ieee_div_zero 0
		.amdhsa_exception_fp_ieee_overflow 0
		.amdhsa_exception_fp_ieee_underflow 0
		.amdhsa_exception_fp_ieee_inexact 0
		.amdhsa_exception_int_div_zero 0
	.end_amdhsa_kernel
	.section	.text._ZN7rocprim17ROCPRIM_400000_NS6detail17trampoline_kernelINS0_14default_configENS1_25partition_config_selectorILNS1_17partition_subalgoE8EiNS0_10empty_typeEbEEZZNS1_14partition_implILS5_8ELb0ES3_jPKiPS6_PKS6_NS0_5tupleIJPiS6_EEENSE_IJSB_SB_EEENS0_18inequality_wrapperIN6hipcub16HIPCUB_304000_NS8EqualityEEEPlJS6_EEE10hipError_tPvRmT3_T4_T5_T6_T7_T9_mT8_P12ihipStream_tbDpT10_ENKUlT_T0_E_clISt17integral_constantIbLb1EES16_IbLb0EEEEDaS12_S13_EUlS12_E_NS1_11comp_targetILNS1_3genE4ELNS1_11target_archE910ELNS1_3gpuE8ELNS1_3repE0EEENS1_30default_config_static_selectorELNS0_4arch9wavefront6targetE0EEEvT1_,"axG",@progbits,_ZN7rocprim17ROCPRIM_400000_NS6detail17trampoline_kernelINS0_14default_configENS1_25partition_config_selectorILNS1_17partition_subalgoE8EiNS0_10empty_typeEbEEZZNS1_14partition_implILS5_8ELb0ES3_jPKiPS6_PKS6_NS0_5tupleIJPiS6_EEENSE_IJSB_SB_EEENS0_18inequality_wrapperIN6hipcub16HIPCUB_304000_NS8EqualityEEEPlJS6_EEE10hipError_tPvRmT3_T4_T5_T6_T7_T9_mT8_P12ihipStream_tbDpT10_ENKUlT_T0_E_clISt17integral_constantIbLb1EES16_IbLb0EEEEDaS12_S13_EUlS12_E_NS1_11comp_targetILNS1_3genE4ELNS1_11target_archE910ELNS1_3gpuE8ELNS1_3repE0EEENS1_30default_config_static_selectorELNS0_4arch9wavefront6targetE0EEEvT1_,comdat
.Lfunc_end206:
	.size	_ZN7rocprim17ROCPRIM_400000_NS6detail17trampoline_kernelINS0_14default_configENS1_25partition_config_selectorILNS1_17partition_subalgoE8EiNS0_10empty_typeEbEEZZNS1_14partition_implILS5_8ELb0ES3_jPKiPS6_PKS6_NS0_5tupleIJPiS6_EEENSE_IJSB_SB_EEENS0_18inequality_wrapperIN6hipcub16HIPCUB_304000_NS8EqualityEEEPlJS6_EEE10hipError_tPvRmT3_T4_T5_T6_T7_T9_mT8_P12ihipStream_tbDpT10_ENKUlT_T0_E_clISt17integral_constantIbLb1EES16_IbLb0EEEEDaS12_S13_EUlS12_E_NS1_11comp_targetILNS1_3genE4ELNS1_11target_archE910ELNS1_3gpuE8ELNS1_3repE0EEENS1_30default_config_static_selectorELNS0_4arch9wavefront6targetE0EEEvT1_, .Lfunc_end206-_ZN7rocprim17ROCPRIM_400000_NS6detail17trampoline_kernelINS0_14default_configENS1_25partition_config_selectorILNS1_17partition_subalgoE8EiNS0_10empty_typeEbEEZZNS1_14partition_implILS5_8ELb0ES3_jPKiPS6_PKS6_NS0_5tupleIJPiS6_EEENSE_IJSB_SB_EEENS0_18inequality_wrapperIN6hipcub16HIPCUB_304000_NS8EqualityEEEPlJS6_EEE10hipError_tPvRmT3_T4_T5_T6_T7_T9_mT8_P12ihipStream_tbDpT10_ENKUlT_T0_E_clISt17integral_constantIbLb1EES16_IbLb0EEEEDaS12_S13_EUlS12_E_NS1_11comp_targetILNS1_3genE4ELNS1_11target_archE910ELNS1_3gpuE8ELNS1_3repE0EEENS1_30default_config_static_selectorELNS0_4arch9wavefront6targetE0EEEvT1_
                                        ; -- End function
	.set _ZN7rocprim17ROCPRIM_400000_NS6detail17trampoline_kernelINS0_14default_configENS1_25partition_config_selectorILNS1_17partition_subalgoE8EiNS0_10empty_typeEbEEZZNS1_14partition_implILS5_8ELb0ES3_jPKiPS6_PKS6_NS0_5tupleIJPiS6_EEENSE_IJSB_SB_EEENS0_18inequality_wrapperIN6hipcub16HIPCUB_304000_NS8EqualityEEEPlJS6_EEE10hipError_tPvRmT3_T4_T5_T6_T7_T9_mT8_P12ihipStream_tbDpT10_ENKUlT_T0_E_clISt17integral_constantIbLb1EES16_IbLb0EEEEDaS12_S13_EUlS12_E_NS1_11comp_targetILNS1_3genE4ELNS1_11target_archE910ELNS1_3gpuE8ELNS1_3repE0EEENS1_30default_config_static_selectorELNS0_4arch9wavefront6targetE0EEEvT1_.num_vgpr, 0
	.set _ZN7rocprim17ROCPRIM_400000_NS6detail17trampoline_kernelINS0_14default_configENS1_25partition_config_selectorILNS1_17partition_subalgoE8EiNS0_10empty_typeEbEEZZNS1_14partition_implILS5_8ELb0ES3_jPKiPS6_PKS6_NS0_5tupleIJPiS6_EEENSE_IJSB_SB_EEENS0_18inequality_wrapperIN6hipcub16HIPCUB_304000_NS8EqualityEEEPlJS6_EEE10hipError_tPvRmT3_T4_T5_T6_T7_T9_mT8_P12ihipStream_tbDpT10_ENKUlT_T0_E_clISt17integral_constantIbLb1EES16_IbLb0EEEEDaS12_S13_EUlS12_E_NS1_11comp_targetILNS1_3genE4ELNS1_11target_archE910ELNS1_3gpuE8ELNS1_3repE0EEENS1_30default_config_static_selectorELNS0_4arch9wavefront6targetE0EEEvT1_.num_agpr, 0
	.set _ZN7rocprim17ROCPRIM_400000_NS6detail17trampoline_kernelINS0_14default_configENS1_25partition_config_selectorILNS1_17partition_subalgoE8EiNS0_10empty_typeEbEEZZNS1_14partition_implILS5_8ELb0ES3_jPKiPS6_PKS6_NS0_5tupleIJPiS6_EEENSE_IJSB_SB_EEENS0_18inequality_wrapperIN6hipcub16HIPCUB_304000_NS8EqualityEEEPlJS6_EEE10hipError_tPvRmT3_T4_T5_T6_T7_T9_mT8_P12ihipStream_tbDpT10_ENKUlT_T0_E_clISt17integral_constantIbLb1EES16_IbLb0EEEEDaS12_S13_EUlS12_E_NS1_11comp_targetILNS1_3genE4ELNS1_11target_archE910ELNS1_3gpuE8ELNS1_3repE0EEENS1_30default_config_static_selectorELNS0_4arch9wavefront6targetE0EEEvT1_.numbered_sgpr, 0
	.set _ZN7rocprim17ROCPRIM_400000_NS6detail17trampoline_kernelINS0_14default_configENS1_25partition_config_selectorILNS1_17partition_subalgoE8EiNS0_10empty_typeEbEEZZNS1_14partition_implILS5_8ELb0ES3_jPKiPS6_PKS6_NS0_5tupleIJPiS6_EEENSE_IJSB_SB_EEENS0_18inequality_wrapperIN6hipcub16HIPCUB_304000_NS8EqualityEEEPlJS6_EEE10hipError_tPvRmT3_T4_T5_T6_T7_T9_mT8_P12ihipStream_tbDpT10_ENKUlT_T0_E_clISt17integral_constantIbLb1EES16_IbLb0EEEEDaS12_S13_EUlS12_E_NS1_11comp_targetILNS1_3genE4ELNS1_11target_archE910ELNS1_3gpuE8ELNS1_3repE0EEENS1_30default_config_static_selectorELNS0_4arch9wavefront6targetE0EEEvT1_.num_named_barrier, 0
	.set _ZN7rocprim17ROCPRIM_400000_NS6detail17trampoline_kernelINS0_14default_configENS1_25partition_config_selectorILNS1_17partition_subalgoE8EiNS0_10empty_typeEbEEZZNS1_14partition_implILS5_8ELb0ES3_jPKiPS6_PKS6_NS0_5tupleIJPiS6_EEENSE_IJSB_SB_EEENS0_18inequality_wrapperIN6hipcub16HIPCUB_304000_NS8EqualityEEEPlJS6_EEE10hipError_tPvRmT3_T4_T5_T6_T7_T9_mT8_P12ihipStream_tbDpT10_ENKUlT_T0_E_clISt17integral_constantIbLb1EES16_IbLb0EEEEDaS12_S13_EUlS12_E_NS1_11comp_targetILNS1_3genE4ELNS1_11target_archE910ELNS1_3gpuE8ELNS1_3repE0EEENS1_30default_config_static_selectorELNS0_4arch9wavefront6targetE0EEEvT1_.private_seg_size, 0
	.set _ZN7rocprim17ROCPRIM_400000_NS6detail17trampoline_kernelINS0_14default_configENS1_25partition_config_selectorILNS1_17partition_subalgoE8EiNS0_10empty_typeEbEEZZNS1_14partition_implILS5_8ELb0ES3_jPKiPS6_PKS6_NS0_5tupleIJPiS6_EEENSE_IJSB_SB_EEENS0_18inequality_wrapperIN6hipcub16HIPCUB_304000_NS8EqualityEEEPlJS6_EEE10hipError_tPvRmT3_T4_T5_T6_T7_T9_mT8_P12ihipStream_tbDpT10_ENKUlT_T0_E_clISt17integral_constantIbLb1EES16_IbLb0EEEEDaS12_S13_EUlS12_E_NS1_11comp_targetILNS1_3genE4ELNS1_11target_archE910ELNS1_3gpuE8ELNS1_3repE0EEENS1_30default_config_static_selectorELNS0_4arch9wavefront6targetE0EEEvT1_.uses_vcc, 0
	.set _ZN7rocprim17ROCPRIM_400000_NS6detail17trampoline_kernelINS0_14default_configENS1_25partition_config_selectorILNS1_17partition_subalgoE8EiNS0_10empty_typeEbEEZZNS1_14partition_implILS5_8ELb0ES3_jPKiPS6_PKS6_NS0_5tupleIJPiS6_EEENSE_IJSB_SB_EEENS0_18inequality_wrapperIN6hipcub16HIPCUB_304000_NS8EqualityEEEPlJS6_EEE10hipError_tPvRmT3_T4_T5_T6_T7_T9_mT8_P12ihipStream_tbDpT10_ENKUlT_T0_E_clISt17integral_constantIbLb1EES16_IbLb0EEEEDaS12_S13_EUlS12_E_NS1_11comp_targetILNS1_3genE4ELNS1_11target_archE910ELNS1_3gpuE8ELNS1_3repE0EEENS1_30default_config_static_selectorELNS0_4arch9wavefront6targetE0EEEvT1_.uses_flat_scratch, 0
	.set _ZN7rocprim17ROCPRIM_400000_NS6detail17trampoline_kernelINS0_14default_configENS1_25partition_config_selectorILNS1_17partition_subalgoE8EiNS0_10empty_typeEbEEZZNS1_14partition_implILS5_8ELb0ES3_jPKiPS6_PKS6_NS0_5tupleIJPiS6_EEENSE_IJSB_SB_EEENS0_18inequality_wrapperIN6hipcub16HIPCUB_304000_NS8EqualityEEEPlJS6_EEE10hipError_tPvRmT3_T4_T5_T6_T7_T9_mT8_P12ihipStream_tbDpT10_ENKUlT_T0_E_clISt17integral_constantIbLb1EES16_IbLb0EEEEDaS12_S13_EUlS12_E_NS1_11comp_targetILNS1_3genE4ELNS1_11target_archE910ELNS1_3gpuE8ELNS1_3repE0EEENS1_30default_config_static_selectorELNS0_4arch9wavefront6targetE0EEEvT1_.has_dyn_sized_stack, 0
	.set _ZN7rocprim17ROCPRIM_400000_NS6detail17trampoline_kernelINS0_14default_configENS1_25partition_config_selectorILNS1_17partition_subalgoE8EiNS0_10empty_typeEbEEZZNS1_14partition_implILS5_8ELb0ES3_jPKiPS6_PKS6_NS0_5tupleIJPiS6_EEENSE_IJSB_SB_EEENS0_18inequality_wrapperIN6hipcub16HIPCUB_304000_NS8EqualityEEEPlJS6_EEE10hipError_tPvRmT3_T4_T5_T6_T7_T9_mT8_P12ihipStream_tbDpT10_ENKUlT_T0_E_clISt17integral_constantIbLb1EES16_IbLb0EEEEDaS12_S13_EUlS12_E_NS1_11comp_targetILNS1_3genE4ELNS1_11target_archE910ELNS1_3gpuE8ELNS1_3repE0EEENS1_30default_config_static_selectorELNS0_4arch9wavefront6targetE0EEEvT1_.has_recursion, 0
	.set _ZN7rocprim17ROCPRIM_400000_NS6detail17trampoline_kernelINS0_14default_configENS1_25partition_config_selectorILNS1_17partition_subalgoE8EiNS0_10empty_typeEbEEZZNS1_14partition_implILS5_8ELb0ES3_jPKiPS6_PKS6_NS0_5tupleIJPiS6_EEENSE_IJSB_SB_EEENS0_18inequality_wrapperIN6hipcub16HIPCUB_304000_NS8EqualityEEEPlJS6_EEE10hipError_tPvRmT3_T4_T5_T6_T7_T9_mT8_P12ihipStream_tbDpT10_ENKUlT_T0_E_clISt17integral_constantIbLb1EES16_IbLb0EEEEDaS12_S13_EUlS12_E_NS1_11comp_targetILNS1_3genE4ELNS1_11target_archE910ELNS1_3gpuE8ELNS1_3repE0EEENS1_30default_config_static_selectorELNS0_4arch9wavefront6targetE0EEEvT1_.has_indirect_call, 0
	.section	.AMDGPU.csdata,"",@progbits
; Kernel info:
; codeLenInByte = 0
; TotalNumSgprs: 0
; NumVgprs: 0
; ScratchSize: 0
; MemoryBound: 0
; FloatMode: 240
; IeeeMode: 1
; LDSByteSize: 0 bytes/workgroup (compile time only)
; SGPRBlocks: 0
; VGPRBlocks: 0
; NumSGPRsForWavesPerEU: 1
; NumVGPRsForWavesPerEU: 1
; Occupancy: 16
; WaveLimiterHint : 0
; COMPUTE_PGM_RSRC2:SCRATCH_EN: 0
; COMPUTE_PGM_RSRC2:USER_SGPR: 6
; COMPUTE_PGM_RSRC2:TRAP_HANDLER: 0
; COMPUTE_PGM_RSRC2:TGID_X_EN: 1
; COMPUTE_PGM_RSRC2:TGID_Y_EN: 0
; COMPUTE_PGM_RSRC2:TGID_Z_EN: 0
; COMPUTE_PGM_RSRC2:TIDIG_COMP_CNT: 0
	.section	.text._ZN7rocprim17ROCPRIM_400000_NS6detail17trampoline_kernelINS0_14default_configENS1_25partition_config_selectorILNS1_17partition_subalgoE8EiNS0_10empty_typeEbEEZZNS1_14partition_implILS5_8ELb0ES3_jPKiPS6_PKS6_NS0_5tupleIJPiS6_EEENSE_IJSB_SB_EEENS0_18inequality_wrapperIN6hipcub16HIPCUB_304000_NS8EqualityEEEPlJS6_EEE10hipError_tPvRmT3_T4_T5_T6_T7_T9_mT8_P12ihipStream_tbDpT10_ENKUlT_T0_E_clISt17integral_constantIbLb1EES16_IbLb0EEEEDaS12_S13_EUlS12_E_NS1_11comp_targetILNS1_3genE3ELNS1_11target_archE908ELNS1_3gpuE7ELNS1_3repE0EEENS1_30default_config_static_selectorELNS0_4arch9wavefront6targetE0EEEvT1_,"axG",@progbits,_ZN7rocprim17ROCPRIM_400000_NS6detail17trampoline_kernelINS0_14default_configENS1_25partition_config_selectorILNS1_17partition_subalgoE8EiNS0_10empty_typeEbEEZZNS1_14partition_implILS5_8ELb0ES3_jPKiPS6_PKS6_NS0_5tupleIJPiS6_EEENSE_IJSB_SB_EEENS0_18inequality_wrapperIN6hipcub16HIPCUB_304000_NS8EqualityEEEPlJS6_EEE10hipError_tPvRmT3_T4_T5_T6_T7_T9_mT8_P12ihipStream_tbDpT10_ENKUlT_T0_E_clISt17integral_constantIbLb1EES16_IbLb0EEEEDaS12_S13_EUlS12_E_NS1_11comp_targetILNS1_3genE3ELNS1_11target_archE908ELNS1_3gpuE7ELNS1_3repE0EEENS1_30default_config_static_selectorELNS0_4arch9wavefront6targetE0EEEvT1_,comdat
	.protected	_ZN7rocprim17ROCPRIM_400000_NS6detail17trampoline_kernelINS0_14default_configENS1_25partition_config_selectorILNS1_17partition_subalgoE8EiNS0_10empty_typeEbEEZZNS1_14partition_implILS5_8ELb0ES3_jPKiPS6_PKS6_NS0_5tupleIJPiS6_EEENSE_IJSB_SB_EEENS0_18inequality_wrapperIN6hipcub16HIPCUB_304000_NS8EqualityEEEPlJS6_EEE10hipError_tPvRmT3_T4_T5_T6_T7_T9_mT8_P12ihipStream_tbDpT10_ENKUlT_T0_E_clISt17integral_constantIbLb1EES16_IbLb0EEEEDaS12_S13_EUlS12_E_NS1_11comp_targetILNS1_3genE3ELNS1_11target_archE908ELNS1_3gpuE7ELNS1_3repE0EEENS1_30default_config_static_selectorELNS0_4arch9wavefront6targetE0EEEvT1_ ; -- Begin function _ZN7rocprim17ROCPRIM_400000_NS6detail17trampoline_kernelINS0_14default_configENS1_25partition_config_selectorILNS1_17partition_subalgoE8EiNS0_10empty_typeEbEEZZNS1_14partition_implILS5_8ELb0ES3_jPKiPS6_PKS6_NS0_5tupleIJPiS6_EEENSE_IJSB_SB_EEENS0_18inequality_wrapperIN6hipcub16HIPCUB_304000_NS8EqualityEEEPlJS6_EEE10hipError_tPvRmT3_T4_T5_T6_T7_T9_mT8_P12ihipStream_tbDpT10_ENKUlT_T0_E_clISt17integral_constantIbLb1EES16_IbLb0EEEEDaS12_S13_EUlS12_E_NS1_11comp_targetILNS1_3genE3ELNS1_11target_archE908ELNS1_3gpuE7ELNS1_3repE0EEENS1_30default_config_static_selectorELNS0_4arch9wavefront6targetE0EEEvT1_
	.globl	_ZN7rocprim17ROCPRIM_400000_NS6detail17trampoline_kernelINS0_14default_configENS1_25partition_config_selectorILNS1_17partition_subalgoE8EiNS0_10empty_typeEbEEZZNS1_14partition_implILS5_8ELb0ES3_jPKiPS6_PKS6_NS0_5tupleIJPiS6_EEENSE_IJSB_SB_EEENS0_18inequality_wrapperIN6hipcub16HIPCUB_304000_NS8EqualityEEEPlJS6_EEE10hipError_tPvRmT3_T4_T5_T6_T7_T9_mT8_P12ihipStream_tbDpT10_ENKUlT_T0_E_clISt17integral_constantIbLb1EES16_IbLb0EEEEDaS12_S13_EUlS12_E_NS1_11comp_targetILNS1_3genE3ELNS1_11target_archE908ELNS1_3gpuE7ELNS1_3repE0EEENS1_30default_config_static_selectorELNS0_4arch9wavefront6targetE0EEEvT1_
	.p2align	8
	.type	_ZN7rocprim17ROCPRIM_400000_NS6detail17trampoline_kernelINS0_14default_configENS1_25partition_config_selectorILNS1_17partition_subalgoE8EiNS0_10empty_typeEbEEZZNS1_14partition_implILS5_8ELb0ES3_jPKiPS6_PKS6_NS0_5tupleIJPiS6_EEENSE_IJSB_SB_EEENS0_18inequality_wrapperIN6hipcub16HIPCUB_304000_NS8EqualityEEEPlJS6_EEE10hipError_tPvRmT3_T4_T5_T6_T7_T9_mT8_P12ihipStream_tbDpT10_ENKUlT_T0_E_clISt17integral_constantIbLb1EES16_IbLb0EEEEDaS12_S13_EUlS12_E_NS1_11comp_targetILNS1_3genE3ELNS1_11target_archE908ELNS1_3gpuE7ELNS1_3repE0EEENS1_30default_config_static_selectorELNS0_4arch9wavefront6targetE0EEEvT1_,@function
_ZN7rocprim17ROCPRIM_400000_NS6detail17trampoline_kernelINS0_14default_configENS1_25partition_config_selectorILNS1_17partition_subalgoE8EiNS0_10empty_typeEbEEZZNS1_14partition_implILS5_8ELb0ES3_jPKiPS6_PKS6_NS0_5tupleIJPiS6_EEENSE_IJSB_SB_EEENS0_18inequality_wrapperIN6hipcub16HIPCUB_304000_NS8EqualityEEEPlJS6_EEE10hipError_tPvRmT3_T4_T5_T6_T7_T9_mT8_P12ihipStream_tbDpT10_ENKUlT_T0_E_clISt17integral_constantIbLb1EES16_IbLb0EEEEDaS12_S13_EUlS12_E_NS1_11comp_targetILNS1_3genE3ELNS1_11target_archE908ELNS1_3gpuE7ELNS1_3repE0EEENS1_30default_config_static_selectorELNS0_4arch9wavefront6targetE0EEEvT1_: ; @_ZN7rocprim17ROCPRIM_400000_NS6detail17trampoline_kernelINS0_14default_configENS1_25partition_config_selectorILNS1_17partition_subalgoE8EiNS0_10empty_typeEbEEZZNS1_14partition_implILS5_8ELb0ES3_jPKiPS6_PKS6_NS0_5tupleIJPiS6_EEENSE_IJSB_SB_EEENS0_18inequality_wrapperIN6hipcub16HIPCUB_304000_NS8EqualityEEEPlJS6_EEE10hipError_tPvRmT3_T4_T5_T6_T7_T9_mT8_P12ihipStream_tbDpT10_ENKUlT_T0_E_clISt17integral_constantIbLb1EES16_IbLb0EEEEDaS12_S13_EUlS12_E_NS1_11comp_targetILNS1_3genE3ELNS1_11target_archE908ELNS1_3gpuE7ELNS1_3repE0EEENS1_30default_config_static_selectorELNS0_4arch9wavefront6targetE0EEEvT1_
; %bb.0:
	.section	.rodata,"a",@progbits
	.p2align	6, 0x0
	.amdhsa_kernel _ZN7rocprim17ROCPRIM_400000_NS6detail17trampoline_kernelINS0_14default_configENS1_25partition_config_selectorILNS1_17partition_subalgoE8EiNS0_10empty_typeEbEEZZNS1_14partition_implILS5_8ELb0ES3_jPKiPS6_PKS6_NS0_5tupleIJPiS6_EEENSE_IJSB_SB_EEENS0_18inequality_wrapperIN6hipcub16HIPCUB_304000_NS8EqualityEEEPlJS6_EEE10hipError_tPvRmT3_T4_T5_T6_T7_T9_mT8_P12ihipStream_tbDpT10_ENKUlT_T0_E_clISt17integral_constantIbLb1EES16_IbLb0EEEEDaS12_S13_EUlS12_E_NS1_11comp_targetILNS1_3genE3ELNS1_11target_archE908ELNS1_3gpuE7ELNS1_3repE0EEENS1_30default_config_static_selectorELNS0_4arch9wavefront6targetE0EEEvT1_
		.amdhsa_group_segment_fixed_size 0
		.amdhsa_private_segment_fixed_size 0
		.amdhsa_kernarg_size 112
		.amdhsa_user_sgpr_count 6
		.amdhsa_user_sgpr_private_segment_buffer 1
		.amdhsa_user_sgpr_dispatch_ptr 0
		.amdhsa_user_sgpr_queue_ptr 0
		.amdhsa_user_sgpr_kernarg_segment_ptr 1
		.amdhsa_user_sgpr_dispatch_id 0
		.amdhsa_user_sgpr_flat_scratch_init 0
		.amdhsa_user_sgpr_private_segment_size 0
		.amdhsa_wavefront_size32 1
		.amdhsa_uses_dynamic_stack 0
		.amdhsa_system_sgpr_private_segment_wavefront_offset 0
		.amdhsa_system_sgpr_workgroup_id_x 1
		.amdhsa_system_sgpr_workgroup_id_y 0
		.amdhsa_system_sgpr_workgroup_id_z 0
		.amdhsa_system_sgpr_workgroup_info 0
		.amdhsa_system_vgpr_workitem_id 0
		.amdhsa_next_free_vgpr 1
		.amdhsa_next_free_sgpr 1
		.amdhsa_reserve_vcc 0
		.amdhsa_reserve_flat_scratch 0
		.amdhsa_float_round_mode_32 0
		.amdhsa_float_round_mode_16_64 0
		.amdhsa_float_denorm_mode_32 3
		.amdhsa_float_denorm_mode_16_64 3
		.amdhsa_dx10_clamp 1
		.amdhsa_ieee_mode 1
		.amdhsa_fp16_overflow 0
		.amdhsa_workgroup_processor_mode 1
		.amdhsa_memory_ordered 1
		.amdhsa_forward_progress 1
		.amdhsa_shared_vgpr_count 0
		.amdhsa_exception_fp_ieee_invalid_op 0
		.amdhsa_exception_fp_denorm_src 0
		.amdhsa_exception_fp_ieee_div_zero 0
		.amdhsa_exception_fp_ieee_overflow 0
		.amdhsa_exception_fp_ieee_underflow 0
		.amdhsa_exception_fp_ieee_inexact 0
		.amdhsa_exception_int_div_zero 0
	.end_amdhsa_kernel
	.section	.text._ZN7rocprim17ROCPRIM_400000_NS6detail17trampoline_kernelINS0_14default_configENS1_25partition_config_selectorILNS1_17partition_subalgoE8EiNS0_10empty_typeEbEEZZNS1_14partition_implILS5_8ELb0ES3_jPKiPS6_PKS6_NS0_5tupleIJPiS6_EEENSE_IJSB_SB_EEENS0_18inequality_wrapperIN6hipcub16HIPCUB_304000_NS8EqualityEEEPlJS6_EEE10hipError_tPvRmT3_T4_T5_T6_T7_T9_mT8_P12ihipStream_tbDpT10_ENKUlT_T0_E_clISt17integral_constantIbLb1EES16_IbLb0EEEEDaS12_S13_EUlS12_E_NS1_11comp_targetILNS1_3genE3ELNS1_11target_archE908ELNS1_3gpuE7ELNS1_3repE0EEENS1_30default_config_static_selectorELNS0_4arch9wavefront6targetE0EEEvT1_,"axG",@progbits,_ZN7rocprim17ROCPRIM_400000_NS6detail17trampoline_kernelINS0_14default_configENS1_25partition_config_selectorILNS1_17partition_subalgoE8EiNS0_10empty_typeEbEEZZNS1_14partition_implILS5_8ELb0ES3_jPKiPS6_PKS6_NS0_5tupleIJPiS6_EEENSE_IJSB_SB_EEENS0_18inequality_wrapperIN6hipcub16HIPCUB_304000_NS8EqualityEEEPlJS6_EEE10hipError_tPvRmT3_T4_T5_T6_T7_T9_mT8_P12ihipStream_tbDpT10_ENKUlT_T0_E_clISt17integral_constantIbLb1EES16_IbLb0EEEEDaS12_S13_EUlS12_E_NS1_11comp_targetILNS1_3genE3ELNS1_11target_archE908ELNS1_3gpuE7ELNS1_3repE0EEENS1_30default_config_static_selectorELNS0_4arch9wavefront6targetE0EEEvT1_,comdat
.Lfunc_end207:
	.size	_ZN7rocprim17ROCPRIM_400000_NS6detail17trampoline_kernelINS0_14default_configENS1_25partition_config_selectorILNS1_17partition_subalgoE8EiNS0_10empty_typeEbEEZZNS1_14partition_implILS5_8ELb0ES3_jPKiPS6_PKS6_NS0_5tupleIJPiS6_EEENSE_IJSB_SB_EEENS0_18inequality_wrapperIN6hipcub16HIPCUB_304000_NS8EqualityEEEPlJS6_EEE10hipError_tPvRmT3_T4_T5_T6_T7_T9_mT8_P12ihipStream_tbDpT10_ENKUlT_T0_E_clISt17integral_constantIbLb1EES16_IbLb0EEEEDaS12_S13_EUlS12_E_NS1_11comp_targetILNS1_3genE3ELNS1_11target_archE908ELNS1_3gpuE7ELNS1_3repE0EEENS1_30default_config_static_selectorELNS0_4arch9wavefront6targetE0EEEvT1_, .Lfunc_end207-_ZN7rocprim17ROCPRIM_400000_NS6detail17trampoline_kernelINS0_14default_configENS1_25partition_config_selectorILNS1_17partition_subalgoE8EiNS0_10empty_typeEbEEZZNS1_14partition_implILS5_8ELb0ES3_jPKiPS6_PKS6_NS0_5tupleIJPiS6_EEENSE_IJSB_SB_EEENS0_18inequality_wrapperIN6hipcub16HIPCUB_304000_NS8EqualityEEEPlJS6_EEE10hipError_tPvRmT3_T4_T5_T6_T7_T9_mT8_P12ihipStream_tbDpT10_ENKUlT_T0_E_clISt17integral_constantIbLb1EES16_IbLb0EEEEDaS12_S13_EUlS12_E_NS1_11comp_targetILNS1_3genE3ELNS1_11target_archE908ELNS1_3gpuE7ELNS1_3repE0EEENS1_30default_config_static_selectorELNS0_4arch9wavefront6targetE0EEEvT1_
                                        ; -- End function
	.set _ZN7rocprim17ROCPRIM_400000_NS6detail17trampoline_kernelINS0_14default_configENS1_25partition_config_selectorILNS1_17partition_subalgoE8EiNS0_10empty_typeEbEEZZNS1_14partition_implILS5_8ELb0ES3_jPKiPS6_PKS6_NS0_5tupleIJPiS6_EEENSE_IJSB_SB_EEENS0_18inequality_wrapperIN6hipcub16HIPCUB_304000_NS8EqualityEEEPlJS6_EEE10hipError_tPvRmT3_T4_T5_T6_T7_T9_mT8_P12ihipStream_tbDpT10_ENKUlT_T0_E_clISt17integral_constantIbLb1EES16_IbLb0EEEEDaS12_S13_EUlS12_E_NS1_11comp_targetILNS1_3genE3ELNS1_11target_archE908ELNS1_3gpuE7ELNS1_3repE0EEENS1_30default_config_static_selectorELNS0_4arch9wavefront6targetE0EEEvT1_.num_vgpr, 0
	.set _ZN7rocprim17ROCPRIM_400000_NS6detail17trampoline_kernelINS0_14default_configENS1_25partition_config_selectorILNS1_17partition_subalgoE8EiNS0_10empty_typeEbEEZZNS1_14partition_implILS5_8ELb0ES3_jPKiPS6_PKS6_NS0_5tupleIJPiS6_EEENSE_IJSB_SB_EEENS0_18inequality_wrapperIN6hipcub16HIPCUB_304000_NS8EqualityEEEPlJS6_EEE10hipError_tPvRmT3_T4_T5_T6_T7_T9_mT8_P12ihipStream_tbDpT10_ENKUlT_T0_E_clISt17integral_constantIbLb1EES16_IbLb0EEEEDaS12_S13_EUlS12_E_NS1_11comp_targetILNS1_3genE3ELNS1_11target_archE908ELNS1_3gpuE7ELNS1_3repE0EEENS1_30default_config_static_selectorELNS0_4arch9wavefront6targetE0EEEvT1_.num_agpr, 0
	.set _ZN7rocprim17ROCPRIM_400000_NS6detail17trampoline_kernelINS0_14default_configENS1_25partition_config_selectorILNS1_17partition_subalgoE8EiNS0_10empty_typeEbEEZZNS1_14partition_implILS5_8ELb0ES3_jPKiPS6_PKS6_NS0_5tupleIJPiS6_EEENSE_IJSB_SB_EEENS0_18inequality_wrapperIN6hipcub16HIPCUB_304000_NS8EqualityEEEPlJS6_EEE10hipError_tPvRmT3_T4_T5_T6_T7_T9_mT8_P12ihipStream_tbDpT10_ENKUlT_T0_E_clISt17integral_constantIbLb1EES16_IbLb0EEEEDaS12_S13_EUlS12_E_NS1_11comp_targetILNS1_3genE3ELNS1_11target_archE908ELNS1_3gpuE7ELNS1_3repE0EEENS1_30default_config_static_selectorELNS0_4arch9wavefront6targetE0EEEvT1_.numbered_sgpr, 0
	.set _ZN7rocprim17ROCPRIM_400000_NS6detail17trampoline_kernelINS0_14default_configENS1_25partition_config_selectorILNS1_17partition_subalgoE8EiNS0_10empty_typeEbEEZZNS1_14partition_implILS5_8ELb0ES3_jPKiPS6_PKS6_NS0_5tupleIJPiS6_EEENSE_IJSB_SB_EEENS0_18inequality_wrapperIN6hipcub16HIPCUB_304000_NS8EqualityEEEPlJS6_EEE10hipError_tPvRmT3_T4_T5_T6_T7_T9_mT8_P12ihipStream_tbDpT10_ENKUlT_T0_E_clISt17integral_constantIbLb1EES16_IbLb0EEEEDaS12_S13_EUlS12_E_NS1_11comp_targetILNS1_3genE3ELNS1_11target_archE908ELNS1_3gpuE7ELNS1_3repE0EEENS1_30default_config_static_selectorELNS0_4arch9wavefront6targetE0EEEvT1_.num_named_barrier, 0
	.set _ZN7rocprim17ROCPRIM_400000_NS6detail17trampoline_kernelINS0_14default_configENS1_25partition_config_selectorILNS1_17partition_subalgoE8EiNS0_10empty_typeEbEEZZNS1_14partition_implILS5_8ELb0ES3_jPKiPS6_PKS6_NS0_5tupleIJPiS6_EEENSE_IJSB_SB_EEENS0_18inequality_wrapperIN6hipcub16HIPCUB_304000_NS8EqualityEEEPlJS6_EEE10hipError_tPvRmT3_T4_T5_T6_T7_T9_mT8_P12ihipStream_tbDpT10_ENKUlT_T0_E_clISt17integral_constantIbLb1EES16_IbLb0EEEEDaS12_S13_EUlS12_E_NS1_11comp_targetILNS1_3genE3ELNS1_11target_archE908ELNS1_3gpuE7ELNS1_3repE0EEENS1_30default_config_static_selectorELNS0_4arch9wavefront6targetE0EEEvT1_.private_seg_size, 0
	.set _ZN7rocprim17ROCPRIM_400000_NS6detail17trampoline_kernelINS0_14default_configENS1_25partition_config_selectorILNS1_17partition_subalgoE8EiNS0_10empty_typeEbEEZZNS1_14partition_implILS5_8ELb0ES3_jPKiPS6_PKS6_NS0_5tupleIJPiS6_EEENSE_IJSB_SB_EEENS0_18inequality_wrapperIN6hipcub16HIPCUB_304000_NS8EqualityEEEPlJS6_EEE10hipError_tPvRmT3_T4_T5_T6_T7_T9_mT8_P12ihipStream_tbDpT10_ENKUlT_T0_E_clISt17integral_constantIbLb1EES16_IbLb0EEEEDaS12_S13_EUlS12_E_NS1_11comp_targetILNS1_3genE3ELNS1_11target_archE908ELNS1_3gpuE7ELNS1_3repE0EEENS1_30default_config_static_selectorELNS0_4arch9wavefront6targetE0EEEvT1_.uses_vcc, 0
	.set _ZN7rocprim17ROCPRIM_400000_NS6detail17trampoline_kernelINS0_14default_configENS1_25partition_config_selectorILNS1_17partition_subalgoE8EiNS0_10empty_typeEbEEZZNS1_14partition_implILS5_8ELb0ES3_jPKiPS6_PKS6_NS0_5tupleIJPiS6_EEENSE_IJSB_SB_EEENS0_18inequality_wrapperIN6hipcub16HIPCUB_304000_NS8EqualityEEEPlJS6_EEE10hipError_tPvRmT3_T4_T5_T6_T7_T9_mT8_P12ihipStream_tbDpT10_ENKUlT_T0_E_clISt17integral_constantIbLb1EES16_IbLb0EEEEDaS12_S13_EUlS12_E_NS1_11comp_targetILNS1_3genE3ELNS1_11target_archE908ELNS1_3gpuE7ELNS1_3repE0EEENS1_30default_config_static_selectorELNS0_4arch9wavefront6targetE0EEEvT1_.uses_flat_scratch, 0
	.set _ZN7rocprim17ROCPRIM_400000_NS6detail17trampoline_kernelINS0_14default_configENS1_25partition_config_selectorILNS1_17partition_subalgoE8EiNS0_10empty_typeEbEEZZNS1_14partition_implILS5_8ELb0ES3_jPKiPS6_PKS6_NS0_5tupleIJPiS6_EEENSE_IJSB_SB_EEENS0_18inequality_wrapperIN6hipcub16HIPCUB_304000_NS8EqualityEEEPlJS6_EEE10hipError_tPvRmT3_T4_T5_T6_T7_T9_mT8_P12ihipStream_tbDpT10_ENKUlT_T0_E_clISt17integral_constantIbLb1EES16_IbLb0EEEEDaS12_S13_EUlS12_E_NS1_11comp_targetILNS1_3genE3ELNS1_11target_archE908ELNS1_3gpuE7ELNS1_3repE0EEENS1_30default_config_static_selectorELNS0_4arch9wavefront6targetE0EEEvT1_.has_dyn_sized_stack, 0
	.set _ZN7rocprim17ROCPRIM_400000_NS6detail17trampoline_kernelINS0_14default_configENS1_25partition_config_selectorILNS1_17partition_subalgoE8EiNS0_10empty_typeEbEEZZNS1_14partition_implILS5_8ELb0ES3_jPKiPS6_PKS6_NS0_5tupleIJPiS6_EEENSE_IJSB_SB_EEENS0_18inequality_wrapperIN6hipcub16HIPCUB_304000_NS8EqualityEEEPlJS6_EEE10hipError_tPvRmT3_T4_T5_T6_T7_T9_mT8_P12ihipStream_tbDpT10_ENKUlT_T0_E_clISt17integral_constantIbLb1EES16_IbLb0EEEEDaS12_S13_EUlS12_E_NS1_11comp_targetILNS1_3genE3ELNS1_11target_archE908ELNS1_3gpuE7ELNS1_3repE0EEENS1_30default_config_static_selectorELNS0_4arch9wavefront6targetE0EEEvT1_.has_recursion, 0
	.set _ZN7rocprim17ROCPRIM_400000_NS6detail17trampoline_kernelINS0_14default_configENS1_25partition_config_selectorILNS1_17partition_subalgoE8EiNS0_10empty_typeEbEEZZNS1_14partition_implILS5_8ELb0ES3_jPKiPS6_PKS6_NS0_5tupleIJPiS6_EEENSE_IJSB_SB_EEENS0_18inequality_wrapperIN6hipcub16HIPCUB_304000_NS8EqualityEEEPlJS6_EEE10hipError_tPvRmT3_T4_T5_T6_T7_T9_mT8_P12ihipStream_tbDpT10_ENKUlT_T0_E_clISt17integral_constantIbLb1EES16_IbLb0EEEEDaS12_S13_EUlS12_E_NS1_11comp_targetILNS1_3genE3ELNS1_11target_archE908ELNS1_3gpuE7ELNS1_3repE0EEENS1_30default_config_static_selectorELNS0_4arch9wavefront6targetE0EEEvT1_.has_indirect_call, 0
	.section	.AMDGPU.csdata,"",@progbits
; Kernel info:
; codeLenInByte = 0
; TotalNumSgprs: 0
; NumVgprs: 0
; ScratchSize: 0
; MemoryBound: 0
; FloatMode: 240
; IeeeMode: 1
; LDSByteSize: 0 bytes/workgroup (compile time only)
; SGPRBlocks: 0
; VGPRBlocks: 0
; NumSGPRsForWavesPerEU: 1
; NumVGPRsForWavesPerEU: 1
; Occupancy: 16
; WaveLimiterHint : 0
; COMPUTE_PGM_RSRC2:SCRATCH_EN: 0
; COMPUTE_PGM_RSRC2:USER_SGPR: 6
; COMPUTE_PGM_RSRC2:TRAP_HANDLER: 0
; COMPUTE_PGM_RSRC2:TGID_X_EN: 1
; COMPUTE_PGM_RSRC2:TGID_Y_EN: 0
; COMPUTE_PGM_RSRC2:TGID_Z_EN: 0
; COMPUTE_PGM_RSRC2:TIDIG_COMP_CNT: 0
	.section	.text._ZN7rocprim17ROCPRIM_400000_NS6detail17trampoline_kernelINS0_14default_configENS1_25partition_config_selectorILNS1_17partition_subalgoE8EiNS0_10empty_typeEbEEZZNS1_14partition_implILS5_8ELb0ES3_jPKiPS6_PKS6_NS0_5tupleIJPiS6_EEENSE_IJSB_SB_EEENS0_18inequality_wrapperIN6hipcub16HIPCUB_304000_NS8EqualityEEEPlJS6_EEE10hipError_tPvRmT3_T4_T5_T6_T7_T9_mT8_P12ihipStream_tbDpT10_ENKUlT_T0_E_clISt17integral_constantIbLb1EES16_IbLb0EEEEDaS12_S13_EUlS12_E_NS1_11comp_targetILNS1_3genE2ELNS1_11target_archE906ELNS1_3gpuE6ELNS1_3repE0EEENS1_30default_config_static_selectorELNS0_4arch9wavefront6targetE0EEEvT1_,"axG",@progbits,_ZN7rocprim17ROCPRIM_400000_NS6detail17trampoline_kernelINS0_14default_configENS1_25partition_config_selectorILNS1_17partition_subalgoE8EiNS0_10empty_typeEbEEZZNS1_14partition_implILS5_8ELb0ES3_jPKiPS6_PKS6_NS0_5tupleIJPiS6_EEENSE_IJSB_SB_EEENS0_18inequality_wrapperIN6hipcub16HIPCUB_304000_NS8EqualityEEEPlJS6_EEE10hipError_tPvRmT3_T4_T5_T6_T7_T9_mT8_P12ihipStream_tbDpT10_ENKUlT_T0_E_clISt17integral_constantIbLb1EES16_IbLb0EEEEDaS12_S13_EUlS12_E_NS1_11comp_targetILNS1_3genE2ELNS1_11target_archE906ELNS1_3gpuE6ELNS1_3repE0EEENS1_30default_config_static_selectorELNS0_4arch9wavefront6targetE0EEEvT1_,comdat
	.protected	_ZN7rocprim17ROCPRIM_400000_NS6detail17trampoline_kernelINS0_14default_configENS1_25partition_config_selectorILNS1_17partition_subalgoE8EiNS0_10empty_typeEbEEZZNS1_14partition_implILS5_8ELb0ES3_jPKiPS6_PKS6_NS0_5tupleIJPiS6_EEENSE_IJSB_SB_EEENS0_18inequality_wrapperIN6hipcub16HIPCUB_304000_NS8EqualityEEEPlJS6_EEE10hipError_tPvRmT3_T4_T5_T6_T7_T9_mT8_P12ihipStream_tbDpT10_ENKUlT_T0_E_clISt17integral_constantIbLb1EES16_IbLb0EEEEDaS12_S13_EUlS12_E_NS1_11comp_targetILNS1_3genE2ELNS1_11target_archE906ELNS1_3gpuE6ELNS1_3repE0EEENS1_30default_config_static_selectorELNS0_4arch9wavefront6targetE0EEEvT1_ ; -- Begin function _ZN7rocprim17ROCPRIM_400000_NS6detail17trampoline_kernelINS0_14default_configENS1_25partition_config_selectorILNS1_17partition_subalgoE8EiNS0_10empty_typeEbEEZZNS1_14partition_implILS5_8ELb0ES3_jPKiPS6_PKS6_NS0_5tupleIJPiS6_EEENSE_IJSB_SB_EEENS0_18inequality_wrapperIN6hipcub16HIPCUB_304000_NS8EqualityEEEPlJS6_EEE10hipError_tPvRmT3_T4_T5_T6_T7_T9_mT8_P12ihipStream_tbDpT10_ENKUlT_T0_E_clISt17integral_constantIbLb1EES16_IbLb0EEEEDaS12_S13_EUlS12_E_NS1_11comp_targetILNS1_3genE2ELNS1_11target_archE906ELNS1_3gpuE6ELNS1_3repE0EEENS1_30default_config_static_selectorELNS0_4arch9wavefront6targetE0EEEvT1_
	.globl	_ZN7rocprim17ROCPRIM_400000_NS6detail17trampoline_kernelINS0_14default_configENS1_25partition_config_selectorILNS1_17partition_subalgoE8EiNS0_10empty_typeEbEEZZNS1_14partition_implILS5_8ELb0ES3_jPKiPS6_PKS6_NS0_5tupleIJPiS6_EEENSE_IJSB_SB_EEENS0_18inequality_wrapperIN6hipcub16HIPCUB_304000_NS8EqualityEEEPlJS6_EEE10hipError_tPvRmT3_T4_T5_T6_T7_T9_mT8_P12ihipStream_tbDpT10_ENKUlT_T0_E_clISt17integral_constantIbLb1EES16_IbLb0EEEEDaS12_S13_EUlS12_E_NS1_11comp_targetILNS1_3genE2ELNS1_11target_archE906ELNS1_3gpuE6ELNS1_3repE0EEENS1_30default_config_static_selectorELNS0_4arch9wavefront6targetE0EEEvT1_
	.p2align	8
	.type	_ZN7rocprim17ROCPRIM_400000_NS6detail17trampoline_kernelINS0_14default_configENS1_25partition_config_selectorILNS1_17partition_subalgoE8EiNS0_10empty_typeEbEEZZNS1_14partition_implILS5_8ELb0ES3_jPKiPS6_PKS6_NS0_5tupleIJPiS6_EEENSE_IJSB_SB_EEENS0_18inequality_wrapperIN6hipcub16HIPCUB_304000_NS8EqualityEEEPlJS6_EEE10hipError_tPvRmT3_T4_T5_T6_T7_T9_mT8_P12ihipStream_tbDpT10_ENKUlT_T0_E_clISt17integral_constantIbLb1EES16_IbLb0EEEEDaS12_S13_EUlS12_E_NS1_11comp_targetILNS1_3genE2ELNS1_11target_archE906ELNS1_3gpuE6ELNS1_3repE0EEENS1_30default_config_static_selectorELNS0_4arch9wavefront6targetE0EEEvT1_,@function
_ZN7rocprim17ROCPRIM_400000_NS6detail17trampoline_kernelINS0_14default_configENS1_25partition_config_selectorILNS1_17partition_subalgoE8EiNS0_10empty_typeEbEEZZNS1_14partition_implILS5_8ELb0ES3_jPKiPS6_PKS6_NS0_5tupleIJPiS6_EEENSE_IJSB_SB_EEENS0_18inequality_wrapperIN6hipcub16HIPCUB_304000_NS8EqualityEEEPlJS6_EEE10hipError_tPvRmT3_T4_T5_T6_T7_T9_mT8_P12ihipStream_tbDpT10_ENKUlT_T0_E_clISt17integral_constantIbLb1EES16_IbLb0EEEEDaS12_S13_EUlS12_E_NS1_11comp_targetILNS1_3genE2ELNS1_11target_archE906ELNS1_3gpuE6ELNS1_3repE0EEENS1_30default_config_static_selectorELNS0_4arch9wavefront6targetE0EEEvT1_: ; @_ZN7rocprim17ROCPRIM_400000_NS6detail17trampoline_kernelINS0_14default_configENS1_25partition_config_selectorILNS1_17partition_subalgoE8EiNS0_10empty_typeEbEEZZNS1_14partition_implILS5_8ELb0ES3_jPKiPS6_PKS6_NS0_5tupleIJPiS6_EEENSE_IJSB_SB_EEENS0_18inequality_wrapperIN6hipcub16HIPCUB_304000_NS8EqualityEEEPlJS6_EEE10hipError_tPvRmT3_T4_T5_T6_T7_T9_mT8_P12ihipStream_tbDpT10_ENKUlT_T0_E_clISt17integral_constantIbLb1EES16_IbLb0EEEEDaS12_S13_EUlS12_E_NS1_11comp_targetILNS1_3genE2ELNS1_11target_archE906ELNS1_3gpuE6ELNS1_3repE0EEENS1_30default_config_static_selectorELNS0_4arch9wavefront6targetE0EEEvT1_
; %bb.0:
	.section	.rodata,"a",@progbits
	.p2align	6, 0x0
	.amdhsa_kernel _ZN7rocprim17ROCPRIM_400000_NS6detail17trampoline_kernelINS0_14default_configENS1_25partition_config_selectorILNS1_17partition_subalgoE8EiNS0_10empty_typeEbEEZZNS1_14partition_implILS5_8ELb0ES3_jPKiPS6_PKS6_NS0_5tupleIJPiS6_EEENSE_IJSB_SB_EEENS0_18inequality_wrapperIN6hipcub16HIPCUB_304000_NS8EqualityEEEPlJS6_EEE10hipError_tPvRmT3_T4_T5_T6_T7_T9_mT8_P12ihipStream_tbDpT10_ENKUlT_T0_E_clISt17integral_constantIbLb1EES16_IbLb0EEEEDaS12_S13_EUlS12_E_NS1_11comp_targetILNS1_3genE2ELNS1_11target_archE906ELNS1_3gpuE6ELNS1_3repE0EEENS1_30default_config_static_selectorELNS0_4arch9wavefront6targetE0EEEvT1_
		.amdhsa_group_segment_fixed_size 0
		.amdhsa_private_segment_fixed_size 0
		.amdhsa_kernarg_size 112
		.amdhsa_user_sgpr_count 6
		.amdhsa_user_sgpr_private_segment_buffer 1
		.amdhsa_user_sgpr_dispatch_ptr 0
		.amdhsa_user_sgpr_queue_ptr 0
		.amdhsa_user_sgpr_kernarg_segment_ptr 1
		.amdhsa_user_sgpr_dispatch_id 0
		.amdhsa_user_sgpr_flat_scratch_init 0
		.amdhsa_user_sgpr_private_segment_size 0
		.amdhsa_wavefront_size32 1
		.amdhsa_uses_dynamic_stack 0
		.amdhsa_system_sgpr_private_segment_wavefront_offset 0
		.amdhsa_system_sgpr_workgroup_id_x 1
		.amdhsa_system_sgpr_workgroup_id_y 0
		.amdhsa_system_sgpr_workgroup_id_z 0
		.amdhsa_system_sgpr_workgroup_info 0
		.amdhsa_system_vgpr_workitem_id 0
		.amdhsa_next_free_vgpr 1
		.amdhsa_next_free_sgpr 1
		.amdhsa_reserve_vcc 0
		.amdhsa_reserve_flat_scratch 0
		.amdhsa_float_round_mode_32 0
		.amdhsa_float_round_mode_16_64 0
		.amdhsa_float_denorm_mode_32 3
		.amdhsa_float_denorm_mode_16_64 3
		.amdhsa_dx10_clamp 1
		.amdhsa_ieee_mode 1
		.amdhsa_fp16_overflow 0
		.amdhsa_workgroup_processor_mode 1
		.amdhsa_memory_ordered 1
		.amdhsa_forward_progress 1
		.amdhsa_shared_vgpr_count 0
		.amdhsa_exception_fp_ieee_invalid_op 0
		.amdhsa_exception_fp_denorm_src 0
		.amdhsa_exception_fp_ieee_div_zero 0
		.amdhsa_exception_fp_ieee_overflow 0
		.amdhsa_exception_fp_ieee_underflow 0
		.amdhsa_exception_fp_ieee_inexact 0
		.amdhsa_exception_int_div_zero 0
	.end_amdhsa_kernel
	.section	.text._ZN7rocprim17ROCPRIM_400000_NS6detail17trampoline_kernelINS0_14default_configENS1_25partition_config_selectorILNS1_17partition_subalgoE8EiNS0_10empty_typeEbEEZZNS1_14partition_implILS5_8ELb0ES3_jPKiPS6_PKS6_NS0_5tupleIJPiS6_EEENSE_IJSB_SB_EEENS0_18inequality_wrapperIN6hipcub16HIPCUB_304000_NS8EqualityEEEPlJS6_EEE10hipError_tPvRmT3_T4_T5_T6_T7_T9_mT8_P12ihipStream_tbDpT10_ENKUlT_T0_E_clISt17integral_constantIbLb1EES16_IbLb0EEEEDaS12_S13_EUlS12_E_NS1_11comp_targetILNS1_3genE2ELNS1_11target_archE906ELNS1_3gpuE6ELNS1_3repE0EEENS1_30default_config_static_selectorELNS0_4arch9wavefront6targetE0EEEvT1_,"axG",@progbits,_ZN7rocprim17ROCPRIM_400000_NS6detail17trampoline_kernelINS0_14default_configENS1_25partition_config_selectorILNS1_17partition_subalgoE8EiNS0_10empty_typeEbEEZZNS1_14partition_implILS5_8ELb0ES3_jPKiPS6_PKS6_NS0_5tupleIJPiS6_EEENSE_IJSB_SB_EEENS0_18inequality_wrapperIN6hipcub16HIPCUB_304000_NS8EqualityEEEPlJS6_EEE10hipError_tPvRmT3_T4_T5_T6_T7_T9_mT8_P12ihipStream_tbDpT10_ENKUlT_T0_E_clISt17integral_constantIbLb1EES16_IbLb0EEEEDaS12_S13_EUlS12_E_NS1_11comp_targetILNS1_3genE2ELNS1_11target_archE906ELNS1_3gpuE6ELNS1_3repE0EEENS1_30default_config_static_selectorELNS0_4arch9wavefront6targetE0EEEvT1_,comdat
.Lfunc_end208:
	.size	_ZN7rocprim17ROCPRIM_400000_NS6detail17trampoline_kernelINS0_14default_configENS1_25partition_config_selectorILNS1_17partition_subalgoE8EiNS0_10empty_typeEbEEZZNS1_14partition_implILS5_8ELb0ES3_jPKiPS6_PKS6_NS0_5tupleIJPiS6_EEENSE_IJSB_SB_EEENS0_18inequality_wrapperIN6hipcub16HIPCUB_304000_NS8EqualityEEEPlJS6_EEE10hipError_tPvRmT3_T4_T5_T6_T7_T9_mT8_P12ihipStream_tbDpT10_ENKUlT_T0_E_clISt17integral_constantIbLb1EES16_IbLb0EEEEDaS12_S13_EUlS12_E_NS1_11comp_targetILNS1_3genE2ELNS1_11target_archE906ELNS1_3gpuE6ELNS1_3repE0EEENS1_30default_config_static_selectorELNS0_4arch9wavefront6targetE0EEEvT1_, .Lfunc_end208-_ZN7rocprim17ROCPRIM_400000_NS6detail17trampoline_kernelINS0_14default_configENS1_25partition_config_selectorILNS1_17partition_subalgoE8EiNS0_10empty_typeEbEEZZNS1_14partition_implILS5_8ELb0ES3_jPKiPS6_PKS6_NS0_5tupleIJPiS6_EEENSE_IJSB_SB_EEENS0_18inequality_wrapperIN6hipcub16HIPCUB_304000_NS8EqualityEEEPlJS6_EEE10hipError_tPvRmT3_T4_T5_T6_T7_T9_mT8_P12ihipStream_tbDpT10_ENKUlT_T0_E_clISt17integral_constantIbLb1EES16_IbLb0EEEEDaS12_S13_EUlS12_E_NS1_11comp_targetILNS1_3genE2ELNS1_11target_archE906ELNS1_3gpuE6ELNS1_3repE0EEENS1_30default_config_static_selectorELNS0_4arch9wavefront6targetE0EEEvT1_
                                        ; -- End function
	.set _ZN7rocprim17ROCPRIM_400000_NS6detail17trampoline_kernelINS0_14default_configENS1_25partition_config_selectorILNS1_17partition_subalgoE8EiNS0_10empty_typeEbEEZZNS1_14partition_implILS5_8ELb0ES3_jPKiPS6_PKS6_NS0_5tupleIJPiS6_EEENSE_IJSB_SB_EEENS0_18inequality_wrapperIN6hipcub16HIPCUB_304000_NS8EqualityEEEPlJS6_EEE10hipError_tPvRmT3_T4_T5_T6_T7_T9_mT8_P12ihipStream_tbDpT10_ENKUlT_T0_E_clISt17integral_constantIbLb1EES16_IbLb0EEEEDaS12_S13_EUlS12_E_NS1_11comp_targetILNS1_3genE2ELNS1_11target_archE906ELNS1_3gpuE6ELNS1_3repE0EEENS1_30default_config_static_selectorELNS0_4arch9wavefront6targetE0EEEvT1_.num_vgpr, 0
	.set _ZN7rocprim17ROCPRIM_400000_NS6detail17trampoline_kernelINS0_14default_configENS1_25partition_config_selectorILNS1_17partition_subalgoE8EiNS0_10empty_typeEbEEZZNS1_14partition_implILS5_8ELb0ES3_jPKiPS6_PKS6_NS0_5tupleIJPiS6_EEENSE_IJSB_SB_EEENS0_18inequality_wrapperIN6hipcub16HIPCUB_304000_NS8EqualityEEEPlJS6_EEE10hipError_tPvRmT3_T4_T5_T6_T7_T9_mT8_P12ihipStream_tbDpT10_ENKUlT_T0_E_clISt17integral_constantIbLb1EES16_IbLb0EEEEDaS12_S13_EUlS12_E_NS1_11comp_targetILNS1_3genE2ELNS1_11target_archE906ELNS1_3gpuE6ELNS1_3repE0EEENS1_30default_config_static_selectorELNS0_4arch9wavefront6targetE0EEEvT1_.num_agpr, 0
	.set _ZN7rocprim17ROCPRIM_400000_NS6detail17trampoline_kernelINS0_14default_configENS1_25partition_config_selectorILNS1_17partition_subalgoE8EiNS0_10empty_typeEbEEZZNS1_14partition_implILS5_8ELb0ES3_jPKiPS6_PKS6_NS0_5tupleIJPiS6_EEENSE_IJSB_SB_EEENS0_18inequality_wrapperIN6hipcub16HIPCUB_304000_NS8EqualityEEEPlJS6_EEE10hipError_tPvRmT3_T4_T5_T6_T7_T9_mT8_P12ihipStream_tbDpT10_ENKUlT_T0_E_clISt17integral_constantIbLb1EES16_IbLb0EEEEDaS12_S13_EUlS12_E_NS1_11comp_targetILNS1_3genE2ELNS1_11target_archE906ELNS1_3gpuE6ELNS1_3repE0EEENS1_30default_config_static_selectorELNS0_4arch9wavefront6targetE0EEEvT1_.numbered_sgpr, 0
	.set _ZN7rocprim17ROCPRIM_400000_NS6detail17trampoline_kernelINS0_14default_configENS1_25partition_config_selectorILNS1_17partition_subalgoE8EiNS0_10empty_typeEbEEZZNS1_14partition_implILS5_8ELb0ES3_jPKiPS6_PKS6_NS0_5tupleIJPiS6_EEENSE_IJSB_SB_EEENS0_18inequality_wrapperIN6hipcub16HIPCUB_304000_NS8EqualityEEEPlJS6_EEE10hipError_tPvRmT3_T4_T5_T6_T7_T9_mT8_P12ihipStream_tbDpT10_ENKUlT_T0_E_clISt17integral_constantIbLb1EES16_IbLb0EEEEDaS12_S13_EUlS12_E_NS1_11comp_targetILNS1_3genE2ELNS1_11target_archE906ELNS1_3gpuE6ELNS1_3repE0EEENS1_30default_config_static_selectorELNS0_4arch9wavefront6targetE0EEEvT1_.num_named_barrier, 0
	.set _ZN7rocprim17ROCPRIM_400000_NS6detail17trampoline_kernelINS0_14default_configENS1_25partition_config_selectorILNS1_17partition_subalgoE8EiNS0_10empty_typeEbEEZZNS1_14partition_implILS5_8ELb0ES3_jPKiPS6_PKS6_NS0_5tupleIJPiS6_EEENSE_IJSB_SB_EEENS0_18inequality_wrapperIN6hipcub16HIPCUB_304000_NS8EqualityEEEPlJS6_EEE10hipError_tPvRmT3_T4_T5_T6_T7_T9_mT8_P12ihipStream_tbDpT10_ENKUlT_T0_E_clISt17integral_constantIbLb1EES16_IbLb0EEEEDaS12_S13_EUlS12_E_NS1_11comp_targetILNS1_3genE2ELNS1_11target_archE906ELNS1_3gpuE6ELNS1_3repE0EEENS1_30default_config_static_selectorELNS0_4arch9wavefront6targetE0EEEvT1_.private_seg_size, 0
	.set _ZN7rocprim17ROCPRIM_400000_NS6detail17trampoline_kernelINS0_14default_configENS1_25partition_config_selectorILNS1_17partition_subalgoE8EiNS0_10empty_typeEbEEZZNS1_14partition_implILS5_8ELb0ES3_jPKiPS6_PKS6_NS0_5tupleIJPiS6_EEENSE_IJSB_SB_EEENS0_18inequality_wrapperIN6hipcub16HIPCUB_304000_NS8EqualityEEEPlJS6_EEE10hipError_tPvRmT3_T4_T5_T6_T7_T9_mT8_P12ihipStream_tbDpT10_ENKUlT_T0_E_clISt17integral_constantIbLb1EES16_IbLb0EEEEDaS12_S13_EUlS12_E_NS1_11comp_targetILNS1_3genE2ELNS1_11target_archE906ELNS1_3gpuE6ELNS1_3repE0EEENS1_30default_config_static_selectorELNS0_4arch9wavefront6targetE0EEEvT1_.uses_vcc, 0
	.set _ZN7rocprim17ROCPRIM_400000_NS6detail17trampoline_kernelINS0_14default_configENS1_25partition_config_selectorILNS1_17partition_subalgoE8EiNS0_10empty_typeEbEEZZNS1_14partition_implILS5_8ELb0ES3_jPKiPS6_PKS6_NS0_5tupleIJPiS6_EEENSE_IJSB_SB_EEENS0_18inequality_wrapperIN6hipcub16HIPCUB_304000_NS8EqualityEEEPlJS6_EEE10hipError_tPvRmT3_T4_T5_T6_T7_T9_mT8_P12ihipStream_tbDpT10_ENKUlT_T0_E_clISt17integral_constantIbLb1EES16_IbLb0EEEEDaS12_S13_EUlS12_E_NS1_11comp_targetILNS1_3genE2ELNS1_11target_archE906ELNS1_3gpuE6ELNS1_3repE0EEENS1_30default_config_static_selectorELNS0_4arch9wavefront6targetE0EEEvT1_.uses_flat_scratch, 0
	.set _ZN7rocprim17ROCPRIM_400000_NS6detail17trampoline_kernelINS0_14default_configENS1_25partition_config_selectorILNS1_17partition_subalgoE8EiNS0_10empty_typeEbEEZZNS1_14partition_implILS5_8ELb0ES3_jPKiPS6_PKS6_NS0_5tupleIJPiS6_EEENSE_IJSB_SB_EEENS0_18inequality_wrapperIN6hipcub16HIPCUB_304000_NS8EqualityEEEPlJS6_EEE10hipError_tPvRmT3_T4_T5_T6_T7_T9_mT8_P12ihipStream_tbDpT10_ENKUlT_T0_E_clISt17integral_constantIbLb1EES16_IbLb0EEEEDaS12_S13_EUlS12_E_NS1_11comp_targetILNS1_3genE2ELNS1_11target_archE906ELNS1_3gpuE6ELNS1_3repE0EEENS1_30default_config_static_selectorELNS0_4arch9wavefront6targetE0EEEvT1_.has_dyn_sized_stack, 0
	.set _ZN7rocprim17ROCPRIM_400000_NS6detail17trampoline_kernelINS0_14default_configENS1_25partition_config_selectorILNS1_17partition_subalgoE8EiNS0_10empty_typeEbEEZZNS1_14partition_implILS5_8ELb0ES3_jPKiPS6_PKS6_NS0_5tupleIJPiS6_EEENSE_IJSB_SB_EEENS0_18inequality_wrapperIN6hipcub16HIPCUB_304000_NS8EqualityEEEPlJS6_EEE10hipError_tPvRmT3_T4_T5_T6_T7_T9_mT8_P12ihipStream_tbDpT10_ENKUlT_T0_E_clISt17integral_constantIbLb1EES16_IbLb0EEEEDaS12_S13_EUlS12_E_NS1_11comp_targetILNS1_3genE2ELNS1_11target_archE906ELNS1_3gpuE6ELNS1_3repE0EEENS1_30default_config_static_selectorELNS0_4arch9wavefront6targetE0EEEvT1_.has_recursion, 0
	.set _ZN7rocprim17ROCPRIM_400000_NS6detail17trampoline_kernelINS0_14default_configENS1_25partition_config_selectorILNS1_17partition_subalgoE8EiNS0_10empty_typeEbEEZZNS1_14partition_implILS5_8ELb0ES3_jPKiPS6_PKS6_NS0_5tupleIJPiS6_EEENSE_IJSB_SB_EEENS0_18inequality_wrapperIN6hipcub16HIPCUB_304000_NS8EqualityEEEPlJS6_EEE10hipError_tPvRmT3_T4_T5_T6_T7_T9_mT8_P12ihipStream_tbDpT10_ENKUlT_T0_E_clISt17integral_constantIbLb1EES16_IbLb0EEEEDaS12_S13_EUlS12_E_NS1_11comp_targetILNS1_3genE2ELNS1_11target_archE906ELNS1_3gpuE6ELNS1_3repE0EEENS1_30default_config_static_selectorELNS0_4arch9wavefront6targetE0EEEvT1_.has_indirect_call, 0
	.section	.AMDGPU.csdata,"",@progbits
; Kernel info:
; codeLenInByte = 0
; TotalNumSgprs: 0
; NumVgprs: 0
; ScratchSize: 0
; MemoryBound: 0
; FloatMode: 240
; IeeeMode: 1
; LDSByteSize: 0 bytes/workgroup (compile time only)
; SGPRBlocks: 0
; VGPRBlocks: 0
; NumSGPRsForWavesPerEU: 1
; NumVGPRsForWavesPerEU: 1
; Occupancy: 16
; WaveLimiterHint : 0
; COMPUTE_PGM_RSRC2:SCRATCH_EN: 0
; COMPUTE_PGM_RSRC2:USER_SGPR: 6
; COMPUTE_PGM_RSRC2:TRAP_HANDLER: 0
; COMPUTE_PGM_RSRC2:TGID_X_EN: 1
; COMPUTE_PGM_RSRC2:TGID_Y_EN: 0
; COMPUTE_PGM_RSRC2:TGID_Z_EN: 0
; COMPUTE_PGM_RSRC2:TIDIG_COMP_CNT: 0
	.section	.text._ZN7rocprim17ROCPRIM_400000_NS6detail17trampoline_kernelINS0_14default_configENS1_25partition_config_selectorILNS1_17partition_subalgoE8EiNS0_10empty_typeEbEEZZNS1_14partition_implILS5_8ELb0ES3_jPKiPS6_PKS6_NS0_5tupleIJPiS6_EEENSE_IJSB_SB_EEENS0_18inequality_wrapperIN6hipcub16HIPCUB_304000_NS8EqualityEEEPlJS6_EEE10hipError_tPvRmT3_T4_T5_T6_T7_T9_mT8_P12ihipStream_tbDpT10_ENKUlT_T0_E_clISt17integral_constantIbLb1EES16_IbLb0EEEEDaS12_S13_EUlS12_E_NS1_11comp_targetILNS1_3genE10ELNS1_11target_archE1200ELNS1_3gpuE4ELNS1_3repE0EEENS1_30default_config_static_selectorELNS0_4arch9wavefront6targetE0EEEvT1_,"axG",@progbits,_ZN7rocprim17ROCPRIM_400000_NS6detail17trampoline_kernelINS0_14default_configENS1_25partition_config_selectorILNS1_17partition_subalgoE8EiNS0_10empty_typeEbEEZZNS1_14partition_implILS5_8ELb0ES3_jPKiPS6_PKS6_NS0_5tupleIJPiS6_EEENSE_IJSB_SB_EEENS0_18inequality_wrapperIN6hipcub16HIPCUB_304000_NS8EqualityEEEPlJS6_EEE10hipError_tPvRmT3_T4_T5_T6_T7_T9_mT8_P12ihipStream_tbDpT10_ENKUlT_T0_E_clISt17integral_constantIbLb1EES16_IbLb0EEEEDaS12_S13_EUlS12_E_NS1_11comp_targetILNS1_3genE10ELNS1_11target_archE1200ELNS1_3gpuE4ELNS1_3repE0EEENS1_30default_config_static_selectorELNS0_4arch9wavefront6targetE0EEEvT1_,comdat
	.protected	_ZN7rocprim17ROCPRIM_400000_NS6detail17trampoline_kernelINS0_14default_configENS1_25partition_config_selectorILNS1_17partition_subalgoE8EiNS0_10empty_typeEbEEZZNS1_14partition_implILS5_8ELb0ES3_jPKiPS6_PKS6_NS0_5tupleIJPiS6_EEENSE_IJSB_SB_EEENS0_18inequality_wrapperIN6hipcub16HIPCUB_304000_NS8EqualityEEEPlJS6_EEE10hipError_tPvRmT3_T4_T5_T6_T7_T9_mT8_P12ihipStream_tbDpT10_ENKUlT_T0_E_clISt17integral_constantIbLb1EES16_IbLb0EEEEDaS12_S13_EUlS12_E_NS1_11comp_targetILNS1_3genE10ELNS1_11target_archE1200ELNS1_3gpuE4ELNS1_3repE0EEENS1_30default_config_static_selectorELNS0_4arch9wavefront6targetE0EEEvT1_ ; -- Begin function _ZN7rocprim17ROCPRIM_400000_NS6detail17trampoline_kernelINS0_14default_configENS1_25partition_config_selectorILNS1_17partition_subalgoE8EiNS0_10empty_typeEbEEZZNS1_14partition_implILS5_8ELb0ES3_jPKiPS6_PKS6_NS0_5tupleIJPiS6_EEENSE_IJSB_SB_EEENS0_18inequality_wrapperIN6hipcub16HIPCUB_304000_NS8EqualityEEEPlJS6_EEE10hipError_tPvRmT3_T4_T5_T6_T7_T9_mT8_P12ihipStream_tbDpT10_ENKUlT_T0_E_clISt17integral_constantIbLb1EES16_IbLb0EEEEDaS12_S13_EUlS12_E_NS1_11comp_targetILNS1_3genE10ELNS1_11target_archE1200ELNS1_3gpuE4ELNS1_3repE0EEENS1_30default_config_static_selectorELNS0_4arch9wavefront6targetE0EEEvT1_
	.globl	_ZN7rocprim17ROCPRIM_400000_NS6detail17trampoline_kernelINS0_14default_configENS1_25partition_config_selectorILNS1_17partition_subalgoE8EiNS0_10empty_typeEbEEZZNS1_14partition_implILS5_8ELb0ES3_jPKiPS6_PKS6_NS0_5tupleIJPiS6_EEENSE_IJSB_SB_EEENS0_18inequality_wrapperIN6hipcub16HIPCUB_304000_NS8EqualityEEEPlJS6_EEE10hipError_tPvRmT3_T4_T5_T6_T7_T9_mT8_P12ihipStream_tbDpT10_ENKUlT_T0_E_clISt17integral_constantIbLb1EES16_IbLb0EEEEDaS12_S13_EUlS12_E_NS1_11comp_targetILNS1_3genE10ELNS1_11target_archE1200ELNS1_3gpuE4ELNS1_3repE0EEENS1_30default_config_static_selectorELNS0_4arch9wavefront6targetE0EEEvT1_
	.p2align	8
	.type	_ZN7rocprim17ROCPRIM_400000_NS6detail17trampoline_kernelINS0_14default_configENS1_25partition_config_selectorILNS1_17partition_subalgoE8EiNS0_10empty_typeEbEEZZNS1_14partition_implILS5_8ELb0ES3_jPKiPS6_PKS6_NS0_5tupleIJPiS6_EEENSE_IJSB_SB_EEENS0_18inequality_wrapperIN6hipcub16HIPCUB_304000_NS8EqualityEEEPlJS6_EEE10hipError_tPvRmT3_T4_T5_T6_T7_T9_mT8_P12ihipStream_tbDpT10_ENKUlT_T0_E_clISt17integral_constantIbLb1EES16_IbLb0EEEEDaS12_S13_EUlS12_E_NS1_11comp_targetILNS1_3genE10ELNS1_11target_archE1200ELNS1_3gpuE4ELNS1_3repE0EEENS1_30default_config_static_selectorELNS0_4arch9wavefront6targetE0EEEvT1_,@function
_ZN7rocprim17ROCPRIM_400000_NS6detail17trampoline_kernelINS0_14default_configENS1_25partition_config_selectorILNS1_17partition_subalgoE8EiNS0_10empty_typeEbEEZZNS1_14partition_implILS5_8ELb0ES3_jPKiPS6_PKS6_NS0_5tupleIJPiS6_EEENSE_IJSB_SB_EEENS0_18inequality_wrapperIN6hipcub16HIPCUB_304000_NS8EqualityEEEPlJS6_EEE10hipError_tPvRmT3_T4_T5_T6_T7_T9_mT8_P12ihipStream_tbDpT10_ENKUlT_T0_E_clISt17integral_constantIbLb1EES16_IbLb0EEEEDaS12_S13_EUlS12_E_NS1_11comp_targetILNS1_3genE10ELNS1_11target_archE1200ELNS1_3gpuE4ELNS1_3repE0EEENS1_30default_config_static_selectorELNS0_4arch9wavefront6targetE0EEEvT1_: ; @_ZN7rocprim17ROCPRIM_400000_NS6detail17trampoline_kernelINS0_14default_configENS1_25partition_config_selectorILNS1_17partition_subalgoE8EiNS0_10empty_typeEbEEZZNS1_14partition_implILS5_8ELb0ES3_jPKiPS6_PKS6_NS0_5tupleIJPiS6_EEENSE_IJSB_SB_EEENS0_18inequality_wrapperIN6hipcub16HIPCUB_304000_NS8EqualityEEEPlJS6_EEE10hipError_tPvRmT3_T4_T5_T6_T7_T9_mT8_P12ihipStream_tbDpT10_ENKUlT_T0_E_clISt17integral_constantIbLb1EES16_IbLb0EEEEDaS12_S13_EUlS12_E_NS1_11comp_targetILNS1_3genE10ELNS1_11target_archE1200ELNS1_3gpuE4ELNS1_3repE0EEENS1_30default_config_static_selectorELNS0_4arch9wavefront6targetE0EEEvT1_
; %bb.0:
	.section	.rodata,"a",@progbits
	.p2align	6, 0x0
	.amdhsa_kernel _ZN7rocprim17ROCPRIM_400000_NS6detail17trampoline_kernelINS0_14default_configENS1_25partition_config_selectorILNS1_17partition_subalgoE8EiNS0_10empty_typeEbEEZZNS1_14partition_implILS5_8ELb0ES3_jPKiPS6_PKS6_NS0_5tupleIJPiS6_EEENSE_IJSB_SB_EEENS0_18inequality_wrapperIN6hipcub16HIPCUB_304000_NS8EqualityEEEPlJS6_EEE10hipError_tPvRmT3_T4_T5_T6_T7_T9_mT8_P12ihipStream_tbDpT10_ENKUlT_T0_E_clISt17integral_constantIbLb1EES16_IbLb0EEEEDaS12_S13_EUlS12_E_NS1_11comp_targetILNS1_3genE10ELNS1_11target_archE1200ELNS1_3gpuE4ELNS1_3repE0EEENS1_30default_config_static_selectorELNS0_4arch9wavefront6targetE0EEEvT1_
		.amdhsa_group_segment_fixed_size 0
		.amdhsa_private_segment_fixed_size 0
		.amdhsa_kernarg_size 112
		.amdhsa_user_sgpr_count 6
		.amdhsa_user_sgpr_private_segment_buffer 1
		.amdhsa_user_sgpr_dispatch_ptr 0
		.amdhsa_user_sgpr_queue_ptr 0
		.amdhsa_user_sgpr_kernarg_segment_ptr 1
		.amdhsa_user_sgpr_dispatch_id 0
		.amdhsa_user_sgpr_flat_scratch_init 0
		.amdhsa_user_sgpr_private_segment_size 0
		.amdhsa_wavefront_size32 1
		.amdhsa_uses_dynamic_stack 0
		.amdhsa_system_sgpr_private_segment_wavefront_offset 0
		.amdhsa_system_sgpr_workgroup_id_x 1
		.amdhsa_system_sgpr_workgroup_id_y 0
		.amdhsa_system_sgpr_workgroup_id_z 0
		.amdhsa_system_sgpr_workgroup_info 0
		.amdhsa_system_vgpr_workitem_id 0
		.amdhsa_next_free_vgpr 1
		.amdhsa_next_free_sgpr 1
		.amdhsa_reserve_vcc 0
		.amdhsa_reserve_flat_scratch 0
		.amdhsa_float_round_mode_32 0
		.amdhsa_float_round_mode_16_64 0
		.amdhsa_float_denorm_mode_32 3
		.amdhsa_float_denorm_mode_16_64 3
		.amdhsa_dx10_clamp 1
		.amdhsa_ieee_mode 1
		.amdhsa_fp16_overflow 0
		.amdhsa_workgroup_processor_mode 1
		.amdhsa_memory_ordered 1
		.amdhsa_forward_progress 1
		.amdhsa_shared_vgpr_count 0
		.amdhsa_exception_fp_ieee_invalid_op 0
		.amdhsa_exception_fp_denorm_src 0
		.amdhsa_exception_fp_ieee_div_zero 0
		.amdhsa_exception_fp_ieee_overflow 0
		.amdhsa_exception_fp_ieee_underflow 0
		.amdhsa_exception_fp_ieee_inexact 0
		.amdhsa_exception_int_div_zero 0
	.end_amdhsa_kernel
	.section	.text._ZN7rocprim17ROCPRIM_400000_NS6detail17trampoline_kernelINS0_14default_configENS1_25partition_config_selectorILNS1_17partition_subalgoE8EiNS0_10empty_typeEbEEZZNS1_14partition_implILS5_8ELb0ES3_jPKiPS6_PKS6_NS0_5tupleIJPiS6_EEENSE_IJSB_SB_EEENS0_18inequality_wrapperIN6hipcub16HIPCUB_304000_NS8EqualityEEEPlJS6_EEE10hipError_tPvRmT3_T4_T5_T6_T7_T9_mT8_P12ihipStream_tbDpT10_ENKUlT_T0_E_clISt17integral_constantIbLb1EES16_IbLb0EEEEDaS12_S13_EUlS12_E_NS1_11comp_targetILNS1_3genE10ELNS1_11target_archE1200ELNS1_3gpuE4ELNS1_3repE0EEENS1_30default_config_static_selectorELNS0_4arch9wavefront6targetE0EEEvT1_,"axG",@progbits,_ZN7rocprim17ROCPRIM_400000_NS6detail17trampoline_kernelINS0_14default_configENS1_25partition_config_selectorILNS1_17partition_subalgoE8EiNS0_10empty_typeEbEEZZNS1_14partition_implILS5_8ELb0ES3_jPKiPS6_PKS6_NS0_5tupleIJPiS6_EEENSE_IJSB_SB_EEENS0_18inequality_wrapperIN6hipcub16HIPCUB_304000_NS8EqualityEEEPlJS6_EEE10hipError_tPvRmT3_T4_T5_T6_T7_T9_mT8_P12ihipStream_tbDpT10_ENKUlT_T0_E_clISt17integral_constantIbLb1EES16_IbLb0EEEEDaS12_S13_EUlS12_E_NS1_11comp_targetILNS1_3genE10ELNS1_11target_archE1200ELNS1_3gpuE4ELNS1_3repE0EEENS1_30default_config_static_selectorELNS0_4arch9wavefront6targetE0EEEvT1_,comdat
.Lfunc_end209:
	.size	_ZN7rocprim17ROCPRIM_400000_NS6detail17trampoline_kernelINS0_14default_configENS1_25partition_config_selectorILNS1_17partition_subalgoE8EiNS0_10empty_typeEbEEZZNS1_14partition_implILS5_8ELb0ES3_jPKiPS6_PKS6_NS0_5tupleIJPiS6_EEENSE_IJSB_SB_EEENS0_18inequality_wrapperIN6hipcub16HIPCUB_304000_NS8EqualityEEEPlJS6_EEE10hipError_tPvRmT3_T4_T5_T6_T7_T9_mT8_P12ihipStream_tbDpT10_ENKUlT_T0_E_clISt17integral_constantIbLb1EES16_IbLb0EEEEDaS12_S13_EUlS12_E_NS1_11comp_targetILNS1_3genE10ELNS1_11target_archE1200ELNS1_3gpuE4ELNS1_3repE0EEENS1_30default_config_static_selectorELNS0_4arch9wavefront6targetE0EEEvT1_, .Lfunc_end209-_ZN7rocprim17ROCPRIM_400000_NS6detail17trampoline_kernelINS0_14default_configENS1_25partition_config_selectorILNS1_17partition_subalgoE8EiNS0_10empty_typeEbEEZZNS1_14partition_implILS5_8ELb0ES3_jPKiPS6_PKS6_NS0_5tupleIJPiS6_EEENSE_IJSB_SB_EEENS0_18inequality_wrapperIN6hipcub16HIPCUB_304000_NS8EqualityEEEPlJS6_EEE10hipError_tPvRmT3_T4_T5_T6_T7_T9_mT8_P12ihipStream_tbDpT10_ENKUlT_T0_E_clISt17integral_constantIbLb1EES16_IbLb0EEEEDaS12_S13_EUlS12_E_NS1_11comp_targetILNS1_3genE10ELNS1_11target_archE1200ELNS1_3gpuE4ELNS1_3repE0EEENS1_30default_config_static_selectorELNS0_4arch9wavefront6targetE0EEEvT1_
                                        ; -- End function
	.set _ZN7rocprim17ROCPRIM_400000_NS6detail17trampoline_kernelINS0_14default_configENS1_25partition_config_selectorILNS1_17partition_subalgoE8EiNS0_10empty_typeEbEEZZNS1_14partition_implILS5_8ELb0ES3_jPKiPS6_PKS6_NS0_5tupleIJPiS6_EEENSE_IJSB_SB_EEENS0_18inequality_wrapperIN6hipcub16HIPCUB_304000_NS8EqualityEEEPlJS6_EEE10hipError_tPvRmT3_T4_T5_T6_T7_T9_mT8_P12ihipStream_tbDpT10_ENKUlT_T0_E_clISt17integral_constantIbLb1EES16_IbLb0EEEEDaS12_S13_EUlS12_E_NS1_11comp_targetILNS1_3genE10ELNS1_11target_archE1200ELNS1_3gpuE4ELNS1_3repE0EEENS1_30default_config_static_selectorELNS0_4arch9wavefront6targetE0EEEvT1_.num_vgpr, 0
	.set _ZN7rocprim17ROCPRIM_400000_NS6detail17trampoline_kernelINS0_14default_configENS1_25partition_config_selectorILNS1_17partition_subalgoE8EiNS0_10empty_typeEbEEZZNS1_14partition_implILS5_8ELb0ES3_jPKiPS6_PKS6_NS0_5tupleIJPiS6_EEENSE_IJSB_SB_EEENS0_18inequality_wrapperIN6hipcub16HIPCUB_304000_NS8EqualityEEEPlJS6_EEE10hipError_tPvRmT3_T4_T5_T6_T7_T9_mT8_P12ihipStream_tbDpT10_ENKUlT_T0_E_clISt17integral_constantIbLb1EES16_IbLb0EEEEDaS12_S13_EUlS12_E_NS1_11comp_targetILNS1_3genE10ELNS1_11target_archE1200ELNS1_3gpuE4ELNS1_3repE0EEENS1_30default_config_static_selectorELNS0_4arch9wavefront6targetE0EEEvT1_.num_agpr, 0
	.set _ZN7rocprim17ROCPRIM_400000_NS6detail17trampoline_kernelINS0_14default_configENS1_25partition_config_selectorILNS1_17partition_subalgoE8EiNS0_10empty_typeEbEEZZNS1_14partition_implILS5_8ELb0ES3_jPKiPS6_PKS6_NS0_5tupleIJPiS6_EEENSE_IJSB_SB_EEENS0_18inequality_wrapperIN6hipcub16HIPCUB_304000_NS8EqualityEEEPlJS6_EEE10hipError_tPvRmT3_T4_T5_T6_T7_T9_mT8_P12ihipStream_tbDpT10_ENKUlT_T0_E_clISt17integral_constantIbLb1EES16_IbLb0EEEEDaS12_S13_EUlS12_E_NS1_11comp_targetILNS1_3genE10ELNS1_11target_archE1200ELNS1_3gpuE4ELNS1_3repE0EEENS1_30default_config_static_selectorELNS0_4arch9wavefront6targetE0EEEvT1_.numbered_sgpr, 0
	.set _ZN7rocprim17ROCPRIM_400000_NS6detail17trampoline_kernelINS0_14default_configENS1_25partition_config_selectorILNS1_17partition_subalgoE8EiNS0_10empty_typeEbEEZZNS1_14partition_implILS5_8ELb0ES3_jPKiPS6_PKS6_NS0_5tupleIJPiS6_EEENSE_IJSB_SB_EEENS0_18inequality_wrapperIN6hipcub16HIPCUB_304000_NS8EqualityEEEPlJS6_EEE10hipError_tPvRmT3_T4_T5_T6_T7_T9_mT8_P12ihipStream_tbDpT10_ENKUlT_T0_E_clISt17integral_constantIbLb1EES16_IbLb0EEEEDaS12_S13_EUlS12_E_NS1_11comp_targetILNS1_3genE10ELNS1_11target_archE1200ELNS1_3gpuE4ELNS1_3repE0EEENS1_30default_config_static_selectorELNS0_4arch9wavefront6targetE0EEEvT1_.num_named_barrier, 0
	.set _ZN7rocprim17ROCPRIM_400000_NS6detail17trampoline_kernelINS0_14default_configENS1_25partition_config_selectorILNS1_17partition_subalgoE8EiNS0_10empty_typeEbEEZZNS1_14partition_implILS5_8ELb0ES3_jPKiPS6_PKS6_NS0_5tupleIJPiS6_EEENSE_IJSB_SB_EEENS0_18inequality_wrapperIN6hipcub16HIPCUB_304000_NS8EqualityEEEPlJS6_EEE10hipError_tPvRmT3_T4_T5_T6_T7_T9_mT8_P12ihipStream_tbDpT10_ENKUlT_T0_E_clISt17integral_constantIbLb1EES16_IbLb0EEEEDaS12_S13_EUlS12_E_NS1_11comp_targetILNS1_3genE10ELNS1_11target_archE1200ELNS1_3gpuE4ELNS1_3repE0EEENS1_30default_config_static_selectorELNS0_4arch9wavefront6targetE0EEEvT1_.private_seg_size, 0
	.set _ZN7rocprim17ROCPRIM_400000_NS6detail17trampoline_kernelINS0_14default_configENS1_25partition_config_selectorILNS1_17partition_subalgoE8EiNS0_10empty_typeEbEEZZNS1_14partition_implILS5_8ELb0ES3_jPKiPS6_PKS6_NS0_5tupleIJPiS6_EEENSE_IJSB_SB_EEENS0_18inequality_wrapperIN6hipcub16HIPCUB_304000_NS8EqualityEEEPlJS6_EEE10hipError_tPvRmT3_T4_T5_T6_T7_T9_mT8_P12ihipStream_tbDpT10_ENKUlT_T0_E_clISt17integral_constantIbLb1EES16_IbLb0EEEEDaS12_S13_EUlS12_E_NS1_11comp_targetILNS1_3genE10ELNS1_11target_archE1200ELNS1_3gpuE4ELNS1_3repE0EEENS1_30default_config_static_selectorELNS0_4arch9wavefront6targetE0EEEvT1_.uses_vcc, 0
	.set _ZN7rocprim17ROCPRIM_400000_NS6detail17trampoline_kernelINS0_14default_configENS1_25partition_config_selectorILNS1_17partition_subalgoE8EiNS0_10empty_typeEbEEZZNS1_14partition_implILS5_8ELb0ES3_jPKiPS6_PKS6_NS0_5tupleIJPiS6_EEENSE_IJSB_SB_EEENS0_18inequality_wrapperIN6hipcub16HIPCUB_304000_NS8EqualityEEEPlJS6_EEE10hipError_tPvRmT3_T4_T5_T6_T7_T9_mT8_P12ihipStream_tbDpT10_ENKUlT_T0_E_clISt17integral_constantIbLb1EES16_IbLb0EEEEDaS12_S13_EUlS12_E_NS1_11comp_targetILNS1_3genE10ELNS1_11target_archE1200ELNS1_3gpuE4ELNS1_3repE0EEENS1_30default_config_static_selectorELNS0_4arch9wavefront6targetE0EEEvT1_.uses_flat_scratch, 0
	.set _ZN7rocprim17ROCPRIM_400000_NS6detail17trampoline_kernelINS0_14default_configENS1_25partition_config_selectorILNS1_17partition_subalgoE8EiNS0_10empty_typeEbEEZZNS1_14partition_implILS5_8ELb0ES3_jPKiPS6_PKS6_NS0_5tupleIJPiS6_EEENSE_IJSB_SB_EEENS0_18inequality_wrapperIN6hipcub16HIPCUB_304000_NS8EqualityEEEPlJS6_EEE10hipError_tPvRmT3_T4_T5_T6_T7_T9_mT8_P12ihipStream_tbDpT10_ENKUlT_T0_E_clISt17integral_constantIbLb1EES16_IbLb0EEEEDaS12_S13_EUlS12_E_NS1_11comp_targetILNS1_3genE10ELNS1_11target_archE1200ELNS1_3gpuE4ELNS1_3repE0EEENS1_30default_config_static_selectorELNS0_4arch9wavefront6targetE0EEEvT1_.has_dyn_sized_stack, 0
	.set _ZN7rocprim17ROCPRIM_400000_NS6detail17trampoline_kernelINS0_14default_configENS1_25partition_config_selectorILNS1_17partition_subalgoE8EiNS0_10empty_typeEbEEZZNS1_14partition_implILS5_8ELb0ES3_jPKiPS6_PKS6_NS0_5tupleIJPiS6_EEENSE_IJSB_SB_EEENS0_18inequality_wrapperIN6hipcub16HIPCUB_304000_NS8EqualityEEEPlJS6_EEE10hipError_tPvRmT3_T4_T5_T6_T7_T9_mT8_P12ihipStream_tbDpT10_ENKUlT_T0_E_clISt17integral_constantIbLb1EES16_IbLb0EEEEDaS12_S13_EUlS12_E_NS1_11comp_targetILNS1_3genE10ELNS1_11target_archE1200ELNS1_3gpuE4ELNS1_3repE0EEENS1_30default_config_static_selectorELNS0_4arch9wavefront6targetE0EEEvT1_.has_recursion, 0
	.set _ZN7rocprim17ROCPRIM_400000_NS6detail17trampoline_kernelINS0_14default_configENS1_25partition_config_selectorILNS1_17partition_subalgoE8EiNS0_10empty_typeEbEEZZNS1_14partition_implILS5_8ELb0ES3_jPKiPS6_PKS6_NS0_5tupleIJPiS6_EEENSE_IJSB_SB_EEENS0_18inequality_wrapperIN6hipcub16HIPCUB_304000_NS8EqualityEEEPlJS6_EEE10hipError_tPvRmT3_T4_T5_T6_T7_T9_mT8_P12ihipStream_tbDpT10_ENKUlT_T0_E_clISt17integral_constantIbLb1EES16_IbLb0EEEEDaS12_S13_EUlS12_E_NS1_11comp_targetILNS1_3genE10ELNS1_11target_archE1200ELNS1_3gpuE4ELNS1_3repE0EEENS1_30default_config_static_selectorELNS0_4arch9wavefront6targetE0EEEvT1_.has_indirect_call, 0
	.section	.AMDGPU.csdata,"",@progbits
; Kernel info:
; codeLenInByte = 0
; TotalNumSgprs: 0
; NumVgprs: 0
; ScratchSize: 0
; MemoryBound: 0
; FloatMode: 240
; IeeeMode: 1
; LDSByteSize: 0 bytes/workgroup (compile time only)
; SGPRBlocks: 0
; VGPRBlocks: 0
; NumSGPRsForWavesPerEU: 1
; NumVGPRsForWavesPerEU: 1
; Occupancy: 16
; WaveLimiterHint : 0
; COMPUTE_PGM_RSRC2:SCRATCH_EN: 0
; COMPUTE_PGM_RSRC2:USER_SGPR: 6
; COMPUTE_PGM_RSRC2:TRAP_HANDLER: 0
; COMPUTE_PGM_RSRC2:TGID_X_EN: 1
; COMPUTE_PGM_RSRC2:TGID_Y_EN: 0
; COMPUTE_PGM_RSRC2:TGID_Z_EN: 0
; COMPUTE_PGM_RSRC2:TIDIG_COMP_CNT: 0
	.section	.text._ZN7rocprim17ROCPRIM_400000_NS6detail17trampoline_kernelINS0_14default_configENS1_25partition_config_selectorILNS1_17partition_subalgoE8EiNS0_10empty_typeEbEEZZNS1_14partition_implILS5_8ELb0ES3_jPKiPS6_PKS6_NS0_5tupleIJPiS6_EEENSE_IJSB_SB_EEENS0_18inequality_wrapperIN6hipcub16HIPCUB_304000_NS8EqualityEEEPlJS6_EEE10hipError_tPvRmT3_T4_T5_T6_T7_T9_mT8_P12ihipStream_tbDpT10_ENKUlT_T0_E_clISt17integral_constantIbLb1EES16_IbLb0EEEEDaS12_S13_EUlS12_E_NS1_11comp_targetILNS1_3genE9ELNS1_11target_archE1100ELNS1_3gpuE3ELNS1_3repE0EEENS1_30default_config_static_selectorELNS0_4arch9wavefront6targetE0EEEvT1_,"axG",@progbits,_ZN7rocprim17ROCPRIM_400000_NS6detail17trampoline_kernelINS0_14default_configENS1_25partition_config_selectorILNS1_17partition_subalgoE8EiNS0_10empty_typeEbEEZZNS1_14partition_implILS5_8ELb0ES3_jPKiPS6_PKS6_NS0_5tupleIJPiS6_EEENSE_IJSB_SB_EEENS0_18inequality_wrapperIN6hipcub16HIPCUB_304000_NS8EqualityEEEPlJS6_EEE10hipError_tPvRmT3_T4_T5_T6_T7_T9_mT8_P12ihipStream_tbDpT10_ENKUlT_T0_E_clISt17integral_constantIbLb1EES16_IbLb0EEEEDaS12_S13_EUlS12_E_NS1_11comp_targetILNS1_3genE9ELNS1_11target_archE1100ELNS1_3gpuE3ELNS1_3repE0EEENS1_30default_config_static_selectorELNS0_4arch9wavefront6targetE0EEEvT1_,comdat
	.protected	_ZN7rocprim17ROCPRIM_400000_NS6detail17trampoline_kernelINS0_14default_configENS1_25partition_config_selectorILNS1_17partition_subalgoE8EiNS0_10empty_typeEbEEZZNS1_14partition_implILS5_8ELb0ES3_jPKiPS6_PKS6_NS0_5tupleIJPiS6_EEENSE_IJSB_SB_EEENS0_18inequality_wrapperIN6hipcub16HIPCUB_304000_NS8EqualityEEEPlJS6_EEE10hipError_tPvRmT3_T4_T5_T6_T7_T9_mT8_P12ihipStream_tbDpT10_ENKUlT_T0_E_clISt17integral_constantIbLb1EES16_IbLb0EEEEDaS12_S13_EUlS12_E_NS1_11comp_targetILNS1_3genE9ELNS1_11target_archE1100ELNS1_3gpuE3ELNS1_3repE0EEENS1_30default_config_static_selectorELNS0_4arch9wavefront6targetE0EEEvT1_ ; -- Begin function _ZN7rocprim17ROCPRIM_400000_NS6detail17trampoline_kernelINS0_14default_configENS1_25partition_config_selectorILNS1_17partition_subalgoE8EiNS0_10empty_typeEbEEZZNS1_14partition_implILS5_8ELb0ES3_jPKiPS6_PKS6_NS0_5tupleIJPiS6_EEENSE_IJSB_SB_EEENS0_18inequality_wrapperIN6hipcub16HIPCUB_304000_NS8EqualityEEEPlJS6_EEE10hipError_tPvRmT3_T4_T5_T6_T7_T9_mT8_P12ihipStream_tbDpT10_ENKUlT_T0_E_clISt17integral_constantIbLb1EES16_IbLb0EEEEDaS12_S13_EUlS12_E_NS1_11comp_targetILNS1_3genE9ELNS1_11target_archE1100ELNS1_3gpuE3ELNS1_3repE0EEENS1_30default_config_static_selectorELNS0_4arch9wavefront6targetE0EEEvT1_
	.globl	_ZN7rocprim17ROCPRIM_400000_NS6detail17trampoline_kernelINS0_14default_configENS1_25partition_config_selectorILNS1_17partition_subalgoE8EiNS0_10empty_typeEbEEZZNS1_14partition_implILS5_8ELb0ES3_jPKiPS6_PKS6_NS0_5tupleIJPiS6_EEENSE_IJSB_SB_EEENS0_18inequality_wrapperIN6hipcub16HIPCUB_304000_NS8EqualityEEEPlJS6_EEE10hipError_tPvRmT3_T4_T5_T6_T7_T9_mT8_P12ihipStream_tbDpT10_ENKUlT_T0_E_clISt17integral_constantIbLb1EES16_IbLb0EEEEDaS12_S13_EUlS12_E_NS1_11comp_targetILNS1_3genE9ELNS1_11target_archE1100ELNS1_3gpuE3ELNS1_3repE0EEENS1_30default_config_static_selectorELNS0_4arch9wavefront6targetE0EEEvT1_
	.p2align	8
	.type	_ZN7rocprim17ROCPRIM_400000_NS6detail17trampoline_kernelINS0_14default_configENS1_25partition_config_selectorILNS1_17partition_subalgoE8EiNS0_10empty_typeEbEEZZNS1_14partition_implILS5_8ELb0ES3_jPKiPS6_PKS6_NS0_5tupleIJPiS6_EEENSE_IJSB_SB_EEENS0_18inequality_wrapperIN6hipcub16HIPCUB_304000_NS8EqualityEEEPlJS6_EEE10hipError_tPvRmT3_T4_T5_T6_T7_T9_mT8_P12ihipStream_tbDpT10_ENKUlT_T0_E_clISt17integral_constantIbLb1EES16_IbLb0EEEEDaS12_S13_EUlS12_E_NS1_11comp_targetILNS1_3genE9ELNS1_11target_archE1100ELNS1_3gpuE3ELNS1_3repE0EEENS1_30default_config_static_selectorELNS0_4arch9wavefront6targetE0EEEvT1_,@function
_ZN7rocprim17ROCPRIM_400000_NS6detail17trampoline_kernelINS0_14default_configENS1_25partition_config_selectorILNS1_17partition_subalgoE8EiNS0_10empty_typeEbEEZZNS1_14partition_implILS5_8ELb0ES3_jPKiPS6_PKS6_NS0_5tupleIJPiS6_EEENSE_IJSB_SB_EEENS0_18inequality_wrapperIN6hipcub16HIPCUB_304000_NS8EqualityEEEPlJS6_EEE10hipError_tPvRmT3_T4_T5_T6_T7_T9_mT8_P12ihipStream_tbDpT10_ENKUlT_T0_E_clISt17integral_constantIbLb1EES16_IbLb0EEEEDaS12_S13_EUlS12_E_NS1_11comp_targetILNS1_3genE9ELNS1_11target_archE1100ELNS1_3gpuE3ELNS1_3repE0EEENS1_30default_config_static_selectorELNS0_4arch9wavefront6targetE0EEEvT1_: ; @_ZN7rocprim17ROCPRIM_400000_NS6detail17trampoline_kernelINS0_14default_configENS1_25partition_config_selectorILNS1_17partition_subalgoE8EiNS0_10empty_typeEbEEZZNS1_14partition_implILS5_8ELb0ES3_jPKiPS6_PKS6_NS0_5tupleIJPiS6_EEENSE_IJSB_SB_EEENS0_18inequality_wrapperIN6hipcub16HIPCUB_304000_NS8EqualityEEEPlJS6_EEE10hipError_tPvRmT3_T4_T5_T6_T7_T9_mT8_P12ihipStream_tbDpT10_ENKUlT_T0_E_clISt17integral_constantIbLb1EES16_IbLb0EEEEDaS12_S13_EUlS12_E_NS1_11comp_targetILNS1_3genE9ELNS1_11target_archE1100ELNS1_3gpuE3ELNS1_3repE0EEENS1_30default_config_static_selectorELNS0_4arch9wavefront6targetE0EEEvT1_
; %bb.0:
	.section	.rodata,"a",@progbits
	.p2align	6, 0x0
	.amdhsa_kernel _ZN7rocprim17ROCPRIM_400000_NS6detail17trampoline_kernelINS0_14default_configENS1_25partition_config_selectorILNS1_17partition_subalgoE8EiNS0_10empty_typeEbEEZZNS1_14partition_implILS5_8ELb0ES3_jPKiPS6_PKS6_NS0_5tupleIJPiS6_EEENSE_IJSB_SB_EEENS0_18inequality_wrapperIN6hipcub16HIPCUB_304000_NS8EqualityEEEPlJS6_EEE10hipError_tPvRmT3_T4_T5_T6_T7_T9_mT8_P12ihipStream_tbDpT10_ENKUlT_T0_E_clISt17integral_constantIbLb1EES16_IbLb0EEEEDaS12_S13_EUlS12_E_NS1_11comp_targetILNS1_3genE9ELNS1_11target_archE1100ELNS1_3gpuE3ELNS1_3repE0EEENS1_30default_config_static_selectorELNS0_4arch9wavefront6targetE0EEEvT1_
		.amdhsa_group_segment_fixed_size 0
		.amdhsa_private_segment_fixed_size 0
		.amdhsa_kernarg_size 112
		.amdhsa_user_sgpr_count 6
		.amdhsa_user_sgpr_private_segment_buffer 1
		.amdhsa_user_sgpr_dispatch_ptr 0
		.amdhsa_user_sgpr_queue_ptr 0
		.amdhsa_user_sgpr_kernarg_segment_ptr 1
		.amdhsa_user_sgpr_dispatch_id 0
		.amdhsa_user_sgpr_flat_scratch_init 0
		.amdhsa_user_sgpr_private_segment_size 0
		.amdhsa_wavefront_size32 1
		.amdhsa_uses_dynamic_stack 0
		.amdhsa_system_sgpr_private_segment_wavefront_offset 0
		.amdhsa_system_sgpr_workgroup_id_x 1
		.amdhsa_system_sgpr_workgroup_id_y 0
		.amdhsa_system_sgpr_workgroup_id_z 0
		.amdhsa_system_sgpr_workgroup_info 0
		.amdhsa_system_vgpr_workitem_id 0
		.amdhsa_next_free_vgpr 1
		.amdhsa_next_free_sgpr 1
		.amdhsa_reserve_vcc 0
		.amdhsa_reserve_flat_scratch 0
		.amdhsa_float_round_mode_32 0
		.amdhsa_float_round_mode_16_64 0
		.amdhsa_float_denorm_mode_32 3
		.amdhsa_float_denorm_mode_16_64 3
		.amdhsa_dx10_clamp 1
		.amdhsa_ieee_mode 1
		.amdhsa_fp16_overflow 0
		.amdhsa_workgroup_processor_mode 1
		.amdhsa_memory_ordered 1
		.amdhsa_forward_progress 1
		.amdhsa_shared_vgpr_count 0
		.amdhsa_exception_fp_ieee_invalid_op 0
		.amdhsa_exception_fp_denorm_src 0
		.amdhsa_exception_fp_ieee_div_zero 0
		.amdhsa_exception_fp_ieee_overflow 0
		.amdhsa_exception_fp_ieee_underflow 0
		.amdhsa_exception_fp_ieee_inexact 0
		.amdhsa_exception_int_div_zero 0
	.end_amdhsa_kernel
	.section	.text._ZN7rocprim17ROCPRIM_400000_NS6detail17trampoline_kernelINS0_14default_configENS1_25partition_config_selectorILNS1_17partition_subalgoE8EiNS0_10empty_typeEbEEZZNS1_14partition_implILS5_8ELb0ES3_jPKiPS6_PKS6_NS0_5tupleIJPiS6_EEENSE_IJSB_SB_EEENS0_18inequality_wrapperIN6hipcub16HIPCUB_304000_NS8EqualityEEEPlJS6_EEE10hipError_tPvRmT3_T4_T5_T6_T7_T9_mT8_P12ihipStream_tbDpT10_ENKUlT_T0_E_clISt17integral_constantIbLb1EES16_IbLb0EEEEDaS12_S13_EUlS12_E_NS1_11comp_targetILNS1_3genE9ELNS1_11target_archE1100ELNS1_3gpuE3ELNS1_3repE0EEENS1_30default_config_static_selectorELNS0_4arch9wavefront6targetE0EEEvT1_,"axG",@progbits,_ZN7rocprim17ROCPRIM_400000_NS6detail17trampoline_kernelINS0_14default_configENS1_25partition_config_selectorILNS1_17partition_subalgoE8EiNS0_10empty_typeEbEEZZNS1_14partition_implILS5_8ELb0ES3_jPKiPS6_PKS6_NS0_5tupleIJPiS6_EEENSE_IJSB_SB_EEENS0_18inequality_wrapperIN6hipcub16HIPCUB_304000_NS8EqualityEEEPlJS6_EEE10hipError_tPvRmT3_T4_T5_T6_T7_T9_mT8_P12ihipStream_tbDpT10_ENKUlT_T0_E_clISt17integral_constantIbLb1EES16_IbLb0EEEEDaS12_S13_EUlS12_E_NS1_11comp_targetILNS1_3genE9ELNS1_11target_archE1100ELNS1_3gpuE3ELNS1_3repE0EEENS1_30default_config_static_selectorELNS0_4arch9wavefront6targetE0EEEvT1_,comdat
.Lfunc_end210:
	.size	_ZN7rocprim17ROCPRIM_400000_NS6detail17trampoline_kernelINS0_14default_configENS1_25partition_config_selectorILNS1_17partition_subalgoE8EiNS0_10empty_typeEbEEZZNS1_14partition_implILS5_8ELb0ES3_jPKiPS6_PKS6_NS0_5tupleIJPiS6_EEENSE_IJSB_SB_EEENS0_18inequality_wrapperIN6hipcub16HIPCUB_304000_NS8EqualityEEEPlJS6_EEE10hipError_tPvRmT3_T4_T5_T6_T7_T9_mT8_P12ihipStream_tbDpT10_ENKUlT_T0_E_clISt17integral_constantIbLb1EES16_IbLb0EEEEDaS12_S13_EUlS12_E_NS1_11comp_targetILNS1_3genE9ELNS1_11target_archE1100ELNS1_3gpuE3ELNS1_3repE0EEENS1_30default_config_static_selectorELNS0_4arch9wavefront6targetE0EEEvT1_, .Lfunc_end210-_ZN7rocprim17ROCPRIM_400000_NS6detail17trampoline_kernelINS0_14default_configENS1_25partition_config_selectorILNS1_17partition_subalgoE8EiNS0_10empty_typeEbEEZZNS1_14partition_implILS5_8ELb0ES3_jPKiPS6_PKS6_NS0_5tupleIJPiS6_EEENSE_IJSB_SB_EEENS0_18inequality_wrapperIN6hipcub16HIPCUB_304000_NS8EqualityEEEPlJS6_EEE10hipError_tPvRmT3_T4_T5_T6_T7_T9_mT8_P12ihipStream_tbDpT10_ENKUlT_T0_E_clISt17integral_constantIbLb1EES16_IbLb0EEEEDaS12_S13_EUlS12_E_NS1_11comp_targetILNS1_3genE9ELNS1_11target_archE1100ELNS1_3gpuE3ELNS1_3repE0EEENS1_30default_config_static_selectorELNS0_4arch9wavefront6targetE0EEEvT1_
                                        ; -- End function
	.set _ZN7rocprim17ROCPRIM_400000_NS6detail17trampoline_kernelINS0_14default_configENS1_25partition_config_selectorILNS1_17partition_subalgoE8EiNS0_10empty_typeEbEEZZNS1_14partition_implILS5_8ELb0ES3_jPKiPS6_PKS6_NS0_5tupleIJPiS6_EEENSE_IJSB_SB_EEENS0_18inequality_wrapperIN6hipcub16HIPCUB_304000_NS8EqualityEEEPlJS6_EEE10hipError_tPvRmT3_T4_T5_T6_T7_T9_mT8_P12ihipStream_tbDpT10_ENKUlT_T0_E_clISt17integral_constantIbLb1EES16_IbLb0EEEEDaS12_S13_EUlS12_E_NS1_11comp_targetILNS1_3genE9ELNS1_11target_archE1100ELNS1_3gpuE3ELNS1_3repE0EEENS1_30default_config_static_selectorELNS0_4arch9wavefront6targetE0EEEvT1_.num_vgpr, 0
	.set _ZN7rocprim17ROCPRIM_400000_NS6detail17trampoline_kernelINS0_14default_configENS1_25partition_config_selectorILNS1_17partition_subalgoE8EiNS0_10empty_typeEbEEZZNS1_14partition_implILS5_8ELb0ES3_jPKiPS6_PKS6_NS0_5tupleIJPiS6_EEENSE_IJSB_SB_EEENS0_18inequality_wrapperIN6hipcub16HIPCUB_304000_NS8EqualityEEEPlJS6_EEE10hipError_tPvRmT3_T4_T5_T6_T7_T9_mT8_P12ihipStream_tbDpT10_ENKUlT_T0_E_clISt17integral_constantIbLb1EES16_IbLb0EEEEDaS12_S13_EUlS12_E_NS1_11comp_targetILNS1_3genE9ELNS1_11target_archE1100ELNS1_3gpuE3ELNS1_3repE0EEENS1_30default_config_static_selectorELNS0_4arch9wavefront6targetE0EEEvT1_.num_agpr, 0
	.set _ZN7rocprim17ROCPRIM_400000_NS6detail17trampoline_kernelINS0_14default_configENS1_25partition_config_selectorILNS1_17partition_subalgoE8EiNS0_10empty_typeEbEEZZNS1_14partition_implILS5_8ELb0ES3_jPKiPS6_PKS6_NS0_5tupleIJPiS6_EEENSE_IJSB_SB_EEENS0_18inequality_wrapperIN6hipcub16HIPCUB_304000_NS8EqualityEEEPlJS6_EEE10hipError_tPvRmT3_T4_T5_T6_T7_T9_mT8_P12ihipStream_tbDpT10_ENKUlT_T0_E_clISt17integral_constantIbLb1EES16_IbLb0EEEEDaS12_S13_EUlS12_E_NS1_11comp_targetILNS1_3genE9ELNS1_11target_archE1100ELNS1_3gpuE3ELNS1_3repE0EEENS1_30default_config_static_selectorELNS0_4arch9wavefront6targetE0EEEvT1_.numbered_sgpr, 0
	.set _ZN7rocprim17ROCPRIM_400000_NS6detail17trampoline_kernelINS0_14default_configENS1_25partition_config_selectorILNS1_17partition_subalgoE8EiNS0_10empty_typeEbEEZZNS1_14partition_implILS5_8ELb0ES3_jPKiPS6_PKS6_NS0_5tupleIJPiS6_EEENSE_IJSB_SB_EEENS0_18inequality_wrapperIN6hipcub16HIPCUB_304000_NS8EqualityEEEPlJS6_EEE10hipError_tPvRmT3_T4_T5_T6_T7_T9_mT8_P12ihipStream_tbDpT10_ENKUlT_T0_E_clISt17integral_constantIbLb1EES16_IbLb0EEEEDaS12_S13_EUlS12_E_NS1_11comp_targetILNS1_3genE9ELNS1_11target_archE1100ELNS1_3gpuE3ELNS1_3repE0EEENS1_30default_config_static_selectorELNS0_4arch9wavefront6targetE0EEEvT1_.num_named_barrier, 0
	.set _ZN7rocprim17ROCPRIM_400000_NS6detail17trampoline_kernelINS0_14default_configENS1_25partition_config_selectorILNS1_17partition_subalgoE8EiNS0_10empty_typeEbEEZZNS1_14partition_implILS5_8ELb0ES3_jPKiPS6_PKS6_NS0_5tupleIJPiS6_EEENSE_IJSB_SB_EEENS0_18inequality_wrapperIN6hipcub16HIPCUB_304000_NS8EqualityEEEPlJS6_EEE10hipError_tPvRmT3_T4_T5_T6_T7_T9_mT8_P12ihipStream_tbDpT10_ENKUlT_T0_E_clISt17integral_constantIbLb1EES16_IbLb0EEEEDaS12_S13_EUlS12_E_NS1_11comp_targetILNS1_3genE9ELNS1_11target_archE1100ELNS1_3gpuE3ELNS1_3repE0EEENS1_30default_config_static_selectorELNS0_4arch9wavefront6targetE0EEEvT1_.private_seg_size, 0
	.set _ZN7rocprim17ROCPRIM_400000_NS6detail17trampoline_kernelINS0_14default_configENS1_25partition_config_selectorILNS1_17partition_subalgoE8EiNS0_10empty_typeEbEEZZNS1_14partition_implILS5_8ELb0ES3_jPKiPS6_PKS6_NS0_5tupleIJPiS6_EEENSE_IJSB_SB_EEENS0_18inequality_wrapperIN6hipcub16HIPCUB_304000_NS8EqualityEEEPlJS6_EEE10hipError_tPvRmT3_T4_T5_T6_T7_T9_mT8_P12ihipStream_tbDpT10_ENKUlT_T0_E_clISt17integral_constantIbLb1EES16_IbLb0EEEEDaS12_S13_EUlS12_E_NS1_11comp_targetILNS1_3genE9ELNS1_11target_archE1100ELNS1_3gpuE3ELNS1_3repE0EEENS1_30default_config_static_selectorELNS0_4arch9wavefront6targetE0EEEvT1_.uses_vcc, 0
	.set _ZN7rocprim17ROCPRIM_400000_NS6detail17trampoline_kernelINS0_14default_configENS1_25partition_config_selectorILNS1_17partition_subalgoE8EiNS0_10empty_typeEbEEZZNS1_14partition_implILS5_8ELb0ES3_jPKiPS6_PKS6_NS0_5tupleIJPiS6_EEENSE_IJSB_SB_EEENS0_18inequality_wrapperIN6hipcub16HIPCUB_304000_NS8EqualityEEEPlJS6_EEE10hipError_tPvRmT3_T4_T5_T6_T7_T9_mT8_P12ihipStream_tbDpT10_ENKUlT_T0_E_clISt17integral_constantIbLb1EES16_IbLb0EEEEDaS12_S13_EUlS12_E_NS1_11comp_targetILNS1_3genE9ELNS1_11target_archE1100ELNS1_3gpuE3ELNS1_3repE0EEENS1_30default_config_static_selectorELNS0_4arch9wavefront6targetE0EEEvT1_.uses_flat_scratch, 0
	.set _ZN7rocprim17ROCPRIM_400000_NS6detail17trampoline_kernelINS0_14default_configENS1_25partition_config_selectorILNS1_17partition_subalgoE8EiNS0_10empty_typeEbEEZZNS1_14partition_implILS5_8ELb0ES3_jPKiPS6_PKS6_NS0_5tupleIJPiS6_EEENSE_IJSB_SB_EEENS0_18inequality_wrapperIN6hipcub16HIPCUB_304000_NS8EqualityEEEPlJS6_EEE10hipError_tPvRmT3_T4_T5_T6_T7_T9_mT8_P12ihipStream_tbDpT10_ENKUlT_T0_E_clISt17integral_constantIbLb1EES16_IbLb0EEEEDaS12_S13_EUlS12_E_NS1_11comp_targetILNS1_3genE9ELNS1_11target_archE1100ELNS1_3gpuE3ELNS1_3repE0EEENS1_30default_config_static_selectorELNS0_4arch9wavefront6targetE0EEEvT1_.has_dyn_sized_stack, 0
	.set _ZN7rocprim17ROCPRIM_400000_NS6detail17trampoline_kernelINS0_14default_configENS1_25partition_config_selectorILNS1_17partition_subalgoE8EiNS0_10empty_typeEbEEZZNS1_14partition_implILS5_8ELb0ES3_jPKiPS6_PKS6_NS0_5tupleIJPiS6_EEENSE_IJSB_SB_EEENS0_18inequality_wrapperIN6hipcub16HIPCUB_304000_NS8EqualityEEEPlJS6_EEE10hipError_tPvRmT3_T4_T5_T6_T7_T9_mT8_P12ihipStream_tbDpT10_ENKUlT_T0_E_clISt17integral_constantIbLb1EES16_IbLb0EEEEDaS12_S13_EUlS12_E_NS1_11comp_targetILNS1_3genE9ELNS1_11target_archE1100ELNS1_3gpuE3ELNS1_3repE0EEENS1_30default_config_static_selectorELNS0_4arch9wavefront6targetE0EEEvT1_.has_recursion, 0
	.set _ZN7rocprim17ROCPRIM_400000_NS6detail17trampoline_kernelINS0_14default_configENS1_25partition_config_selectorILNS1_17partition_subalgoE8EiNS0_10empty_typeEbEEZZNS1_14partition_implILS5_8ELb0ES3_jPKiPS6_PKS6_NS0_5tupleIJPiS6_EEENSE_IJSB_SB_EEENS0_18inequality_wrapperIN6hipcub16HIPCUB_304000_NS8EqualityEEEPlJS6_EEE10hipError_tPvRmT3_T4_T5_T6_T7_T9_mT8_P12ihipStream_tbDpT10_ENKUlT_T0_E_clISt17integral_constantIbLb1EES16_IbLb0EEEEDaS12_S13_EUlS12_E_NS1_11comp_targetILNS1_3genE9ELNS1_11target_archE1100ELNS1_3gpuE3ELNS1_3repE0EEENS1_30default_config_static_selectorELNS0_4arch9wavefront6targetE0EEEvT1_.has_indirect_call, 0
	.section	.AMDGPU.csdata,"",@progbits
; Kernel info:
; codeLenInByte = 0
; TotalNumSgprs: 0
; NumVgprs: 0
; ScratchSize: 0
; MemoryBound: 0
; FloatMode: 240
; IeeeMode: 1
; LDSByteSize: 0 bytes/workgroup (compile time only)
; SGPRBlocks: 0
; VGPRBlocks: 0
; NumSGPRsForWavesPerEU: 1
; NumVGPRsForWavesPerEU: 1
; Occupancy: 16
; WaveLimiterHint : 0
; COMPUTE_PGM_RSRC2:SCRATCH_EN: 0
; COMPUTE_PGM_RSRC2:USER_SGPR: 6
; COMPUTE_PGM_RSRC2:TRAP_HANDLER: 0
; COMPUTE_PGM_RSRC2:TGID_X_EN: 1
; COMPUTE_PGM_RSRC2:TGID_Y_EN: 0
; COMPUTE_PGM_RSRC2:TGID_Z_EN: 0
; COMPUTE_PGM_RSRC2:TIDIG_COMP_CNT: 0
	.section	.text._ZN7rocprim17ROCPRIM_400000_NS6detail17trampoline_kernelINS0_14default_configENS1_25partition_config_selectorILNS1_17partition_subalgoE8EiNS0_10empty_typeEbEEZZNS1_14partition_implILS5_8ELb0ES3_jPKiPS6_PKS6_NS0_5tupleIJPiS6_EEENSE_IJSB_SB_EEENS0_18inequality_wrapperIN6hipcub16HIPCUB_304000_NS8EqualityEEEPlJS6_EEE10hipError_tPvRmT3_T4_T5_T6_T7_T9_mT8_P12ihipStream_tbDpT10_ENKUlT_T0_E_clISt17integral_constantIbLb1EES16_IbLb0EEEEDaS12_S13_EUlS12_E_NS1_11comp_targetILNS1_3genE8ELNS1_11target_archE1030ELNS1_3gpuE2ELNS1_3repE0EEENS1_30default_config_static_selectorELNS0_4arch9wavefront6targetE0EEEvT1_,"axG",@progbits,_ZN7rocprim17ROCPRIM_400000_NS6detail17trampoline_kernelINS0_14default_configENS1_25partition_config_selectorILNS1_17partition_subalgoE8EiNS0_10empty_typeEbEEZZNS1_14partition_implILS5_8ELb0ES3_jPKiPS6_PKS6_NS0_5tupleIJPiS6_EEENSE_IJSB_SB_EEENS0_18inequality_wrapperIN6hipcub16HIPCUB_304000_NS8EqualityEEEPlJS6_EEE10hipError_tPvRmT3_T4_T5_T6_T7_T9_mT8_P12ihipStream_tbDpT10_ENKUlT_T0_E_clISt17integral_constantIbLb1EES16_IbLb0EEEEDaS12_S13_EUlS12_E_NS1_11comp_targetILNS1_3genE8ELNS1_11target_archE1030ELNS1_3gpuE2ELNS1_3repE0EEENS1_30default_config_static_selectorELNS0_4arch9wavefront6targetE0EEEvT1_,comdat
	.protected	_ZN7rocprim17ROCPRIM_400000_NS6detail17trampoline_kernelINS0_14default_configENS1_25partition_config_selectorILNS1_17partition_subalgoE8EiNS0_10empty_typeEbEEZZNS1_14partition_implILS5_8ELb0ES3_jPKiPS6_PKS6_NS0_5tupleIJPiS6_EEENSE_IJSB_SB_EEENS0_18inequality_wrapperIN6hipcub16HIPCUB_304000_NS8EqualityEEEPlJS6_EEE10hipError_tPvRmT3_T4_T5_T6_T7_T9_mT8_P12ihipStream_tbDpT10_ENKUlT_T0_E_clISt17integral_constantIbLb1EES16_IbLb0EEEEDaS12_S13_EUlS12_E_NS1_11comp_targetILNS1_3genE8ELNS1_11target_archE1030ELNS1_3gpuE2ELNS1_3repE0EEENS1_30default_config_static_selectorELNS0_4arch9wavefront6targetE0EEEvT1_ ; -- Begin function _ZN7rocprim17ROCPRIM_400000_NS6detail17trampoline_kernelINS0_14default_configENS1_25partition_config_selectorILNS1_17partition_subalgoE8EiNS0_10empty_typeEbEEZZNS1_14partition_implILS5_8ELb0ES3_jPKiPS6_PKS6_NS0_5tupleIJPiS6_EEENSE_IJSB_SB_EEENS0_18inequality_wrapperIN6hipcub16HIPCUB_304000_NS8EqualityEEEPlJS6_EEE10hipError_tPvRmT3_T4_T5_T6_T7_T9_mT8_P12ihipStream_tbDpT10_ENKUlT_T0_E_clISt17integral_constantIbLb1EES16_IbLb0EEEEDaS12_S13_EUlS12_E_NS1_11comp_targetILNS1_3genE8ELNS1_11target_archE1030ELNS1_3gpuE2ELNS1_3repE0EEENS1_30default_config_static_selectorELNS0_4arch9wavefront6targetE0EEEvT1_
	.globl	_ZN7rocprim17ROCPRIM_400000_NS6detail17trampoline_kernelINS0_14default_configENS1_25partition_config_selectorILNS1_17partition_subalgoE8EiNS0_10empty_typeEbEEZZNS1_14partition_implILS5_8ELb0ES3_jPKiPS6_PKS6_NS0_5tupleIJPiS6_EEENSE_IJSB_SB_EEENS0_18inequality_wrapperIN6hipcub16HIPCUB_304000_NS8EqualityEEEPlJS6_EEE10hipError_tPvRmT3_T4_T5_T6_T7_T9_mT8_P12ihipStream_tbDpT10_ENKUlT_T0_E_clISt17integral_constantIbLb1EES16_IbLb0EEEEDaS12_S13_EUlS12_E_NS1_11comp_targetILNS1_3genE8ELNS1_11target_archE1030ELNS1_3gpuE2ELNS1_3repE0EEENS1_30default_config_static_selectorELNS0_4arch9wavefront6targetE0EEEvT1_
	.p2align	8
	.type	_ZN7rocprim17ROCPRIM_400000_NS6detail17trampoline_kernelINS0_14default_configENS1_25partition_config_selectorILNS1_17partition_subalgoE8EiNS0_10empty_typeEbEEZZNS1_14partition_implILS5_8ELb0ES3_jPKiPS6_PKS6_NS0_5tupleIJPiS6_EEENSE_IJSB_SB_EEENS0_18inequality_wrapperIN6hipcub16HIPCUB_304000_NS8EqualityEEEPlJS6_EEE10hipError_tPvRmT3_T4_T5_T6_T7_T9_mT8_P12ihipStream_tbDpT10_ENKUlT_T0_E_clISt17integral_constantIbLb1EES16_IbLb0EEEEDaS12_S13_EUlS12_E_NS1_11comp_targetILNS1_3genE8ELNS1_11target_archE1030ELNS1_3gpuE2ELNS1_3repE0EEENS1_30default_config_static_selectorELNS0_4arch9wavefront6targetE0EEEvT1_,@function
_ZN7rocprim17ROCPRIM_400000_NS6detail17trampoline_kernelINS0_14default_configENS1_25partition_config_selectorILNS1_17partition_subalgoE8EiNS0_10empty_typeEbEEZZNS1_14partition_implILS5_8ELb0ES3_jPKiPS6_PKS6_NS0_5tupleIJPiS6_EEENSE_IJSB_SB_EEENS0_18inequality_wrapperIN6hipcub16HIPCUB_304000_NS8EqualityEEEPlJS6_EEE10hipError_tPvRmT3_T4_T5_T6_T7_T9_mT8_P12ihipStream_tbDpT10_ENKUlT_T0_E_clISt17integral_constantIbLb1EES16_IbLb0EEEEDaS12_S13_EUlS12_E_NS1_11comp_targetILNS1_3genE8ELNS1_11target_archE1030ELNS1_3gpuE2ELNS1_3repE0EEENS1_30default_config_static_selectorELNS0_4arch9wavefront6targetE0EEEvT1_: ; @_ZN7rocprim17ROCPRIM_400000_NS6detail17trampoline_kernelINS0_14default_configENS1_25partition_config_selectorILNS1_17partition_subalgoE8EiNS0_10empty_typeEbEEZZNS1_14partition_implILS5_8ELb0ES3_jPKiPS6_PKS6_NS0_5tupleIJPiS6_EEENSE_IJSB_SB_EEENS0_18inequality_wrapperIN6hipcub16HIPCUB_304000_NS8EqualityEEEPlJS6_EEE10hipError_tPvRmT3_T4_T5_T6_T7_T9_mT8_P12ihipStream_tbDpT10_ENKUlT_T0_E_clISt17integral_constantIbLb1EES16_IbLb0EEEEDaS12_S13_EUlS12_E_NS1_11comp_targetILNS1_3genE8ELNS1_11target_archE1030ELNS1_3gpuE2ELNS1_3repE0EEENS1_30default_config_static_selectorELNS0_4arch9wavefront6targetE0EEEvT1_
; %bb.0:
	s_endpgm
	.section	.rodata,"a",@progbits
	.p2align	6, 0x0
	.amdhsa_kernel _ZN7rocprim17ROCPRIM_400000_NS6detail17trampoline_kernelINS0_14default_configENS1_25partition_config_selectorILNS1_17partition_subalgoE8EiNS0_10empty_typeEbEEZZNS1_14partition_implILS5_8ELb0ES3_jPKiPS6_PKS6_NS0_5tupleIJPiS6_EEENSE_IJSB_SB_EEENS0_18inequality_wrapperIN6hipcub16HIPCUB_304000_NS8EqualityEEEPlJS6_EEE10hipError_tPvRmT3_T4_T5_T6_T7_T9_mT8_P12ihipStream_tbDpT10_ENKUlT_T0_E_clISt17integral_constantIbLb1EES16_IbLb0EEEEDaS12_S13_EUlS12_E_NS1_11comp_targetILNS1_3genE8ELNS1_11target_archE1030ELNS1_3gpuE2ELNS1_3repE0EEENS1_30default_config_static_selectorELNS0_4arch9wavefront6targetE0EEEvT1_
		.amdhsa_group_segment_fixed_size 0
		.amdhsa_private_segment_fixed_size 0
		.amdhsa_kernarg_size 112
		.amdhsa_user_sgpr_count 6
		.amdhsa_user_sgpr_private_segment_buffer 1
		.amdhsa_user_sgpr_dispatch_ptr 0
		.amdhsa_user_sgpr_queue_ptr 0
		.amdhsa_user_sgpr_kernarg_segment_ptr 1
		.amdhsa_user_sgpr_dispatch_id 0
		.amdhsa_user_sgpr_flat_scratch_init 0
		.amdhsa_user_sgpr_private_segment_size 0
		.amdhsa_wavefront_size32 1
		.amdhsa_uses_dynamic_stack 0
		.amdhsa_system_sgpr_private_segment_wavefront_offset 0
		.amdhsa_system_sgpr_workgroup_id_x 1
		.amdhsa_system_sgpr_workgroup_id_y 0
		.amdhsa_system_sgpr_workgroup_id_z 0
		.amdhsa_system_sgpr_workgroup_info 0
		.amdhsa_system_vgpr_workitem_id 0
		.amdhsa_next_free_vgpr 1
		.amdhsa_next_free_sgpr 1
		.amdhsa_reserve_vcc 0
		.amdhsa_reserve_flat_scratch 0
		.amdhsa_float_round_mode_32 0
		.amdhsa_float_round_mode_16_64 0
		.amdhsa_float_denorm_mode_32 3
		.amdhsa_float_denorm_mode_16_64 3
		.amdhsa_dx10_clamp 1
		.amdhsa_ieee_mode 1
		.amdhsa_fp16_overflow 0
		.amdhsa_workgroup_processor_mode 1
		.amdhsa_memory_ordered 1
		.amdhsa_forward_progress 1
		.amdhsa_shared_vgpr_count 0
		.amdhsa_exception_fp_ieee_invalid_op 0
		.amdhsa_exception_fp_denorm_src 0
		.amdhsa_exception_fp_ieee_div_zero 0
		.amdhsa_exception_fp_ieee_overflow 0
		.amdhsa_exception_fp_ieee_underflow 0
		.amdhsa_exception_fp_ieee_inexact 0
		.amdhsa_exception_int_div_zero 0
	.end_amdhsa_kernel
	.section	.text._ZN7rocprim17ROCPRIM_400000_NS6detail17trampoline_kernelINS0_14default_configENS1_25partition_config_selectorILNS1_17partition_subalgoE8EiNS0_10empty_typeEbEEZZNS1_14partition_implILS5_8ELb0ES3_jPKiPS6_PKS6_NS0_5tupleIJPiS6_EEENSE_IJSB_SB_EEENS0_18inequality_wrapperIN6hipcub16HIPCUB_304000_NS8EqualityEEEPlJS6_EEE10hipError_tPvRmT3_T4_T5_T6_T7_T9_mT8_P12ihipStream_tbDpT10_ENKUlT_T0_E_clISt17integral_constantIbLb1EES16_IbLb0EEEEDaS12_S13_EUlS12_E_NS1_11comp_targetILNS1_3genE8ELNS1_11target_archE1030ELNS1_3gpuE2ELNS1_3repE0EEENS1_30default_config_static_selectorELNS0_4arch9wavefront6targetE0EEEvT1_,"axG",@progbits,_ZN7rocprim17ROCPRIM_400000_NS6detail17trampoline_kernelINS0_14default_configENS1_25partition_config_selectorILNS1_17partition_subalgoE8EiNS0_10empty_typeEbEEZZNS1_14partition_implILS5_8ELb0ES3_jPKiPS6_PKS6_NS0_5tupleIJPiS6_EEENSE_IJSB_SB_EEENS0_18inequality_wrapperIN6hipcub16HIPCUB_304000_NS8EqualityEEEPlJS6_EEE10hipError_tPvRmT3_T4_T5_T6_T7_T9_mT8_P12ihipStream_tbDpT10_ENKUlT_T0_E_clISt17integral_constantIbLb1EES16_IbLb0EEEEDaS12_S13_EUlS12_E_NS1_11comp_targetILNS1_3genE8ELNS1_11target_archE1030ELNS1_3gpuE2ELNS1_3repE0EEENS1_30default_config_static_selectorELNS0_4arch9wavefront6targetE0EEEvT1_,comdat
.Lfunc_end211:
	.size	_ZN7rocprim17ROCPRIM_400000_NS6detail17trampoline_kernelINS0_14default_configENS1_25partition_config_selectorILNS1_17partition_subalgoE8EiNS0_10empty_typeEbEEZZNS1_14partition_implILS5_8ELb0ES3_jPKiPS6_PKS6_NS0_5tupleIJPiS6_EEENSE_IJSB_SB_EEENS0_18inequality_wrapperIN6hipcub16HIPCUB_304000_NS8EqualityEEEPlJS6_EEE10hipError_tPvRmT3_T4_T5_T6_T7_T9_mT8_P12ihipStream_tbDpT10_ENKUlT_T0_E_clISt17integral_constantIbLb1EES16_IbLb0EEEEDaS12_S13_EUlS12_E_NS1_11comp_targetILNS1_3genE8ELNS1_11target_archE1030ELNS1_3gpuE2ELNS1_3repE0EEENS1_30default_config_static_selectorELNS0_4arch9wavefront6targetE0EEEvT1_, .Lfunc_end211-_ZN7rocprim17ROCPRIM_400000_NS6detail17trampoline_kernelINS0_14default_configENS1_25partition_config_selectorILNS1_17partition_subalgoE8EiNS0_10empty_typeEbEEZZNS1_14partition_implILS5_8ELb0ES3_jPKiPS6_PKS6_NS0_5tupleIJPiS6_EEENSE_IJSB_SB_EEENS0_18inequality_wrapperIN6hipcub16HIPCUB_304000_NS8EqualityEEEPlJS6_EEE10hipError_tPvRmT3_T4_T5_T6_T7_T9_mT8_P12ihipStream_tbDpT10_ENKUlT_T0_E_clISt17integral_constantIbLb1EES16_IbLb0EEEEDaS12_S13_EUlS12_E_NS1_11comp_targetILNS1_3genE8ELNS1_11target_archE1030ELNS1_3gpuE2ELNS1_3repE0EEENS1_30default_config_static_selectorELNS0_4arch9wavefront6targetE0EEEvT1_
                                        ; -- End function
	.set _ZN7rocprim17ROCPRIM_400000_NS6detail17trampoline_kernelINS0_14default_configENS1_25partition_config_selectorILNS1_17partition_subalgoE8EiNS0_10empty_typeEbEEZZNS1_14partition_implILS5_8ELb0ES3_jPKiPS6_PKS6_NS0_5tupleIJPiS6_EEENSE_IJSB_SB_EEENS0_18inequality_wrapperIN6hipcub16HIPCUB_304000_NS8EqualityEEEPlJS6_EEE10hipError_tPvRmT3_T4_T5_T6_T7_T9_mT8_P12ihipStream_tbDpT10_ENKUlT_T0_E_clISt17integral_constantIbLb1EES16_IbLb0EEEEDaS12_S13_EUlS12_E_NS1_11comp_targetILNS1_3genE8ELNS1_11target_archE1030ELNS1_3gpuE2ELNS1_3repE0EEENS1_30default_config_static_selectorELNS0_4arch9wavefront6targetE0EEEvT1_.num_vgpr, 0
	.set _ZN7rocprim17ROCPRIM_400000_NS6detail17trampoline_kernelINS0_14default_configENS1_25partition_config_selectorILNS1_17partition_subalgoE8EiNS0_10empty_typeEbEEZZNS1_14partition_implILS5_8ELb0ES3_jPKiPS6_PKS6_NS0_5tupleIJPiS6_EEENSE_IJSB_SB_EEENS0_18inequality_wrapperIN6hipcub16HIPCUB_304000_NS8EqualityEEEPlJS6_EEE10hipError_tPvRmT3_T4_T5_T6_T7_T9_mT8_P12ihipStream_tbDpT10_ENKUlT_T0_E_clISt17integral_constantIbLb1EES16_IbLb0EEEEDaS12_S13_EUlS12_E_NS1_11comp_targetILNS1_3genE8ELNS1_11target_archE1030ELNS1_3gpuE2ELNS1_3repE0EEENS1_30default_config_static_selectorELNS0_4arch9wavefront6targetE0EEEvT1_.num_agpr, 0
	.set _ZN7rocprim17ROCPRIM_400000_NS6detail17trampoline_kernelINS0_14default_configENS1_25partition_config_selectorILNS1_17partition_subalgoE8EiNS0_10empty_typeEbEEZZNS1_14partition_implILS5_8ELb0ES3_jPKiPS6_PKS6_NS0_5tupleIJPiS6_EEENSE_IJSB_SB_EEENS0_18inequality_wrapperIN6hipcub16HIPCUB_304000_NS8EqualityEEEPlJS6_EEE10hipError_tPvRmT3_T4_T5_T6_T7_T9_mT8_P12ihipStream_tbDpT10_ENKUlT_T0_E_clISt17integral_constantIbLb1EES16_IbLb0EEEEDaS12_S13_EUlS12_E_NS1_11comp_targetILNS1_3genE8ELNS1_11target_archE1030ELNS1_3gpuE2ELNS1_3repE0EEENS1_30default_config_static_selectorELNS0_4arch9wavefront6targetE0EEEvT1_.numbered_sgpr, 0
	.set _ZN7rocprim17ROCPRIM_400000_NS6detail17trampoline_kernelINS0_14default_configENS1_25partition_config_selectorILNS1_17partition_subalgoE8EiNS0_10empty_typeEbEEZZNS1_14partition_implILS5_8ELb0ES3_jPKiPS6_PKS6_NS0_5tupleIJPiS6_EEENSE_IJSB_SB_EEENS0_18inequality_wrapperIN6hipcub16HIPCUB_304000_NS8EqualityEEEPlJS6_EEE10hipError_tPvRmT3_T4_T5_T6_T7_T9_mT8_P12ihipStream_tbDpT10_ENKUlT_T0_E_clISt17integral_constantIbLb1EES16_IbLb0EEEEDaS12_S13_EUlS12_E_NS1_11comp_targetILNS1_3genE8ELNS1_11target_archE1030ELNS1_3gpuE2ELNS1_3repE0EEENS1_30default_config_static_selectorELNS0_4arch9wavefront6targetE0EEEvT1_.num_named_barrier, 0
	.set _ZN7rocprim17ROCPRIM_400000_NS6detail17trampoline_kernelINS0_14default_configENS1_25partition_config_selectorILNS1_17partition_subalgoE8EiNS0_10empty_typeEbEEZZNS1_14partition_implILS5_8ELb0ES3_jPKiPS6_PKS6_NS0_5tupleIJPiS6_EEENSE_IJSB_SB_EEENS0_18inequality_wrapperIN6hipcub16HIPCUB_304000_NS8EqualityEEEPlJS6_EEE10hipError_tPvRmT3_T4_T5_T6_T7_T9_mT8_P12ihipStream_tbDpT10_ENKUlT_T0_E_clISt17integral_constantIbLb1EES16_IbLb0EEEEDaS12_S13_EUlS12_E_NS1_11comp_targetILNS1_3genE8ELNS1_11target_archE1030ELNS1_3gpuE2ELNS1_3repE0EEENS1_30default_config_static_selectorELNS0_4arch9wavefront6targetE0EEEvT1_.private_seg_size, 0
	.set _ZN7rocprim17ROCPRIM_400000_NS6detail17trampoline_kernelINS0_14default_configENS1_25partition_config_selectorILNS1_17partition_subalgoE8EiNS0_10empty_typeEbEEZZNS1_14partition_implILS5_8ELb0ES3_jPKiPS6_PKS6_NS0_5tupleIJPiS6_EEENSE_IJSB_SB_EEENS0_18inequality_wrapperIN6hipcub16HIPCUB_304000_NS8EqualityEEEPlJS6_EEE10hipError_tPvRmT3_T4_T5_T6_T7_T9_mT8_P12ihipStream_tbDpT10_ENKUlT_T0_E_clISt17integral_constantIbLb1EES16_IbLb0EEEEDaS12_S13_EUlS12_E_NS1_11comp_targetILNS1_3genE8ELNS1_11target_archE1030ELNS1_3gpuE2ELNS1_3repE0EEENS1_30default_config_static_selectorELNS0_4arch9wavefront6targetE0EEEvT1_.uses_vcc, 0
	.set _ZN7rocprim17ROCPRIM_400000_NS6detail17trampoline_kernelINS0_14default_configENS1_25partition_config_selectorILNS1_17partition_subalgoE8EiNS0_10empty_typeEbEEZZNS1_14partition_implILS5_8ELb0ES3_jPKiPS6_PKS6_NS0_5tupleIJPiS6_EEENSE_IJSB_SB_EEENS0_18inequality_wrapperIN6hipcub16HIPCUB_304000_NS8EqualityEEEPlJS6_EEE10hipError_tPvRmT3_T4_T5_T6_T7_T9_mT8_P12ihipStream_tbDpT10_ENKUlT_T0_E_clISt17integral_constantIbLb1EES16_IbLb0EEEEDaS12_S13_EUlS12_E_NS1_11comp_targetILNS1_3genE8ELNS1_11target_archE1030ELNS1_3gpuE2ELNS1_3repE0EEENS1_30default_config_static_selectorELNS0_4arch9wavefront6targetE0EEEvT1_.uses_flat_scratch, 0
	.set _ZN7rocprim17ROCPRIM_400000_NS6detail17trampoline_kernelINS0_14default_configENS1_25partition_config_selectorILNS1_17partition_subalgoE8EiNS0_10empty_typeEbEEZZNS1_14partition_implILS5_8ELb0ES3_jPKiPS6_PKS6_NS0_5tupleIJPiS6_EEENSE_IJSB_SB_EEENS0_18inequality_wrapperIN6hipcub16HIPCUB_304000_NS8EqualityEEEPlJS6_EEE10hipError_tPvRmT3_T4_T5_T6_T7_T9_mT8_P12ihipStream_tbDpT10_ENKUlT_T0_E_clISt17integral_constantIbLb1EES16_IbLb0EEEEDaS12_S13_EUlS12_E_NS1_11comp_targetILNS1_3genE8ELNS1_11target_archE1030ELNS1_3gpuE2ELNS1_3repE0EEENS1_30default_config_static_selectorELNS0_4arch9wavefront6targetE0EEEvT1_.has_dyn_sized_stack, 0
	.set _ZN7rocprim17ROCPRIM_400000_NS6detail17trampoline_kernelINS0_14default_configENS1_25partition_config_selectorILNS1_17partition_subalgoE8EiNS0_10empty_typeEbEEZZNS1_14partition_implILS5_8ELb0ES3_jPKiPS6_PKS6_NS0_5tupleIJPiS6_EEENSE_IJSB_SB_EEENS0_18inequality_wrapperIN6hipcub16HIPCUB_304000_NS8EqualityEEEPlJS6_EEE10hipError_tPvRmT3_T4_T5_T6_T7_T9_mT8_P12ihipStream_tbDpT10_ENKUlT_T0_E_clISt17integral_constantIbLb1EES16_IbLb0EEEEDaS12_S13_EUlS12_E_NS1_11comp_targetILNS1_3genE8ELNS1_11target_archE1030ELNS1_3gpuE2ELNS1_3repE0EEENS1_30default_config_static_selectorELNS0_4arch9wavefront6targetE0EEEvT1_.has_recursion, 0
	.set _ZN7rocprim17ROCPRIM_400000_NS6detail17trampoline_kernelINS0_14default_configENS1_25partition_config_selectorILNS1_17partition_subalgoE8EiNS0_10empty_typeEbEEZZNS1_14partition_implILS5_8ELb0ES3_jPKiPS6_PKS6_NS0_5tupleIJPiS6_EEENSE_IJSB_SB_EEENS0_18inequality_wrapperIN6hipcub16HIPCUB_304000_NS8EqualityEEEPlJS6_EEE10hipError_tPvRmT3_T4_T5_T6_T7_T9_mT8_P12ihipStream_tbDpT10_ENKUlT_T0_E_clISt17integral_constantIbLb1EES16_IbLb0EEEEDaS12_S13_EUlS12_E_NS1_11comp_targetILNS1_3genE8ELNS1_11target_archE1030ELNS1_3gpuE2ELNS1_3repE0EEENS1_30default_config_static_selectorELNS0_4arch9wavefront6targetE0EEEvT1_.has_indirect_call, 0
	.section	.AMDGPU.csdata,"",@progbits
; Kernel info:
; codeLenInByte = 4
; TotalNumSgprs: 0
; NumVgprs: 0
; ScratchSize: 0
; MemoryBound: 0
; FloatMode: 240
; IeeeMode: 1
; LDSByteSize: 0 bytes/workgroup (compile time only)
; SGPRBlocks: 0
; VGPRBlocks: 0
; NumSGPRsForWavesPerEU: 1
; NumVGPRsForWavesPerEU: 1
; Occupancy: 16
; WaveLimiterHint : 0
; COMPUTE_PGM_RSRC2:SCRATCH_EN: 0
; COMPUTE_PGM_RSRC2:USER_SGPR: 6
; COMPUTE_PGM_RSRC2:TRAP_HANDLER: 0
; COMPUTE_PGM_RSRC2:TGID_X_EN: 1
; COMPUTE_PGM_RSRC2:TGID_Y_EN: 0
; COMPUTE_PGM_RSRC2:TGID_Z_EN: 0
; COMPUTE_PGM_RSRC2:TIDIG_COMP_CNT: 0
	.section	.text._ZN7rocprim17ROCPRIM_400000_NS6detail31init_lookback_scan_state_kernelINS1_19lookback_scan_stateIjLb0ELb1EEENS1_16block_id_wrapperIjLb1EEEEEvT_jT0_jPNS7_10value_typeE,"axG",@progbits,_ZN7rocprim17ROCPRIM_400000_NS6detail31init_lookback_scan_state_kernelINS1_19lookback_scan_stateIjLb0ELb1EEENS1_16block_id_wrapperIjLb1EEEEEvT_jT0_jPNS7_10value_typeE,comdat
	.protected	_ZN7rocprim17ROCPRIM_400000_NS6detail31init_lookback_scan_state_kernelINS1_19lookback_scan_stateIjLb0ELb1EEENS1_16block_id_wrapperIjLb1EEEEEvT_jT0_jPNS7_10value_typeE ; -- Begin function _ZN7rocprim17ROCPRIM_400000_NS6detail31init_lookback_scan_state_kernelINS1_19lookback_scan_stateIjLb0ELb1EEENS1_16block_id_wrapperIjLb1EEEEEvT_jT0_jPNS7_10value_typeE
	.globl	_ZN7rocprim17ROCPRIM_400000_NS6detail31init_lookback_scan_state_kernelINS1_19lookback_scan_stateIjLb0ELb1EEENS1_16block_id_wrapperIjLb1EEEEEvT_jT0_jPNS7_10value_typeE
	.p2align	8
	.type	_ZN7rocprim17ROCPRIM_400000_NS6detail31init_lookback_scan_state_kernelINS1_19lookback_scan_stateIjLb0ELb1EEENS1_16block_id_wrapperIjLb1EEEEEvT_jT0_jPNS7_10value_typeE,@function
_ZN7rocprim17ROCPRIM_400000_NS6detail31init_lookback_scan_state_kernelINS1_19lookback_scan_stateIjLb0ELb1EEENS1_16block_id_wrapperIjLb1EEEEEvT_jT0_jPNS7_10value_typeE: ; @_ZN7rocprim17ROCPRIM_400000_NS6detail31init_lookback_scan_state_kernelINS1_19lookback_scan_stateIjLb0ELb1EEENS1_16block_id_wrapperIjLb1EEEEEvT_jT0_jPNS7_10value_typeE
; %bb.0:
	s_clause 0x3
	s_load_dword s7, s[4:5], 0x34
	s_load_dwordx2 s[2:3], s[4:5], 0x20
	s_load_dwordx2 s[0:1], s[4:5], 0x0
	s_load_dword s8, s[4:5], 0x8
	s_waitcnt lgkmcnt(0)
	s_and_b32 s7, s7, 0xffff
	s_cmp_eq_u64 s[2:3], 0
	v_mad_u64_u32 v[0:1], null, s6, s7, v[0:1]
	s_cbranch_scc1 .LBB212_6
; %bb.1:
	s_load_dword s6, s[4:5], 0x18
	s_waitcnt lgkmcnt(0)
	s_cmp_lt_u32 s6, s8
	s_cselect_b32 s7, s6, 0
	v_cmp_eq_u32_e32 vcc_lo, s7, v0
	s_mov_b32 s7, 0
	s_and_saveexec_b32 s9, vcc_lo
	s_cbranch_execz .LBB212_5
; %bb.2:
	s_add_i32 s6, s6, 32
	v_mov_b32_e32 v3, 0
	s_lshl_b64 s[6:7], s[6:7], 3
	s_add_u32 s6, s0, s6
	s_addc_u32 s7, s1, s7
	global_load_dwordx2 v[1:2], v3, s[6:7] glc dlc
	s_waitcnt vmcnt(0)
	v_and_b32_e32 v4, 0xff, v2
	v_cmp_ne_u64_e32 vcc_lo, 0, v[3:4]
	s_cbranch_vccnz .LBB212_4
.LBB212_3:                              ; =>This Inner Loop Header: Depth=1
	global_load_dwordx2 v[1:2], v3, s[6:7] glc dlc
	s_waitcnt vmcnt(0)
	v_and_b32_e32 v4, 0xff, v2
	v_cmp_eq_u64_e32 vcc_lo, 0, v[3:4]
	s_cbranch_vccnz .LBB212_3
.LBB212_4:
	v_mov_b32_e32 v2, 0
	global_store_dword v2, v1, s[2:3]
.LBB212_5:
	s_or_b32 exec_lo, exec_lo, s9
.LBB212_6:
	s_mov_b32 s2, exec_lo
	v_cmpx_eq_u32_e32 0, v0
	s_cbranch_execz .LBB212_8
; %bb.7:
	s_load_dwordx2 s[4:5], s[4:5], 0x10
	v_mov_b32_e32 v1, 0
	s_waitcnt lgkmcnt(0)
	global_store_dword v1, v1, s[4:5]
.LBB212_8:
	s_or_b32 exec_lo, exec_lo, s2
	s_mov_b32 s2, exec_lo
	v_cmpx_gt_u32_e64 s8, v0
	s_cbranch_execz .LBB212_10
; %bb.9:
	v_add_nc_u32_e32 v1, 32, v0
	v_mov_b32_e32 v2, 0
	v_lshlrev_b64 v[3:4], 3, v[1:2]
	v_mov_b32_e32 v1, v2
	v_add_co_u32 v3, vcc_lo, s0, v3
	v_add_co_ci_u32_e64 v4, null, s1, v4, vcc_lo
	global_store_dwordx2 v[3:4], v[1:2], off
.LBB212_10:
	s_or_b32 exec_lo, exec_lo, s2
	s_mov_b32 s2, exec_lo
	v_cmpx_gt_u32_e32 32, v0
	s_cbranch_execz .LBB212_12
; %bb.11:
	v_mov_b32_e32 v1, 0
	v_mov_b32_e32 v4, 0xff
	v_lshlrev_b64 v[2:3], 3, v[0:1]
	v_add_co_u32 v5, vcc_lo, s0, v2
	v_add_co_ci_u32_e64 v6, null, s1, v3, vcc_lo
	v_mov_b32_e32 v3, v1
	global_store_dwordx2 v[5:6], v[3:4], off
.LBB212_12:
	s_endpgm
	.section	.rodata,"a",@progbits
	.p2align	6, 0x0
	.amdhsa_kernel _ZN7rocprim17ROCPRIM_400000_NS6detail31init_lookback_scan_state_kernelINS1_19lookback_scan_stateIjLb0ELb1EEENS1_16block_id_wrapperIjLb1EEEEEvT_jT0_jPNS7_10value_typeE
		.amdhsa_group_segment_fixed_size 0
		.amdhsa_private_segment_fixed_size 0
		.amdhsa_kernarg_size 296
		.amdhsa_user_sgpr_count 6
		.amdhsa_user_sgpr_private_segment_buffer 1
		.amdhsa_user_sgpr_dispatch_ptr 0
		.amdhsa_user_sgpr_queue_ptr 0
		.amdhsa_user_sgpr_kernarg_segment_ptr 1
		.amdhsa_user_sgpr_dispatch_id 0
		.amdhsa_user_sgpr_flat_scratch_init 0
		.amdhsa_user_sgpr_private_segment_size 0
		.amdhsa_wavefront_size32 1
		.amdhsa_uses_dynamic_stack 0
		.amdhsa_system_sgpr_private_segment_wavefront_offset 0
		.amdhsa_system_sgpr_workgroup_id_x 1
		.amdhsa_system_sgpr_workgroup_id_y 0
		.amdhsa_system_sgpr_workgroup_id_z 0
		.amdhsa_system_sgpr_workgroup_info 0
		.amdhsa_system_vgpr_workitem_id 0
		.amdhsa_next_free_vgpr 7
		.amdhsa_next_free_sgpr 10
		.amdhsa_reserve_vcc 1
		.amdhsa_reserve_flat_scratch 0
		.amdhsa_float_round_mode_32 0
		.amdhsa_float_round_mode_16_64 0
		.amdhsa_float_denorm_mode_32 3
		.amdhsa_float_denorm_mode_16_64 3
		.amdhsa_dx10_clamp 1
		.amdhsa_ieee_mode 1
		.amdhsa_fp16_overflow 0
		.amdhsa_workgroup_processor_mode 1
		.amdhsa_memory_ordered 1
		.amdhsa_forward_progress 1
		.amdhsa_shared_vgpr_count 0
		.amdhsa_exception_fp_ieee_invalid_op 0
		.amdhsa_exception_fp_denorm_src 0
		.amdhsa_exception_fp_ieee_div_zero 0
		.amdhsa_exception_fp_ieee_overflow 0
		.amdhsa_exception_fp_ieee_underflow 0
		.amdhsa_exception_fp_ieee_inexact 0
		.amdhsa_exception_int_div_zero 0
	.end_amdhsa_kernel
	.section	.text._ZN7rocprim17ROCPRIM_400000_NS6detail31init_lookback_scan_state_kernelINS1_19lookback_scan_stateIjLb0ELb1EEENS1_16block_id_wrapperIjLb1EEEEEvT_jT0_jPNS7_10value_typeE,"axG",@progbits,_ZN7rocprim17ROCPRIM_400000_NS6detail31init_lookback_scan_state_kernelINS1_19lookback_scan_stateIjLb0ELb1EEENS1_16block_id_wrapperIjLb1EEEEEvT_jT0_jPNS7_10value_typeE,comdat
.Lfunc_end212:
	.size	_ZN7rocprim17ROCPRIM_400000_NS6detail31init_lookback_scan_state_kernelINS1_19lookback_scan_stateIjLb0ELb1EEENS1_16block_id_wrapperIjLb1EEEEEvT_jT0_jPNS7_10value_typeE, .Lfunc_end212-_ZN7rocprim17ROCPRIM_400000_NS6detail31init_lookback_scan_state_kernelINS1_19lookback_scan_stateIjLb0ELb1EEENS1_16block_id_wrapperIjLb1EEEEEvT_jT0_jPNS7_10value_typeE
                                        ; -- End function
	.set _ZN7rocprim17ROCPRIM_400000_NS6detail31init_lookback_scan_state_kernelINS1_19lookback_scan_stateIjLb0ELb1EEENS1_16block_id_wrapperIjLb1EEEEEvT_jT0_jPNS7_10value_typeE.num_vgpr, 7
	.set _ZN7rocprim17ROCPRIM_400000_NS6detail31init_lookback_scan_state_kernelINS1_19lookback_scan_stateIjLb0ELb1EEENS1_16block_id_wrapperIjLb1EEEEEvT_jT0_jPNS7_10value_typeE.num_agpr, 0
	.set _ZN7rocprim17ROCPRIM_400000_NS6detail31init_lookback_scan_state_kernelINS1_19lookback_scan_stateIjLb0ELb1EEENS1_16block_id_wrapperIjLb1EEEEEvT_jT0_jPNS7_10value_typeE.numbered_sgpr, 10
	.set _ZN7rocprim17ROCPRIM_400000_NS6detail31init_lookback_scan_state_kernelINS1_19lookback_scan_stateIjLb0ELb1EEENS1_16block_id_wrapperIjLb1EEEEEvT_jT0_jPNS7_10value_typeE.num_named_barrier, 0
	.set _ZN7rocprim17ROCPRIM_400000_NS6detail31init_lookback_scan_state_kernelINS1_19lookback_scan_stateIjLb0ELb1EEENS1_16block_id_wrapperIjLb1EEEEEvT_jT0_jPNS7_10value_typeE.private_seg_size, 0
	.set _ZN7rocprim17ROCPRIM_400000_NS6detail31init_lookback_scan_state_kernelINS1_19lookback_scan_stateIjLb0ELb1EEENS1_16block_id_wrapperIjLb1EEEEEvT_jT0_jPNS7_10value_typeE.uses_vcc, 1
	.set _ZN7rocprim17ROCPRIM_400000_NS6detail31init_lookback_scan_state_kernelINS1_19lookback_scan_stateIjLb0ELb1EEENS1_16block_id_wrapperIjLb1EEEEEvT_jT0_jPNS7_10value_typeE.uses_flat_scratch, 0
	.set _ZN7rocprim17ROCPRIM_400000_NS6detail31init_lookback_scan_state_kernelINS1_19lookback_scan_stateIjLb0ELb1EEENS1_16block_id_wrapperIjLb1EEEEEvT_jT0_jPNS7_10value_typeE.has_dyn_sized_stack, 0
	.set _ZN7rocprim17ROCPRIM_400000_NS6detail31init_lookback_scan_state_kernelINS1_19lookback_scan_stateIjLb0ELb1EEENS1_16block_id_wrapperIjLb1EEEEEvT_jT0_jPNS7_10value_typeE.has_recursion, 0
	.set _ZN7rocprim17ROCPRIM_400000_NS6detail31init_lookback_scan_state_kernelINS1_19lookback_scan_stateIjLb0ELb1EEENS1_16block_id_wrapperIjLb1EEEEEvT_jT0_jPNS7_10value_typeE.has_indirect_call, 0
	.section	.AMDGPU.csdata,"",@progbits
; Kernel info:
; codeLenInByte = 360
; TotalNumSgprs: 12
; NumVgprs: 7
; ScratchSize: 0
; MemoryBound: 0
; FloatMode: 240
; IeeeMode: 1
; LDSByteSize: 0 bytes/workgroup (compile time only)
; SGPRBlocks: 0
; VGPRBlocks: 0
; NumSGPRsForWavesPerEU: 12
; NumVGPRsForWavesPerEU: 7
; Occupancy: 16
; WaveLimiterHint : 0
; COMPUTE_PGM_RSRC2:SCRATCH_EN: 0
; COMPUTE_PGM_RSRC2:USER_SGPR: 6
; COMPUTE_PGM_RSRC2:TRAP_HANDLER: 0
; COMPUTE_PGM_RSRC2:TGID_X_EN: 1
; COMPUTE_PGM_RSRC2:TGID_Y_EN: 0
; COMPUTE_PGM_RSRC2:TGID_Z_EN: 0
; COMPUTE_PGM_RSRC2:TIDIG_COMP_CNT: 0
	.section	.text._ZN7rocprim17ROCPRIM_400000_NS6detail17trampoline_kernelINS0_14default_configENS1_25partition_config_selectorILNS1_17partition_subalgoE8EiNS0_10empty_typeEbEEZZNS1_14partition_implILS5_8ELb0ES3_jPKiPS6_PKS6_NS0_5tupleIJPiS6_EEENSE_IJSB_SB_EEENS0_18inequality_wrapperIN6hipcub16HIPCUB_304000_NS8EqualityEEEPlJS6_EEE10hipError_tPvRmT3_T4_T5_T6_T7_T9_mT8_P12ihipStream_tbDpT10_ENKUlT_T0_E_clISt17integral_constantIbLb0EES16_IbLb1EEEEDaS12_S13_EUlS12_E_NS1_11comp_targetILNS1_3genE0ELNS1_11target_archE4294967295ELNS1_3gpuE0ELNS1_3repE0EEENS1_30default_config_static_selectorELNS0_4arch9wavefront6targetE0EEEvT1_,"axG",@progbits,_ZN7rocprim17ROCPRIM_400000_NS6detail17trampoline_kernelINS0_14default_configENS1_25partition_config_selectorILNS1_17partition_subalgoE8EiNS0_10empty_typeEbEEZZNS1_14partition_implILS5_8ELb0ES3_jPKiPS6_PKS6_NS0_5tupleIJPiS6_EEENSE_IJSB_SB_EEENS0_18inequality_wrapperIN6hipcub16HIPCUB_304000_NS8EqualityEEEPlJS6_EEE10hipError_tPvRmT3_T4_T5_T6_T7_T9_mT8_P12ihipStream_tbDpT10_ENKUlT_T0_E_clISt17integral_constantIbLb0EES16_IbLb1EEEEDaS12_S13_EUlS12_E_NS1_11comp_targetILNS1_3genE0ELNS1_11target_archE4294967295ELNS1_3gpuE0ELNS1_3repE0EEENS1_30default_config_static_selectorELNS0_4arch9wavefront6targetE0EEEvT1_,comdat
	.protected	_ZN7rocprim17ROCPRIM_400000_NS6detail17trampoline_kernelINS0_14default_configENS1_25partition_config_selectorILNS1_17partition_subalgoE8EiNS0_10empty_typeEbEEZZNS1_14partition_implILS5_8ELb0ES3_jPKiPS6_PKS6_NS0_5tupleIJPiS6_EEENSE_IJSB_SB_EEENS0_18inequality_wrapperIN6hipcub16HIPCUB_304000_NS8EqualityEEEPlJS6_EEE10hipError_tPvRmT3_T4_T5_T6_T7_T9_mT8_P12ihipStream_tbDpT10_ENKUlT_T0_E_clISt17integral_constantIbLb0EES16_IbLb1EEEEDaS12_S13_EUlS12_E_NS1_11comp_targetILNS1_3genE0ELNS1_11target_archE4294967295ELNS1_3gpuE0ELNS1_3repE0EEENS1_30default_config_static_selectorELNS0_4arch9wavefront6targetE0EEEvT1_ ; -- Begin function _ZN7rocprim17ROCPRIM_400000_NS6detail17trampoline_kernelINS0_14default_configENS1_25partition_config_selectorILNS1_17partition_subalgoE8EiNS0_10empty_typeEbEEZZNS1_14partition_implILS5_8ELb0ES3_jPKiPS6_PKS6_NS0_5tupleIJPiS6_EEENSE_IJSB_SB_EEENS0_18inequality_wrapperIN6hipcub16HIPCUB_304000_NS8EqualityEEEPlJS6_EEE10hipError_tPvRmT3_T4_T5_T6_T7_T9_mT8_P12ihipStream_tbDpT10_ENKUlT_T0_E_clISt17integral_constantIbLb0EES16_IbLb1EEEEDaS12_S13_EUlS12_E_NS1_11comp_targetILNS1_3genE0ELNS1_11target_archE4294967295ELNS1_3gpuE0ELNS1_3repE0EEENS1_30default_config_static_selectorELNS0_4arch9wavefront6targetE0EEEvT1_
	.globl	_ZN7rocprim17ROCPRIM_400000_NS6detail17trampoline_kernelINS0_14default_configENS1_25partition_config_selectorILNS1_17partition_subalgoE8EiNS0_10empty_typeEbEEZZNS1_14partition_implILS5_8ELb0ES3_jPKiPS6_PKS6_NS0_5tupleIJPiS6_EEENSE_IJSB_SB_EEENS0_18inequality_wrapperIN6hipcub16HIPCUB_304000_NS8EqualityEEEPlJS6_EEE10hipError_tPvRmT3_T4_T5_T6_T7_T9_mT8_P12ihipStream_tbDpT10_ENKUlT_T0_E_clISt17integral_constantIbLb0EES16_IbLb1EEEEDaS12_S13_EUlS12_E_NS1_11comp_targetILNS1_3genE0ELNS1_11target_archE4294967295ELNS1_3gpuE0ELNS1_3repE0EEENS1_30default_config_static_selectorELNS0_4arch9wavefront6targetE0EEEvT1_
	.p2align	8
	.type	_ZN7rocprim17ROCPRIM_400000_NS6detail17trampoline_kernelINS0_14default_configENS1_25partition_config_selectorILNS1_17partition_subalgoE8EiNS0_10empty_typeEbEEZZNS1_14partition_implILS5_8ELb0ES3_jPKiPS6_PKS6_NS0_5tupleIJPiS6_EEENSE_IJSB_SB_EEENS0_18inequality_wrapperIN6hipcub16HIPCUB_304000_NS8EqualityEEEPlJS6_EEE10hipError_tPvRmT3_T4_T5_T6_T7_T9_mT8_P12ihipStream_tbDpT10_ENKUlT_T0_E_clISt17integral_constantIbLb0EES16_IbLb1EEEEDaS12_S13_EUlS12_E_NS1_11comp_targetILNS1_3genE0ELNS1_11target_archE4294967295ELNS1_3gpuE0ELNS1_3repE0EEENS1_30default_config_static_selectorELNS0_4arch9wavefront6targetE0EEEvT1_,@function
_ZN7rocprim17ROCPRIM_400000_NS6detail17trampoline_kernelINS0_14default_configENS1_25partition_config_selectorILNS1_17partition_subalgoE8EiNS0_10empty_typeEbEEZZNS1_14partition_implILS5_8ELb0ES3_jPKiPS6_PKS6_NS0_5tupleIJPiS6_EEENSE_IJSB_SB_EEENS0_18inequality_wrapperIN6hipcub16HIPCUB_304000_NS8EqualityEEEPlJS6_EEE10hipError_tPvRmT3_T4_T5_T6_T7_T9_mT8_P12ihipStream_tbDpT10_ENKUlT_T0_E_clISt17integral_constantIbLb0EES16_IbLb1EEEEDaS12_S13_EUlS12_E_NS1_11comp_targetILNS1_3genE0ELNS1_11target_archE4294967295ELNS1_3gpuE0ELNS1_3repE0EEENS1_30default_config_static_selectorELNS0_4arch9wavefront6targetE0EEEvT1_: ; @_ZN7rocprim17ROCPRIM_400000_NS6detail17trampoline_kernelINS0_14default_configENS1_25partition_config_selectorILNS1_17partition_subalgoE8EiNS0_10empty_typeEbEEZZNS1_14partition_implILS5_8ELb0ES3_jPKiPS6_PKS6_NS0_5tupleIJPiS6_EEENSE_IJSB_SB_EEENS0_18inequality_wrapperIN6hipcub16HIPCUB_304000_NS8EqualityEEEPlJS6_EEE10hipError_tPvRmT3_T4_T5_T6_T7_T9_mT8_P12ihipStream_tbDpT10_ENKUlT_T0_E_clISt17integral_constantIbLb0EES16_IbLb1EEEEDaS12_S13_EUlS12_E_NS1_11comp_targetILNS1_3genE0ELNS1_11target_archE4294967295ELNS1_3gpuE0ELNS1_3repE0EEENS1_30default_config_static_selectorELNS0_4arch9wavefront6targetE0EEEvT1_
; %bb.0:
	.section	.rodata,"a",@progbits
	.p2align	6, 0x0
	.amdhsa_kernel _ZN7rocprim17ROCPRIM_400000_NS6detail17trampoline_kernelINS0_14default_configENS1_25partition_config_selectorILNS1_17partition_subalgoE8EiNS0_10empty_typeEbEEZZNS1_14partition_implILS5_8ELb0ES3_jPKiPS6_PKS6_NS0_5tupleIJPiS6_EEENSE_IJSB_SB_EEENS0_18inequality_wrapperIN6hipcub16HIPCUB_304000_NS8EqualityEEEPlJS6_EEE10hipError_tPvRmT3_T4_T5_T6_T7_T9_mT8_P12ihipStream_tbDpT10_ENKUlT_T0_E_clISt17integral_constantIbLb0EES16_IbLb1EEEEDaS12_S13_EUlS12_E_NS1_11comp_targetILNS1_3genE0ELNS1_11target_archE4294967295ELNS1_3gpuE0ELNS1_3repE0EEENS1_30default_config_static_selectorELNS0_4arch9wavefront6targetE0EEEvT1_
		.amdhsa_group_segment_fixed_size 0
		.amdhsa_private_segment_fixed_size 0
		.amdhsa_kernarg_size 128
		.amdhsa_user_sgpr_count 6
		.amdhsa_user_sgpr_private_segment_buffer 1
		.amdhsa_user_sgpr_dispatch_ptr 0
		.amdhsa_user_sgpr_queue_ptr 0
		.amdhsa_user_sgpr_kernarg_segment_ptr 1
		.amdhsa_user_sgpr_dispatch_id 0
		.amdhsa_user_sgpr_flat_scratch_init 0
		.amdhsa_user_sgpr_private_segment_size 0
		.amdhsa_wavefront_size32 1
		.amdhsa_uses_dynamic_stack 0
		.amdhsa_system_sgpr_private_segment_wavefront_offset 0
		.amdhsa_system_sgpr_workgroup_id_x 1
		.amdhsa_system_sgpr_workgroup_id_y 0
		.amdhsa_system_sgpr_workgroup_id_z 0
		.amdhsa_system_sgpr_workgroup_info 0
		.amdhsa_system_vgpr_workitem_id 0
		.amdhsa_next_free_vgpr 1
		.amdhsa_next_free_sgpr 1
		.amdhsa_reserve_vcc 0
		.amdhsa_reserve_flat_scratch 0
		.amdhsa_float_round_mode_32 0
		.amdhsa_float_round_mode_16_64 0
		.amdhsa_float_denorm_mode_32 3
		.amdhsa_float_denorm_mode_16_64 3
		.amdhsa_dx10_clamp 1
		.amdhsa_ieee_mode 1
		.amdhsa_fp16_overflow 0
		.amdhsa_workgroup_processor_mode 1
		.amdhsa_memory_ordered 1
		.amdhsa_forward_progress 1
		.amdhsa_shared_vgpr_count 0
		.amdhsa_exception_fp_ieee_invalid_op 0
		.amdhsa_exception_fp_denorm_src 0
		.amdhsa_exception_fp_ieee_div_zero 0
		.amdhsa_exception_fp_ieee_overflow 0
		.amdhsa_exception_fp_ieee_underflow 0
		.amdhsa_exception_fp_ieee_inexact 0
		.amdhsa_exception_int_div_zero 0
	.end_amdhsa_kernel
	.section	.text._ZN7rocprim17ROCPRIM_400000_NS6detail17trampoline_kernelINS0_14default_configENS1_25partition_config_selectorILNS1_17partition_subalgoE8EiNS0_10empty_typeEbEEZZNS1_14partition_implILS5_8ELb0ES3_jPKiPS6_PKS6_NS0_5tupleIJPiS6_EEENSE_IJSB_SB_EEENS0_18inequality_wrapperIN6hipcub16HIPCUB_304000_NS8EqualityEEEPlJS6_EEE10hipError_tPvRmT3_T4_T5_T6_T7_T9_mT8_P12ihipStream_tbDpT10_ENKUlT_T0_E_clISt17integral_constantIbLb0EES16_IbLb1EEEEDaS12_S13_EUlS12_E_NS1_11comp_targetILNS1_3genE0ELNS1_11target_archE4294967295ELNS1_3gpuE0ELNS1_3repE0EEENS1_30default_config_static_selectorELNS0_4arch9wavefront6targetE0EEEvT1_,"axG",@progbits,_ZN7rocprim17ROCPRIM_400000_NS6detail17trampoline_kernelINS0_14default_configENS1_25partition_config_selectorILNS1_17partition_subalgoE8EiNS0_10empty_typeEbEEZZNS1_14partition_implILS5_8ELb0ES3_jPKiPS6_PKS6_NS0_5tupleIJPiS6_EEENSE_IJSB_SB_EEENS0_18inequality_wrapperIN6hipcub16HIPCUB_304000_NS8EqualityEEEPlJS6_EEE10hipError_tPvRmT3_T4_T5_T6_T7_T9_mT8_P12ihipStream_tbDpT10_ENKUlT_T0_E_clISt17integral_constantIbLb0EES16_IbLb1EEEEDaS12_S13_EUlS12_E_NS1_11comp_targetILNS1_3genE0ELNS1_11target_archE4294967295ELNS1_3gpuE0ELNS1_3repE0EEENS1_30default_config_static_selectorELNS0_4arch9wavefront6targetE0EEEvT1_,comdat
.Lfunc_end213:
	.size	_ZN7rocprim17ROCPRIM_400000_NS6detail17trampoline_kernelINS0_14default_configENS1_25partition_config_selectorILNS1_17partition_subalgoE8EiNS0_10empty_typeEbEEZZNS1_14partition_implILS5_8ELb0ES3_jPKiPS6_PKS6_NS0_5tupleIJPiS6_EEENSE_IJSB_SB_EEENS0_18inequality_wrapperIN6hipcub16HIPCUB_304000_NS8EqualityEEEPlJS6_EEE10hipError_tPvRmT3_T4_T5_T6_T7_T9_mT8_P12ihipStream_tbDpT10_ENKUlT_T0_E_clISt17integral_constantIbLb0EES16_IbLb1EEEEDaS12_S13_EUlS12_E_NS1_11comp_targetILNS1_3genE0ELNS1_11target_archE4294967295ELNS1_3gpuE0ELNS1_3repE0EEENS1_30default_config_static_selectorELNS0_4arch9wavefront6targetE0EEEvT1_, .Lfunc_end213-_ZN7rocprim17ROCPRIM_400000_NS6detail17trampoline_kernelINS0_14default_configENS1_25partition_config_selectorILNS1_17partition_subalgoE8EiNS0_10empty_typeEbEEZZNS1_14partition_implILS5_8ELb0ES3_jPKiPS6_PKS6_NS0_5tupleIJPiS6_EEENSE_IJSB_SB_EEENS0_18inequality_wrapperIN6hipcub16HIPCUB_304000_NS8EqualityEEEPlJS6_EEE10hipError_tPvRmT3_T4_T5_T6_T7_T9_mT8_P12ihipStream_tbDpT10_ENKUlT_T0_E_clISt17integral_constantIbLb0EES16_IbLb1EEEEDaS12_S13_EUlS12_E_NS1_11comp_targetILNS1_3genE0ELNS1_11target_archE4294967295ELNS1_3gpuE0ELNS1_3repE0EEENS1_30default_config_static_selectorELNS0_4arch9wavefront6targetE0EEEvT1_
                                        ; -- End function
	.set _ZN7rocprim17ROCPRIM_400000_NS6detail17trampoline_kernelINS0_14default_configENS1_25partition_config_selectorILNS1_17partition_subalgoE8EiNS0_10empty_typeEbEEZZNS1_14partition_implILS5_8ELb0ES3_jPKiPS6_PKS6_NS0_5tupleIJPiS6_EEENSE_IJSB_SB_EEENS0_18inequality_wrapperIN6hipcub16HIPCUB_304000_NS8EqualityEEEPlJS6_EEE10hipError_tPvRmT3_T4_T5_T6_T7_T9_mT8_P12ihipStream_tbDpT10_ENKUlT_T0_E_clISt17integral_constantIbLb0EES16_IbLb1EEEEDaS12_S13_EUlS12_E_NS1_11comp_targetILNS1_3genE0ELNS1_11target_archE4294967295ELNS1_3gpuE0ELNS1_3repE0EEENS1_30default_config_static_selectorELNS0_4arch9wavefront6targetE0EEEvT1_.num_vgpr, 0
	.set _ZN7rocprim17ROCPRIM_400000_NS6detail17trampoline_kernelINS0_14default_configENS1_25partition_config_selectorILNS1_17partition_subalgoE8EiNS0_10empty_typeEbEEZZNS1_14partition_implILS5_8ELb0ES3_jPKiPS6_PKS6_NS0_5tupleIJPiS6_EEENSE_IJSB_SB_EEENS0_18inequality_wrapperIN6hipcub16HIPCUB_304000_NS8EqualityEEEPlJS6_EEE10hipError_tPvRmT3_T4_T5_T6_T7_T9_mT8_P12ihipStream_tbDpT10_ENKUlT_T0_E_clISt17integral_constantIbLb0EES16_IbLb1EEEEDaS12_S13_EUlS12_E_NS1_11comp_targetILNS1_3genE0ELNS1_11target_archE4294967295ELNS1_3gpuE0ELNS1_3repE0EEENS1_30default_config_static_selectorELNS0_4arch9wavefront6targetE0EEEvT1_.num_agpr, 0
	.set _ZN7rocprim17ROCPRIM_400000_NS6detail17trampoline_kernelINS0_14default_configENS1_25partition_config_selectorILNS1_17partition_subalgoE8EiNS0_10empty_typeEbEEZZNS1_14partition_implILS5_8ELb0ES3_jPKiPS6_PKS6_NS0_5tupleIJPiS6_EEENSE_IJSB_SB_EEENS0_18inequality_wrapperIN6hipcub16HIPCUB_304000_NS8EqualityEEEPlJS6_EEE10hipError_tPvRmT3_T4_T5_T6_T7_T9_mT8_P12ihipStream_tbDpT10_ENKUlT_T0_E_clISt17integral_constantIbLb0EES16_IbLb1EEEEDaS12_S13_EUlS12_E_NS1_11comp_targetILNS1_3genE0ELNS1_11target_archE4294967295ELNS1_3gpuE0ELNS1_3repE0EEENS1_30default_config_static_selectorELNS0_4arch9wavefront6targetE0EEEvT1_.numbered_sgpr, 0
	.set _ZN7rocprim17ROCPRIM_400000_NS6detail17trampoline_kernelINS0_14default_configENS1_25partition_config_selectorILNS1_17partition_subalgoE8EiNS0_10empty_typeEbEEZZNS1_14partition_implILS5_8ELb0ES3_jPKiPS6_PKS6_NS0_5tupleIJPiS6_EEENSE_IJSB_SB_EEENS0_18inequality_wrapperIN6hipcub16HIPCUB_304000_NS8EqualityEEEPlJS6_EEE10hipError_tPvRmT3_T4_T5_T6_T7_T9_mT8_P12ihipStream_tbDpT10_ENKUlT_T0_E_clISt17integral_constantIbLb0EES16_IbLb1EEEEDaS12_S13_EUlS12_E_NS1_11comp_targetILNS1_3genE0ELNS1_11target_archE4294967295ELNS1_3gpuE0ELNS1_3repE0EEENS1_30default_config_static_selectorELNS0_4arch9wavefront6targetE0EEEvT1_.num_named_barrier, 0
	.set _ZN7rocprim17ROCPRIM_400000_NS6detail17trampoline_kernelINS0_14default_configENS1_25partition_config_selectorILNS1_17partition_subalgoE8EiNS0_10empty_typeEbEEZZNS1_14partition_implILS5_8ELb0ES3_jPKiPS6_PKS6_NS0_5tupleIJPiS6_EEENSE_IJSB_SB_EEENS0_18inequality_wrapperIN6hipcub16HIPCUB_304000_NS8EqualityEEEPlJS6_EEE10hipError_tPvRmT3_T4_T5_T6_T7_T9_mT8_P12ihipStream_tbDpT10_ENKUlT_T0_E_clISt17integral_constantIbLb0EES16_IbLb1EEEEDaS12_S13_EUlS12_E_NS1_11comp_targetILNS1_3genE0ELNS1_11target_archE4294967295ELNS1_3gpuE0ELNS1_3repE0EEENS1_30default_config_static_selectorELNS0_4arch9wavefront6targetE0EEEvT1_.private_seg_size, 0
	.set _ZN7rocprim17ROCPRIM_400000_NS6detail17trampoline_kernelINS0_14default_configENS1_25partition_config_selectorILNS1_17partition_subalgoE8EiNS0_10empty_typeEbEEZZNS1_14partition_implILS5_8ELb0ES3_jPKiPS6_PKS6_NS0_5tupleIJPiS6_EEENSE_IJSB_SB_EEENS0_18inequality_wrapperIN6hipcub16HIPCUB_304000_NS8EqualityEEEPlJS6_EEE10hipError_tPvRmT3_T4_T5_T6_T7_T9_mT8_P12ihipStream_tbDpT10_ENKUlT_T0_E_clISt17integral_constantIbLb0EES16_IbLb1EEEEDaS12_S13_EUlS12_E_NS1_11comp_targetILNS1_3genE0ELNS1_11target_archE4294967295ELNS1_3gpuE0ELNS1_3repE0EEENS1_30default_config_static_selectorELNS0_4arch9wavefront6targetE0EEEvT1_.uses_vcc, 0
	.set _ZN7rocprim17ROCPRIM_400000_NS6detail17trampoline_kernelINS0_14default_configENS1_25partition_config_selectorILNS1_17partition_subalgoE8EiNS0_10empty_typeEbEEZZNS1_14partition_implILS5_8ELb0ES3_jPKiPS6_PKS6_NS0_5tupleIJPiS6_EEENSE_IJSB_SB_EEENS0_18inequality_wrapperIN6hipcub16HIPCUB_304000_NS8EqualityEEEPlJS6_EEE10hipError_tPvRmT3_T4_T5_T6_T7_T9_mT8_P12ihipStream_tbDpT10_ENKUlT_T0_E_clISt17integral_constantIbLb0EES16_IbLb1EEEEDaS12_S13_EUlS12_E_NS1_11comp_targetILNS1_3genE0ELNS1_11target_archE4294967295ELNS1_3gpuE0ELNS1_3repE0EEENS1_30default_config_static_selectorELNS0_4arch9wavefront6targetE0EEEvT1_.uses_flat_scratch, 0
	.set _ZN7rocprim17ROCPRIM_400000_NS6detail17trampoline_kernelINS0_14default_configENS1_25partition_config_selectorILNS1_17partition_subalgoE8EiNS0_10empty_typeEbEEZZNS1_14partition_implILS5_8ELb0ES3_jPKiPS6_PKS6_NS0_5tupleIJPiS6_EEENSE_IJSB_SB_EEENS0_18inequality_wrapperIN6hipcub16HIPCUB_304000_NS8EqualityEEEPlJS6_EEE10hipError_tPvRmT3_T4_T5_T6_T7_T9_mT8_P12ihipStream_tbDpT10_ENKUlT_T0_E_clISt17integral_constantIbLb0EES16_IbLb1EEEEDaS12_S13_EUlS12_E_NS1_11comp_targetILNS1_3genE0ELNS1_11target_archE4294967295ELNS1_3gpuE0ELNS1_3repE0EEENS1_30default_config_static_selectorELNS0_4arch9wavefront6targetE0EEEvT1_.has_dyn_sized_stack, 0
	.set _ZN7rocprim17ROCPRIM_400000_NS6detail17trampoline_kernelINS0_14default_configENS1_25partition_config_selectorILNS1_17partition_subalgoE8EiNS0_10empty_typeEbEEZZNS1_14partition_implILS5_8ELb0ES3_jPKiPS6_PKS6_NS0_5tupleIJPiS6_EEENSE_IJSB_SB_EEENS0_18inequality_wrapperIN6hipcub16HIPCUB_304000_NS8EqualityEEEPlJS6_EEE10hipError_tPvRmT3_T4_T5_T6_T7_T9_mT8_P12ihipStream_tbDpT10_ENKUlT_T0_E_clISt17integral_constantIbLb0EES16_IbLb1EEEEDaS12_S13_EUlS12_E_NS1_11comp_targetILNS1_3genE0ELNS1_11target_archE4294967295ELNS1_3gpuE0ELNS1_3repE0EEENS1_30default_config_static_selectorELNS0_4arch9wavefront6targetE0EEEvT1_.has_recursion, 0
	.set _ZN7rocprim17ROCPRIM_400000_NS6detail17trampoline_kernelINS0_14default_configENS1_25partition_config_selectorILNS1_17partition_subalgoE8EiNS0_10empty_typeEbEEZZNS1_14partition_implILS5_8ELb0ES3_jPKiPS6_PKS6_NS0_5tupleIJPiS6_EEENSE_IJSB_SB_EEENS0_18inequality_wrapperIN6hipcub16HIPCUB_304000_NS8EqualityEEEPlJS6_EEE10hipError_tPvRmT3_T4_T5_T6_T7_T9_mT8_P12ihipStream_tbDpT10_ENKUlT_T0_E_clISt17integral_constantIbLb0EES16_IbLb1EEEEDaS12_S13_EUlS12_E_NS1_11comp_targetILNS1_3genE0ELNS1_11target_archE4294967295ELNS1_3gpuE0ELNS1_3repE0EEENS1_30default_config_static_selectorELNS0_4arch9wavefront6targetE0EEEvT1_.has_indirect_call, 0
	.section	.AMDGPU.csdata,"",@progbits
; Kernel info:
; codeLenInByte = 0
; TotalNumSgprs: 0
; NumVgprs: 0
; ScratchSize: 0
; MemoryBound: 0
; FloatMode: 240
; IeeeMode: 1
; LDSByteSize: 0 bytes/workgroup (compile time only)
; SGPRBlocks: 0
; VGPRBlocks: 0
; NumSGPRsForWavesPerEU: 1
; NumVGPRsForWavesPerEU: 1
; Occupancy: 16
; WaveLimiterHint : 0
; COMPUTE_PGM_RSRC2:SCRATCH_EN: 0
; COMPUTE_PGM_RSRC2:USER_SGPR: 6
; COMPUTE_PGM_RSRC2:TRAP_HANDLER: 0
; COMPUTE_PGM_RSRC2:TGID_X_EN: 1
; COMPUTE_PGM_RSRC2:TGID_Y_EN: 0
; COMPUTE_PGM_RSRC2:TGID_Z_EN: 0
; COMPUTE_PGM_RSRC2:TIDIG_COMP_CNT: 0
	.section	.text._ZN7rocprim17ROCPRIM_400000_NS6detail17trampoline_kernelINS0_14default_configENS1_25partition_config_selectorILNS1_17partition_subalgoE8EiNS0_10empty_typeEbEEZZNS1_14partition_implILS5_8ELb0ES3_jPKiPS6_PKS6_NS0_5tupleIJPiS6_EEENSE_IJSB_SB_EEENS0_18inequality_wrapperIN6hipcub16HIPCUB_304000_NS8EqualityEEEPlJS6_EEE10hipError_tPvRmT3_T4_T5_T6_T7_T9_mT8_P12ihipStream_tbDpT10_ENKUlT_T0_E_clISt17integral_constantIbLb0EES16_IbLb1EEEEDaS12_S13_EUlS12_E_NS1_11comp_targetILNS1_3genE5ELNS1_11target_archE942ELNS1_3gpuE9ELNS1_3repE0EEENS1_30default_config_static_selectorELNS0_4arch9wavefront6targetE0EEEvT1_,"axG",@progbits,_ZN7rocprim17ROCPRIM_400000_NS6detail17trampoline_kernelINS0_14default_configENS1_25partition_config_selectorILNS1_17partition_subalgoE8EiNS0_10empty_typeEbEEZZNS1_14partition_implILS5_8ELb0ES3_jPKiPS6_PKS6_NS0_5tupleIJPiS6_EEENSE_IJSB_SB_EEENS0_18inequality_wrapperIN6hipcub16HIPCUB_304000_NS8EqualityEEEPlJS6_EEE10hipError_tPvRmT3_T4_T5_T6_T7_T9_mT8_P12ihipStream_tbDpT10_ENKUlT_T0_E_clISt17integral_constantIbLb0EES16_IbLb1EEEEDaS12_S13_EUlS12_E_NS1_11comp_targetILNS1_3genE5ELNS1_11target_archE942ELNS1_3gpuE9ELNS1_3repE0EEENS1_30default_config_static_selectorELNS0_4arch9wavefront6targetE0EEEvT1_,comdat
	.protected	_ZN7rocprim17ROCPRIM_400000_NS6detail17trampoline_kernelINS0_14default_configENS1_25partition_config_selectorILNS1_17partition_subalgoE8EiNS0_10empty_typeEbEEZZNS1_14partition_implILS5_8ELb0ES3_jPKiPS6_PKS6_NS0_5tupleIJPiS6_EEENSE_IJSB_SB_EEENS0_18inequality_wrapperIN6hipcub16HIPCUB_304000_NS8EqualityEEEPlJS6_EEE10hipError_tPvRmT3_T4_T5_T6_T7_T9_mT8_P12ihipStream_tbDpT10_ENKUlT_T0_E_clISt17integral_constantIbLb0EES16_IbLb1EEEEDaS12_S13_EUlS12_E_NS1_11comp_targetILNS1_3genE5ELNS1_11target_archE942ELNS1_3gpuE9ELNS1_3repE0EEENS1_30default_config_static_selectorELNS0_4arch9wavefront6targetE0EEEvT1_ ; -- Begin function _ZN7rocprim17ROCPRIM_400000_NS6detail17trampoline_kernelINS0_14default_configENS1_25partition_config_selectorILNS1_17partition_subalgoE8EiNS0_10empty_typeEbEEZZNS1_14partition_implILS5_8ELb0ES3_jPKiPS6_PKS6_NS0_5tupleIJPiS6_EEENSE_IJSB_SB_EEENS0_18inequality_wrapperIN6hipcub16HIPCUB_304000_NS8EqualityEEEPlJS6_EEE10hipError_tPvRmT3_T4_T5_T6_T7_T9_mT8_P12ihipStream_tbDpT10_ENKUlT_T0_E_clISt17integral_constantIbLb0EES16_IbLb1EEEEDaS12_S13_EUlS12_E_NS1_11comp_targetILNS1_3genE5ELNS1_11target_archE942ELNS1_3gpuE9ELNS1_3repE0EEENS1_30default_config_static_selectorELNS0_4arch9wavefront6targetE0EEEvT1_
	.globl	_ZN7rocprim17ROCPRIM_400000_NS6detail17trampoline_kernelINS0_14default_configENS1_25partition_config_selectorILNS1_17partition_subalgoE8EiNS0_10empty_typeEbEEZZNS1_14partition_implILS5_8ELb0ES3_jPKiPS6_PKS6_NS0_5tupleIJPiS6_EEENSE_IJSB_SB_EEENS0_18inequality_wrapperIN6hipcub16HIPCUB_304000_NS8EqualityEEEPlJS6_EEE10hipError_tPvRmT3_T4_T5_T6_T7_T9_mT8_P12ihipStream_tbDpT10_ENKUlT_T0_E_clISt17integral_constantIbLb0EES16_IbLb1EEEEDaS12_S13_EUlS12_E_NS1_11comp_targetILNS1_3genE5ELNS1_11target_archE942ELNS1_3gpuE9ELNS1_3repE0EEENS1_30default_config_static_selectorELNS0_4arch9wavefront6targetE0EEEvT1_
	.p2align	8
	.type	_ZN7rocprim17ROCPRIM_400000_NS6detail17trampoline_kernelINS0_14default_configENS1_25partition_config_selectorILNS1_17partition_subalgoE8EiNS0_10empty_typeEbEEZZNS1_14partition_implILS5_8ELb0ES3_jPKiPS6_PKS6_NS0_5tupleIJPiS6_EEENSE_IJSB_SB_EEENS0_18inequality_wrapperIN6hipcub16HIPCUB_304000_NS8EqualityEEEPlJS6_EEE10hipError_tPvRmT3_T4_T5_T6_T7_T9_mT8_P12ihipStream_tbDpT10_ENKUlT_T0_E_clISt17integral_constantIbLb0EES16_IbLb1EEEEDaS12_S13_EUlS12_E_NS1_11comp_targetILNS1_3genE5ELNS1_11target_archE942ELNS1_3gpuE9ELNS1_3repE0EEENS1_30default_config_static_selectorELNS0_4arch9wavefront6targetE0EEEvT1_,@function
_ZN7rocprim17ROCPRIM_400000_NS6detail17trampoline_kernelINS0_14default_configENS1_25partition_config_selectorILNS1_17partition_subalgoE8EiNS0_10empty_typeEbEEZZNS1_14partition_implILS5_8ELb0ES3_jPKiPS6_PKS6_NS0_5tupleIJPiS6_EEENSE_IJSB_SB_EEENS0_18inequality_wrapperIN6hipcub16HIPCUB_304000_NS8EqualityEEEPlJS6_EEE10hipError_tPvRmT3_T4_T5_T6_T7_T9_mT8_P12ihipStream_tbDpT10_ENKUlT_T0_E_clISt17integral_constantIbLb0EES16_IbLb1EEEEDaS12_S13_EUlS12_E_NS1_11comp_targetILNS1_3genE5ELNS1_11target_archE942ELNS1_3gpuE9ELNS1_3repE0EEENS1_30default_config_static_selectorELNS0_4arch9wavefront6targetE0EEEvT1_: ; @_ZN7rocprim17ROCPRIM_400000_NS6detail17trampoline_kernelINS0_14default_configENS1_25partition_config_selectorILNS1_17partition_subalgoE8EiNS0_10empty_typeEbEEZZNS1_14partition_implILS5_8ELb0ES3_jPKiPS6_PKS6_NS0_5tupleIJPiS6_EEENSE_IJSB_SB_EEENS0_18inequality_wrapperIN6hipcub16HIPCUB_304000_NS8EqualityEEEPlJS6_EEE10hipError_tPvRmT3_T4_T5_T6_T7_T9_mT8_P12ihipStream_tbDpT10_ENKUlT_T0_E_clISt17integral_constantIbLb0EES16_IbLb1EEEEDaS12_S13_EUlS12_E_NS1_11comp_targetILNS1_3genE5ELNS1_11target_archE942ELNS1_3gpuE9ELNS1_3repE0EEENS1_30default_config_static_selectorELNS0_4arch9wavefront6targetE0EEEvT1_
; %bb.0:
	.section	.rodata,"a",@progbits
	.p2align	6, 0x0
	.amdhsa_kernel _ZN7rocprim17ROCPRIM_400000_NS6detail17trampoline_kernelINS0_14default_configENS1_25partition_config_selectorILNS1_17partition_subalgoE8EiNS0_10empty_typeEbEEZZNS1_14partition_implILS5_8ELb0ES3_jPKiPS6_PKS6_NS0_5tupleIJPiS6_EEENSE_IJSB_SB_EEENS0_18inequality_wrapperIN6hipcub16HIPCUB_304000_NS8EqualityEEEPlJS6_EEE10hipError_tPvRmT3_T4_T5_T6_T7_T9_mT8_P12ihipStream_tbDpT10_ENKUlT_T0_E_clISt17integral_constantIbLb0EES16_IbLb1EEEEDaS12_S13_EUlS12_E_NS1_11comp_targetILNS1_3genE5ELNS1_11target_archE942ELNS1_3gpuE9ELNS1_3repE0EEENS1_30default_config_static_selectorELNS0_4arch9wavefront6targetE0EEEvT1_
		.amdhsa_group_segment_fixed_size 0
		.amdhsa_private_segment_fixed_size 0
		.amdhsa_kernarg_size 128
		.amdhsa_user_sgpr_count 6
		.amdhsa_user_sgpr_private_segment_buffer 1
		.amdhsa_user_sgpr_dispatch_ptr 0
		.amdhsa_user_sgpr_queue_ptr 0
		.amdhsa_user_sgpr_kernarg_segment_ptr 1
		.amdhsa_user_sgpr_dispatch_id 0
		.amdhsa_user_sgpr_flat_scratch_init 0
		.amdhsa_user_sgpr_private_segment_size 0
		.amdhsa_wavefront_size32 1
		.amdhsa_uses_dynamic_stack 0
		.amdhsa_system_sgpr_private_segment_wavefront_offset 0
		.amdhsa_system_sgpr_workgroup_id_x 1
		.amdhsa_system_sgpr_workgroup_id_y 0
		.amdhsa_system_sgpr_workgroup_id_z 0
		.amdhsa_system_sgpr_workgroup_info 0
		.amdhsa_system_vgpr_workitem_id 0
		.amdhsa_next_free_vgpr 1
		.amdhsa_next_free_sgpr 1
		.amdhsa_reserve_vcc 0
		.amdhsa_reserve_flat_scratch 0
		.amdhsa_float_round_mode_32 0
		.amdhsa_float_round_mode_16_64 0
		.amdhsa_float_denorm_mode_32 3
		.amdhsa_float_denorm_mode_16_64 3
		.amdhsa_dx10_clamp 1
		.amdhsa_ieee_mode 1
		.amdhsa_fp16_overflow 0
		.amdhsa_workgroup_processor_mode 1
		.amdhsa_memory_ordered 1
		.amdhsa_forward_progress 1
		.amdhsa_shared_vgpr_count 0
		.amdhsa_exception_fp_ieee_invalid_op 0
		.amdhsa_exception_fp_denorm_src 0
		.amdhsa_exception_fp_ieee_div_zero 0
		.amdhsa_exception_fp_ieee_overflow 0
		.amdhsa_exception_fp_ieee_underflow 0
		.amdhsa_exception_fp_ieee_inexact 0
		.amdhsa_exception_int_div_zero 0
	.end_amdhsa_kernel
	.section	.text._ZN7rocprim17ROCPRIM_400000_NS6detail17trampoline_kernelINS0_14default_configENS1_25partition_config_selectorILNS1_17partition_subalgoE8EiNS0_10empty_typeEbEEZZNS1_14partition_implILS5_8ELb0ES3_jPKiPS6_PKS6_NS0_5tupleIJPiS6_EEENSE_IJSB_SB_EEENS0_18inequality_wrapperIN6hipcub16HIPCUB_304000_NS8EqualityEEEPlJS6_EEE10hipError_tPvRmT3_T4_T5_T6_T7_T9_mT8_P12ihipStream_tbDpT10_ENKUlT_T0_E_clISt17integral_constantIbLb0EES16_IbLb1EEEEDaS12_S13_EUlS12_E_NS1_11comp_targetILNS1_3genE5ELNS1_11target_archE942ELNS1_3gpuE9ELNS1_3repE0EEENS1_30default_config_static_selectorELNS0_4arch9wavefront6targetE0EEEvT1_,"axG",@progbits,_ZN7rocprim17ROCPRIM_400000_NS6detail17trampoline_kernelINS0_14default_configENS1_25partition_config_selectorILNS1_17partition_subalgoE8EiNS0_10empty_typeEbEEZZNS1_14partition_implILS5_8ELb0ES3_jPKiPS6_PKS6_NS0_5tupleIJPiS6_EEENSE_IJSB_SB_EEENS0_18inequality_wrapperIN6hipcub16HIPCUB_304000_NS8EqualityEEEPlJS6_EEE10hipError_tPvRmT3_T4_T5_T6_T7_T9_mT8_P12ihipStream_tbDpT10_ENKUlT_T0_E_clISt17integral_constantIbLb0EES16_IbLb1EEEEDaS12_S13_EUlS12_E_NS1_11comp_targetILNS1_3genE5ELNS1_11target_archE942ELNS1_3gpuE9ELNS1_3repE0EEENS1_30default_config_static_selectorELNS0_4arch9wavefront6targetE0EEEvT1_,comdat
.Lfunc_end214:
	.size	_ZN7rocprim17ROCPRIM_400000_NS6detail17trampoline_kernelINS0_14default_configENS1_25partition_config_selectorILNS1_17partition_subalgoE8EiNS0_10empty_typeEbEEZZNS1_14partition_implILS5_8ELb0ES3_jPKiPS6_PKS6_NS0_5tupleIJPiS6_EEENSE_IJSB_SB_EEENS0_18inequality_wrapperIN6hipcub16HIPCUB_304000_NS8EqualityEEEPlJS6_EEE10hipError_tPvRmT3_T4_T5_T6_T7_T9_mT8_P12ihipStream_tbDpT10_ENKUlT_T0_E_clISt17integral_constantIbLb0EES16_IbLb1EEEEDaS12_S13_EUlS12_E_NS1_11comp_targetILNS1_3genE5ELNS1_11target_archE942ELNS1_3gpuE9ELNS1_3repE0EEENS1_30default_config_static_selectorELNS0_4arch9wavefront6targetE0EEEvT1_, .Lfunc_end214-_ZN7rocprim17ROCPRIM_400000_NS6detail17trampoline_kernelINS0_14default_configENS1_25partition_config_selectorILNS1_17partition_subalgoE8EiNS0_10empty_typeEbEEZZNS1_14partition_implILS5_8ELb0ES3_jPKiPS6_PKS6_NS0_5tupleIJPiS6_EEENSE_IJSB_SB_EEENS0_18inequality_wrapperIN6hipcub16HIPCUB_304000_NS8EqualityEEEPlJS6_EEE10hipError_tPvRmT3_T4_T5_T6_T7_T9_mT8_P12ihipStream_tbDpT10_ENKUlT_T0_E_clISt17integral_constantIbLb0EES16_IbLb1EEEEDaS12_S13_EUlS12_E_NS1_11comp_targetILNS1_3genE5ELNS1_11target_archE942ELNS1_3gpuE9ELNS1_3repE0EEENS1_30default_config_static_selectorELNS0_4arch9wavefront6targetE0EEEvT1_
                                        ; -- End function
	.set _ZN7rocprim17ROCPRIM_400000_NS6detail17trampoline_kernelINS0_14default_configENS1_25partition_config_selectorILNS1_17partition_subalgoE8EiNS0_10empty_typeEbEEZZNS1_14partition_implILS5_8ELb0ES3_jPKiPS6_PKS6_NS0_5tupleIJPiS6_EEENSE_IJSB_SB_EEENS0_18inequality_wrapperIN6hipcub16HIPCUB_304000_NS8EqualityEEEPlJS6_EEE10hipError_tPvRmT3_T4_T5_T6_T7_T9_mT8_P12ihipStream_tbDpT10_ENKUlT_T0_E_clISt17integral_constantIbLb0EES16_IbLb1EEEEDaS12_S13_EUlS12_E_NS1_11comp_targetILNS1_3genE5ELNS1_11target_archE942ELNS1_3gpuE9ELNS1_3repE0EEENS1_30default_config_static_selectorELNS0_4arch9wavefront6targetE0EEEvT1_.num_vgpr, 0
	.set _ZN7rocprim17ROCPRIM_400000_NS6detail17trampoline_kernelINS0_14default_configENS1_25partition_config_selectorILNS1_17partition_subalgoE8EiNS0_10empty_typeEbEEZZNS1_14partition_implILS5_8ELb0ES3_jPKiPS6_PKS6_NS0_5tupleIJPiS6_EEENSE_IJSB_SB_EEENS0_18inequality_wrapperIN6hipcub16HIPCUB_304000_NS8EqualityEEEPlJS6_EEE10hipError_tPvRmT3_T4_T5_T6_T7_T9_mT8_P12ihipStream_tbDpT10_ENKUlT_T0_E_clISt17integral_constantIbLb0EES16_IbLb1EEEEDaS12_S13_EUlS12_E_NS1_11comp_targetILNS1_3genE5ELNS1_11target_archE942ELNS1_3gpuE9ELNS1_3repE0EEENS1_30default_config_static_selectorELNS0_4arch9wavefront6targetE0EEEvT1_.num_agpr, 0
	.set _ZN7rocprim17ROCPRIM_400000_NS6detail17trampoline_kernelINS0_14default_configENS1_25partition_config_selectorILNS1_17partition_subalgoE8EiNS0_10empty_typeEbEEZZNS1_14partition_implILS5_8ELb0ES3_jPKiPS6_PKS6_NS0_5tupleIJPiS6_EEENSE_IJSB_SB_EEENS0_18inequality_wrapperIN6hipcub16HIPCUB_304000_NS8EqualityEEEPlJS6_EEE10hipError_tPvRmT3_T4_T5_T6_T7_T9_mT8_P12ihipStream_tbDpT10_ENKUlT_T0_E_clISt17integral_constantIbLb0EES16_IbLb1EEEEDaS12_S13_EUlS12_E_NS1_11comp_targetILNS1_3genE5ELNS1_11target_archE942ELNS1_3gpuE9ELNS1_3repE0EEENS1_30default_config_static_selectorELNS0_4arch9wavefront6targetE0EEEvT1_.numbered_sgpr, 0
	.set _ZN7rocprim17ROCPRIM_400000_NS6detail17trampoline_kernelINS0_14default_configENS1_25partition_config_selectorILNS1_17partition_subalgoE8EiNS0_10empty_typeEbEEZZNS1_14partition_implILS5_8ELb0ES3_jPKiPS6_PKS6_NS0_5tupleIJPiS6_EEENSE_IJSB_SB_EEENS0_18inequality_wrapperIN6hipcub16HIPCUB_304000_NS8EqualityEEEPlJS6_EEE10hipError_tPvRmT3_T4_T5_T6_T7_T9_mT8_P12ihipStream_tbDpT10_ENKUlT_T0_E_clISt17integral_constantIbLb0EES16_IbLb1EEEEDaS12_S13_EUlS12_E_NS1_11comp_targetILNS1_3genE5ELNS1_11target_archE942ELNS1_3gpuE9ELNS1_3repE0EEENS1_30default_config_static_selectorELNS0_4arch9wavefront6targetE0EEEvT1_.num_named_barrier, 0
	.set _ZN7rocprim17ROCPRIM_400000_NS6detail17trampoline_kernelINS0_14default_configENS1_25partition_config_selectorILNS1_17partition_subalgoE8EiNS0_10empty_typeEbEEZZNS1_14partition_implILS5_8ELb0ES3_jPKiPS6_PKS6_NS0_5tupleIJPiS6_EEENSE_IJSB_SB_EEENS0_18inequality_wrapperIN6hipcub16HIPCUB_304000_NS8EqualityEEEPlJS6_EEE10hipError_tPvRmT3_T4_T5_T6_T7_T9_mT8_P12ihipStream_tbDpT10_ENKUlT_T0_E_clISt17integral_constantIbLb0EES16_IbLb1EEEEDaS12_S13_EUlS12_E_NS1_11comp_targetILNS1_3genE5ELNS1_11target_archE942ELNS1_3gpuE9ELNS1_3repE0EEENS1_30default_config_static_selectorELNS0_4arch9wavefront6targetE0EEEvT1_.private_seg_size, 0
	.set _ZN7rocprim17ROCPRIM_400000_NS6detail17trampoline_kernelINS0_14default_configENS1_25partition_config_selectorILNS1_17partition_subalgoE8EiNS0_10empty_typeEbEEZZNS1_14partition_implILS5_8ELb0ES3_jPKiPS6_PKS6_NS0_5tupleIJPiS6_EEENSE_IJSB_SB_EEENS0_18inequality_wrapperIN6hipcub16HIPCUB_304000_NS8EqualityEEEPlJS6_EEE10hipError_tPvRmT3_T4_T5_T6_T7_T9_mT8_P12ihipStream_tbDpT10_ENKUlT_T0_E_clISt17integral_constantIbLb0EES16_IbLb1EEEEDaS12_S13_EUlS12_E_NS1_11comp_targetILNS1_3genE5ELNS1_11target_archE942ELNS1_3gpuE9ELNS1_3repE0EEENS1_30default_config_static_selectorELNS0_4arch9wavefront6targetE0EEEvT1_.uses_vcc, 0
	.set _ZN7rocprim17ROCPRIM_400000_NS6detail17trampoline_kernelINS0_14default_configENS1_25partition_config_selectorILNS1_17partition_subalgoE8EiNS0_10empty_typeEbEEZZNS1_14partition_implILS5_8ELb0ES3_jPKiPS6_PKS6_NS0_5tupleIJPiS6_EEENSE_IJSB_SB_EEENS0_18inequality_wrapperIN6hipcub16HIPCUB_304000_NS8EqualityEEEPlJS6_EEE10hipError_tPvRmT3_T4_T5_T6_T7_T9_mT8_P12ihipStream_tbDpT10_ENKUlT_T0_E_clISt17integral_constantIbLb0EES16_IbLb1EEEEDaS12_S13_EUlS12_E_NS1_11comp_targetILNS1_3genE5ELNS1_11target_archE942ELNS1_3gpuE9ELNS1_3repE0EEENS1_30default_config_static_selectorELNS0_4arch9wavefront6targetE0EEEvT1_.uses_flat_scratch, 0
	.set _ZN7rocprim17ROCPRIM_400000_NS6detail17trampoline_kernelINS0_14default_configENS1_25partition_config_selectorILNS1_17partition_subalgoE8EiNS0_10empty_typeEbEEZZNS1_14partition_implILS5_8ELb0ES3_jPKiPS6_PKS6_NS0_5tupleIJPiS6_EEENSE_IJSB_SB_EEENS0_18inequality_wrapperIN6hipcub16HIPCUB_304000_NS8EqualityEEEPlJS6_EEE10hipError_tPvRmT3_T4_T5_T6_T7_T9_mT8_P12ihipStream_tbDpT10_ENKUlT_T0_E_clISt17integral_constantIbLb0EES16_IbLb1EEEEDaS12_S13_EUlS12_E_NS1_11comp_targetILNS1_3genE5ELNS1_11target_archE942ELNS1_3gpuE9ELNS1_3repE0EEENS1_30default_config_static_selectorELNS0_4arch9wavefront6targetE0EEEvT1_.has_dyn_sized_stack, 0
	.set _ZN7rocprim17ROCPRIM_400000_NS6detail17trampoline_kernelINS0_14default_configENS1_25partition_config_selectorILNS1_17partition_subalgoE8EiNS0_10empty_typeEbEEZZNS1_14partition_implILS5_8ELb0ES3_jPKiPS6_PKS6_NS0_5tupleIJPiS6_EEENSE_IJSB_SB_EEENS0_18inequality_wrapperIN6hipcub16HIPCUB_304000_NS8EqualityEEEPlJS6_EEE10hipError_tPvRmT3_T4_T5_T6_T7_T9_mT8_P12ihipStream_tbDpT10_ENKUlT_T0_E_clISt17integral_constantIbLb0EES16_IbLb1EEEEDaS12_S13_EUlS12_E_NS1_11comp_targetILNS1_3genE5ELNS1_11target_archE942ELNS1_3gpuE9ELNS1_3repE0EEENS1_30default_config_static_selectorELNS0_4arch9wavefront6targetE0EEEvT1_.has_recursion, 0
	.set _ZN7rocprim17ROCPRIM_400000_NS6detail17trampoline_kernelINS0_14default_configENS1_25partition_config_selectorILNS1_17partition_subalgoE8EiNS0_10empty_typeEbEEZZNS1_14partition_implILS5_8ELb0ES3_jPKiPS6_PKS6_NS0_5tupleIJPiS6_EEENSE_IJSB_SB_EEENS0_18inequality_wrapperIN6hipcub16HIPCUB_304000_NS8EqualityEEEPlJS6_EEE10hipError_tPvRmT3_T4_T5_T6_T7_T9_mT8_P12ihipStream_tbDpT10_ENKUlT_T0_E_clISt17integral_constantIbLb0EES16_IbLb1EEEEDaS12_S13_EUlS12_E_NS1_11comp_targetILNS1_3genE5ELNS1_11target_archE942ELNS1_3gpuE9ELNS1_3repE0EEENS1_30default_config_static_selectorELNS0_4arch9wavefront6targetE0EEEvT1_.has_indirect_call, 0
	.section	.AMDGPU.csdata,"",@progbits
; Kernel info:
; codeLenInByte = 0
; TotalNumSgprs: 0
; NumVgprs: 0
; ScratchSize: 0
; MemoryBound: 0
; FloatMode: 240
; IeeeMode: 1
; LDSByteSize: 0 bytes/workgroup (compile time only)
; SGPRBlocks: 0
; VGPRBlocks: 0
; NumSGPRsForWavesPerEU: 1
; NumVGPRsForWavesPerEU: 1
; Occupancy: 16
; WaveLimiterHint : 0
; COMPUTE_PGM_RSRC2:SCRATCH_EN: 0
; COMPUTE_PGM_RSRC2:USER_SGPR: 6
; COMPUTE_PGM_RSRC2:TRAP_HANDLER: 0
; COMPUTE_PGM_RSRC2:TGID_X_EN: 1
; COMPUTE_PGM_RSRC2:TGID_Y_EN: 0
; COMPUTE_PGM_RSRC2:TGID_Z_EN: 0
; COMPUTE_PGM_RSRC2:TIDIG_COMP_CNT: 0
	.section	.text._ZN7rocprim17ROCPRIM_400000_NS6detail17trampoline_kernelINS0_14default_configENS1_25partition_config_selectorILNS1_17partition_subalgoE8EiNS0_10empty_typeEbEEZZNS1_14partition_implILS5_8ELb0ES3_jPKiPS6_PKS6_NS0_5tupleIJPiS6_EEENSE_IJSB_SB_EEENS0_18inequality_wrapperIN6hipcub16HIPCUB_304000_NS8EqualityEEEPlJS6_EEE10hipError_tPvRmT3_T4_T5_T6_T7_T9_mT8_P12ihipStream_tbDpT10_ENKUlT_T0_E_clISt17integral_constantIbLb0EES16_IbLb1EEEEDaS12_S13_EUlS12_E_NS1_11comp_targetILNS1_3genE4ELNS1_11target_archE910ELNS1_3gpuE8ELNS1_3repE0EEENS1_30default_config_static_selectorELNS0_4arch9wavefront6targetE0EEEvT1_,"axG",@progbits,_ZN7rocprim17ROCPRIM_400000_NS6detail17trampoline_kernelINS0_14default_configENS1_25partition_config_selectorILNS1_17partition_subalgoE8EiNS0_10empty_typeEbEEZZNS1_14partition_implILS5_8ELb0ES3_jPKiPS6_PKS6_NS0_5tupleIJPiS6_EEENSE_IJSB_SB_EEENS0_18inequality_wrapperIN6hipcub16HIPCUB_304000_NS8EqualityEEEPlJS6_EEE10hipError_tPvRmT3_T4_T5_T6_T7_T9_mT8_P12ihipStream_tbDpT10_ENKUlT_T0_E_clISt17integral_constantIbLb0EES16_IbLb1EEEEDaS12_S13_EUlS12_E_NS1_11comp_targetILNS1_3genE4ELNS1_11target_archE910ELNS1_3gpuE8ELNS1_3repE0EEENS1_30default_config_static_selectorELNS0_4arch9wavefront6targetE0EEEvT1_,comdat
	.protected	_ZN7rocprim17ROCPRIM_400000_NS6detail17trampoline_kernelINS0_14default_configENS1_25partition_config_selectorILNS1_17partition_subalgoE8EiNS0_10empty_typeEbEEZZNS1_14partition_implILS5_8ELb0ES3_jPKiPS6_PKS6_NS0_5tupleIJPiS6_EEENSE_IJSB_SB_EEENS0_18inequality_wrapperIN6hipcub16HIPCUB_304000_NS8EqualityEEEPlJS6_EEE10hipError_tPvRmT3_T4_T5_T6_T7_T9_mT8_P12ihipStream_tbDpT10_ENKUlT_T0_E_clISt17integral_constantIbLb0EES16_IbLb1EEEEDaS12_S13_EUlS12_E_NS1_11comp_targetILNS1_3genE4ELNS1_11target_archE910ELNS1_3gpuE8ELNS1_3repE0EEENS1_30default_config_static_selectorELNS0_4arch9wavefront6targetE0EEEvT1_ ; -- Begin function _ZN7rocprim17ROCPRIM_400000_NS6detail17trampoline_kernelINS0_14default_configENS1_25partition_config_selectorILNS1_17partition_subalgoE8EiNS0_10empty_typeEbEEZZNS1_14partition_implILS5_8ELb0ES3_jPKiPS6_PKS6_NS0_5tupleIJPiS6_EEENSE_IJSB_SB_EEENS0_18inequality_wrapperIN6hipcub16HIPCUB_304000_NS8EqualityEEEPlJS6_EEE10hipError_tPvRmT3_T4_T5_T6_T7_T9_mT8_P12ihipStream_tbDpT10_ENKUlT_T0_E_clISt17integral_constantIbLb0EES16_IbLb1EEEEDaS12_S13_EUlS12_E_NS1_11comp_targetILNS1_3genE4ELNS1_11target_archE910ELNS1_3gpuE8ELNS1_3repE0EEENS1_30default_config_static_selectorELNS0_4arch9wavefront6targetE0EEEvT1_
	.globl	_ZN7rocprim17ROCPRIM_400000_NS6detail17trampoline_kernelINS0_14default_configENS1_25partition_config_selectorILNS1_17partition_subalgoE8EiNS0_10empty_typeEbEEZZNS1_14partition_implILS5_8ELb0ES3_jPKiPS6_PKS6_NS0_5tupleIJPiS6_EEENSE_IJSB_SB_EEENS0_18inequality_wrapperIN6hipcub16HIPCUB_304000_NS8EqualityEEEPlJS6_EEE10hipError_tPvRmT3_T4_T5_T6_T7_T9_mT8_P12ihipStream_tbDpT10_ENKUlT_T0_E_clISt17integral_constantIbLb0EES16_IbLb1EEEEDaS12_S13_EUlS12_E_NS1_11comp_targetILNS1_3genE4ELNS1_11target_archE910ELNS1_3gpuE8ELNS1_3repE0EEENS1_30default_config_static_selectorELNS0_4arch9wavefront6targetE0EEEvT1_
	.p2align	8
	.type	_ZN7rocprim17ROCPRIM_400000_NS6detail17trampoline_kernelINS0_14default_configENS1_25partition_config_selectorILNS1_17partition_subalgoE8EiNS0_10empty_typeEbEEZZNS1_14partition_implILS5_8ELb0ES3_jPKiPS6_PKS6_NS0_5tupleIJPiS6_EEENSE_IJSB_SB_EEENS0_18inequality_wrapperIN6hipcub16HIPCUB_304000_NS8EqualityEEEPlJS6_EEE10hipError_tPvRmT3_T4_T5_T6_T7_T9_mT8_P12ihipStream_tbDpT10_ENKUlT_T0_E_clISt17integral_constantIbLb0EES16_IbLb1EEEEDaS12_S13_EUlS12_E_NS1_11comp_targetILNS1_3genE4ELNS1_11target_archE910ELNS1_3gpuE8ELNS1_3repE0EEENS1_30default_config_static_selectorELNS0_4arch9wavefront6targetE0EEEvT1_,@function
_ZN7rocprim17ROCPRIM_400000_NS6detail17trampoline_kernelINS0_14default_configENS1_25partition_config_selectorILNS1_17partition_subalgoE8EiNS0_10empty_typeEbEEZZNS1_14partition_implILS5_8ELb0ES3_jPKiPS6_PKS6_NS0_5tupleIJPiS6_EEENSE_IJSB_SB_EEENS0_18inequality_wrapperIN6hipcub16HIPCUB_304000_NS8EqualityEEEPlJS6_EEE10hipError_tPvRmT3_T4_T5_T6_T7_T9_mT8_P12ihipStream_tbDpT10_ENKUlT_T0_E_clISt17integral_constantIbLb0EES16_IbLb1EEEEDaS12_S13_EUlS12_E_NS1_11comp_targetILNS1_3genE4ELNS1_11target_archE910ELNS1_3gpuE8ELNS1_3repE0EEENS1_30default_config_static_selectorELNS0_4arch9wavefront6targetE0EEEvT1_: ; @_ZN7rocprim17ROCPRIM_400000_NS6detail17trampoline_kernelINS0_14default_configENS1_25partition_config_selectorILNS1_17partition_subalgoE8EiNS0_10empty_typeEbEEZZNS1_14partition_implILS5_8ELb0ES3_jPKiPS6_PKS6_NS0_5tupleIJPiS6_EEENSE_IJSB_SB_EEENS0_18inequality_wrapperIN6hipcub16HIPCUB_304000_NS8EqualityEEEPlJS6_EEE10hipError_tPvRmT3_T4_T5_T6_T7_T9_mT8_P12ihipStream_tbDpT10_ENKUlT_T0_E_clISt17integral_constantIbLb0EES16_IbLb1EEEEDaS12_S13_EUlS12_E_NS1_11comp_targetILNS1_3genE4ELNS1_11target_archE910ELNS1_3gpuE8ELNS1_3repE0EEENS1_30default_config_static_selectorELNS0_4arch9wavefront6targetE0EEEvT1_
; %bb.0:
	.section	.rodata,"a",@progbits
	.p2align	6, 0x0
	.amdhsa_kernel _ZN7rocprim17ROCPRIM_400000_NS6detail17trampoline_kernelINS0_14default_configENS1_25partition_config_selectorILNS1_17partition_subalgoE8EiNS0_10empty_typeEbEEZZNS1_14partition_implILS5_8ELb0ES3_jPKiPS6_PKS6_NS0_5tupleIJPiS6_EEENSE_IJSB_SB_EEENS0_18inequality_wrapperIN6hipcub16HIPCUB_304000_NS8EqualityEEEPlJS6_EEE10hipError_tPvRmT3_T4_T5_T6_T7_T9_mT8_P12ihipStream_tbDpT10_ENKUlT_T0_E_clISt17integral_constantIbLb0EES16_IbLb1EEEEDaS12_S13_EUlS12_E_NS1_11comp_targetILNS1_3genE4ELNS1_11target_archE910ELNS1_3gpuE8ELNS1_3repE0EEENS1_30default_config_static_selectorELNS0_4arch9wavefront6targetE0EEEvT1_
		.amdhsa_group_segment_fixed_size 0
		.amdhsa_private_segment_fixed_size 0
		.amdhsa_kernarg_size 128
		.amdhsa_user_sgpr_count 6
		.amdhsa_user_sgpr_private_segment_buffer 1
		.amdhsa_user_sgpr_dispatch_ptr 0
		.amdhsa_user_sgpr_queue_ptr 0
		.amdhsa_user_sgpr_kernarg_segment_ptr 1
		.amdhsa_user_sgpr_dispatch_id 0
		.amdhsa_user_sgpr_flat_scratch_init 0
		.amdhsa_user_sgpr_private_segment_size 0
		.amdhsa_wavefront_size32 1
		.amdhsa_uses_dynamic_stack 0
		.amdhsa_system_sgpr_private_segment_wavefront_offset 0
		.amdhsa_system_sgpr_workgroup_id_x 1
		.amdhsa_system_sgpr_workgroup_id_y 0
		.amdhsa_system_sgpr_workgroup_id_z 0
		.amdhsa_system_sgpr_workgroup_info 0
		.amdhsa_system_vgpr_workitem_id 0
		.amdhsa_next_free_vgpr 1
		.amdhsa_next_free_sgpr 1
		.amdhsa_reserve_vcc 0
		.amdhsa_reserve_flat_scratch 0
		.amdhsa_float_round_mode_32 0
		.amdhsa_float_round_mode_16_64 0
		.amdhsa_float_denorm_mode_32 3
		.amdhsa_float_denorm_mode_16_64 3
		.amdhsa_dx10_clamp 1
		.amdhsa_ieee_mode 1
		.amdhsa_fp16_overflow 0
		.amdhsa_workgroup_processor_mode 1
		.amdhsa_memory_ordered 1
		.amdhsa_forward_progress 1
		.amdhsa_shared_vgpr_count 0
		.amdhsa_exception_fp_ieee_invalid_op 0
		.amdhsa_exception_fp_denorm_src 0
		.amdhsa_exception_fp_ieee_div_zero 0
		.amdhsa_exception_fp_ieee_overflow 0
		.amdhsa_exception_fp_ieee_underflow 0
		.amdhsa_exception_fp_ieee_inexact 0
		.amdhsa_exception_int_div_zero 0
	.end_amdhsa_kernel
	.section	.text._ZN7rocprim17ROCPRIM_400000_NS6detail17trampoline_kernelINS0_14default_configENS1_25partition_config_selectorILNS1_17partition_subalgoE8EiNS0_10empty_typeEbEEZZNS1_14partition_implILS5_8ELb0ES3_jPKiPS6_PKS6_NS0_5tupleIJPiS6_EEENSE_IJSB_SB_EEENS0_18inequality_wrapperIN6hipcub16HIPCUB_304000_NS8EqualityEEEPlJS6_EEE10hipError_tPvRmT3_T4_T5_T6_T7_T9_mT8_P12ihipStream_tbDpT10_ENKUlT_T0_E_clISt17integral_constantIbLb0EES16_IbLb1EEEEDaS12_S13_EUlS12_E_NS1_11comp_targetILNS1_3genE4ELNS1_11target_archE910ELNS1_3gpuE8ELNS1_3repE0EEENS1_30default_config_static_selectorELNS0_4arch9wavefront6targetE0EEEvT1_,"axG",@progbits,_ZN7rocprim17ROCPRIM_400000_NS6detail17trampoline_kernelINS0_14default_configENS1_25partition_config_selectorILNS1_17partition_subalgoE8EiNS0_10empty_typeEbEEZZNS1_14partition_implILS5_8ELb0ES3_jPKiPS6_PKS6_NS0_5tupleIJPiS6_EEENSE_IJSB_SB_EEENS0_18inequality_wrapperIN6hipcub16HIPCUB_304000_NS8EqualityEEEPlJS6_EEE10hipError_tPvRmT3_T4_T5_T6_T7_T9_mT8_P12ihipStream_tbDpT10_ENKUlT_T0_E_clISt17integral_constantIbLb0EES16_IbLb1EEEEDaS12_S13_EUlS12_E_NS1_11comp_targetILNS1_3genE4ELNS1_11target_archE910ELNS1_3gpuE8ELNS1_3repE0EEENS1_30default_config_static_selectorELNS0_4arch9wavefront6targetE0EEEvT1_,comdat
.Lfunc_end215:
	.size	_ZN7rocprim17ROCPRIM_400000_NS6detail17trampoline_kernelINS0_14default_configENS1_25partition_config_selectorILNS1_17partition_subalgoE8EiNS0_10empty_typeEbEEZZNS1_14partition_implILS5_8ELb0ES3_jPKiPS6_PKS6_NS0_5tupleIJPiS6_EEENSE_IJSB_SB_EEENS0_18inequality_wrapperIN6hipcub16HIPCUB_304000_NS8EqualityEEEPlJS6_EEE10hipError_tPvRmT3_T4_T5_T6_T7_T9_mT8_P12ihipStream_tbDpT10_ENKUlT_T0_E_clISt17integral_constantIbLb0EES16_IbLb1EEEEDaS12_S13_EUlS12_E_NS1_11comp_targetILNS1_3genE4ELNS1_11target_archE910ELNS1_3gpuE8ELNS1_3repE0EEENS1_30default_config_static_selectorELNS0_4arch9wavefront6targetE0EEEvT1_, .Lfunc_end215-_ZN7rocprim17ROCPRIM_400000_NS6detail17trampoline_kernelINS0_14default_configENS1_25partition_config_selectorILNS1_17partition_subalgoE8EiNS0_10empty_typeEbEEZZNS1_14partition_implILS5_8ELb0ES3_jPKiPS6_PKS6_NS0_5tupleIJPiS6_EEENSE_IJSB_SB_EEENS0_18inequality_wrapperIN6hipcub16HIPCUB_304000_NS8EqualityEEEPlJS6_EEE10hipError_tPvRmT3_T4_T5_T6_T7_T9_mT8_P12ihipStream_tbDpT10_ENKUlT_T0_E_clISt17integral_constantIbLb0EES16_IbLb1EEEEDaS12_S13_EUlS12_E_NS1_11comp_targetILNS1_3genE4ELNS1_11target_archE910ELNS1_3gpuE8ELNS1_3repE0EEENS1_30default_config_static_selectorELNS0_4arch9wavefront6targetE0EEEvT1_
                                        ; -- End function
	.set _ZN7rocprim17ROCPRIM_400000_NS6detail17trampoline_kernelINS0_14default_configENS1_25partition_config_selectorILNS1_17partition_subalgoE8EiNS0_10empty_typeEbEEZZNS1_14partition_implILS5_8ELb0ES3_jPKiPS6_PKS6_NS0_5tupleIJPiS6_EEENSE_IJSB_SB_EEENS0_18inequality_wrapperIN6hipcub16HIPCUB_304000_NS8EqualityEEEPlJS6_EEE10hipError_tPvRmT3_T4_T5_T6_T7_T9_mT8_P12ihipStream_tbDpT10_ENKUlT_T0_E_clISt17integral_constantIbLb0EES16_IbLb1EEEEDaS12_S13_EUlS12_E_NS1_11comp_targetILNS1_3genE4ELNS1_11target_archE910ELNS1_3gpuE8ELNS1_3repE0EEENS1_30default_config_static_selectorELNS0_4arch9wavefront6targetE0EEEvT1_.num_vgpr, 0
	.set _ZN7rocprim17ROCPRIM_400000_NS6detail17trampoline_kernelINS0_14default_configENS1_25partition_config_selectorILNS1_17partition_subalgoE8EiNS0_10empty_typeEbEEZZNS1_14partition_implILS5_8ELb0ES3_jPKiPS6_PKS6_NS0_5tupleIJPiS6_EEENSE_IJSB_SB_EEENS0_18inequality_wrapperIN6hipcub16HIPCUB_304000_NS8EqualityEEEPlJS6_EEE10hipError_tPvRmT3_T4_T5_T6_T7_T9_mT8_P12ihipStream_tbDpT10_ENKUlT_T0_E_clISt17integral_constantIbLb0EES16_IbLb1EEEEDaS12_S13_EUlS12_E_NS1_11comp_targetILNS1_3genE4ELNS1_11target_archE910ELNS1_3gpuE8ELNS1_3repE0EEENS1_30default_config_static_selectorELNS0_4arch9wavefront6targetE0EEEvT1_.num_agpr, 0
	.set _ZN7rocprim17ROCPRIM_400000_NS6detail17trampoline_kernelINS0_14default_configENS1_25partition_config_selectorILNS1_17partition_subalgoE8EiNS0_10empty_typeEbEEZZNS1_14partition_implILS5_8ELb0ES3_jPKiPS6_PKS6_NS0_5tupleIJPiS6_EEENSE_IJSB_SB_EEENS0_18inequality_wrapperIN6hipcub16HIPCUB_304000_NS8EqualityEEEPlJS6_EEE10hipError_tPvRmT3_T4_T5_T6_T7_T9_mT8_P12ihipStream_tbDpT10_ENKUlT_T0_E_clISt17integral_constantIbLb0EES16_IbLb1EEEEDaS12_S13_EUlS12_E_NS1_11comp_targetILNS1_3genE4ELNS1_11target_archE910ELNS1_3gpuE8ELNS1_3repE0EEENS1_30default_config_static_selectorELNS0_4arch9wavefront6targetE0EEEvT1_.numbered_sgpr, 0
	.set _ZN7rocprim17ROCPRIM_400000_NS6detail17trampoline_kernelINS0_14default_configENS1_25partition_config_selectorILNS1_17partition_subalgoE8EiNS0_10empty_typeEbEEZZNS1_14partition_implILS5_8ELb0ES3_jPKiPS6_PKS6_NS0_5tupleIJPiS6_EEENSE_IJSB_SB_EEENS0_18inequality_wrapperIN6hipcub16HIPCUB_304000_NS8EqualityEEEPlJS6_EEE10hipError_tPvRmT3_T4_T5_T6_T7_T9_mT8_P12ihipStream_tbDpT10_ENKUlT_T0_E_clISt17integral_constantIbLb0EES16_IbLb1EEEEDaS12_S13_EUlS12_E_NS1_11comp_targetILNS1_3genE4ELNS1_11target_archE910ELNS1_3gpuE8ELNS1_3repE0EEENS1_30default_config_static_selectorELNS0_4arch9wavefront6targetE0EEEvT1_.num_named_barrier, 0
	.set _ZN7rocprim17ROCPRIM_400000_NS6detail17trampoline_kernelINS0_14default_configENS1_25partition_config_selectorILNS1_17partition_subalgoE8EiNS0_10empty_typeEbEEZZNS1_14partition_implILS5_8ELb0ES3_jPKiPS6_PKS6_NS0_5tupleIJPiS6_EEENSE_IJSB_SB_EEENS0_18inequality_wrapperIN6hipcub16HIPCUB_304000_NS8EqualityEEEPlJS6_EEE10hipError_tPvRmT3_T4_T5_T6_T7_T9_mT8_P12ihipStream_tbDpT10_ENKUlT_T0_E_clISt17integral_constantIbLb0EES16_IbLb1EEEEDaS12_S13_EUlS12_E_NS1_11comp_targetILNS1_3genE4ELNS1_11target_archE910ELNS1_3gpuE8ELNS1_3repE0EEENS1_30default_config_static_selectorELNS0_4arch9wavefront6targetE0EEEvT1_.private_seg_size, 0
	.set _ZN7rocprim17ROCPRIM_400000_NS6detail17trampoline_kernelINS0_14default_configENS1_25partition_config_selectorILNS1_17partition_subalgoE8EiNS0_10empty_typeEbEEZZNS1_14partition_implILS5_8ELb0ES3_jPKiPS6_PKS6_NS0_5tupleIJPiS6_EEENSE_IJSB_SB_EEENS0_18inequality_wrapperIN6hipcub16HIPCUB_304000_NS8EqualityEEEPlJS6_EEE10hipError_tPvRmT3_T4_T5_T6_T7_T9_mT8_P12ihipStream_tbDpT10_ENKUlT_T0_E_clISt17integral_constantIbLb0EES16_IbLb1EEEEDaS12_S13_EUlS12_E_NS1_11comp_targetILNS1_3genE4ELNS1_11target_archE910ELNS1_3gpuE8ELNS1_3repE0EEENS1_30default_config_static_selectorELNS0_4arch9wavefront6targetE0EEEvT1_.uses_vcc, 0
	.set _ZN7rocprim17ROCPRIM_400000_NS6detail17trampoline_kernelINS0_14default_configENS1_25partition_config_selectorILNS1_17partition_subalgoE8EiNS0_10empty_typeEbEEZZNS1_14partition_implILS5_8ELb0ES3_jPKiPS6_PKS6_NS0_5tupleIJPiS6_EEENSE_IJSB_SB_EEENS0_18inequality_wrapperIN6hipcub16HIPCUB_304000_NS8EqualityEEEPlJS6_EEE10hipError_tPvRmT3_T4_T5_T6_T7_T9_mT8_P12ihipStream_tbDpT10_ENKUlT_T0_E_clISt17integral_constantIbLb0EES16_IbLb1EEEEDaS12_S13_EUlS12_E_NS1_11comp_targetILNS1_3genE4ELNS1_11target_archE910ELNS1_3gpuE8ELNS1_3repE0EEENS1_30default_config_static_selectorELNS0_4arch9wavefront6targetE0EEEvT1_.uses_flat_scratch, 0
	.set _ZN7rocprim17ROCPRIM_400000_NS6detail17trampoline_kernelINS0_14default_configENS1_25partition_config_selectorILNS1_17partition_subalgoE8EiNS0_10empty_typeEbEEZZNS1_14partition_implILS5_8ELb0ES3_jPKiPS6_PKS6_NS0_5tupleIJPiS6_EEENSE_IJSB_SB_EEENS0_18inequality_wrapperIN6hipcub16HIPCUB_304000_NS8EqualityEEEPlJS6_EEE10hipError_tPvRmT3_T4_T5_T6_T7_T9_mT8_P12ihipStream_tbDpT10_ENKUlT_T0_E_clISt17integral_constantIbLb0EES16_IbLb1EEEEDaS12_S13_EUlS12_E_NS1_11comp_targetILNS1_3genE4ELNS1_11target_archE910ELNS1_3gpuE8ELNS1_3repE0EEENS1_30default_config_static_selectorELNS0_4arch9wavefront6targetE0EEEvT1_.has_dyn_sized_stack, 0
	.set _ZN7rocprim17ROCPRIM_400000_NS6detail17trampoline_kernelINS0_14default_configENS1_25partition_config_selectorILNS1_17partition_subalgoE8EiNS0_10empty_typeEbEEZZNS1_14partition_implILS5_8ELb0ES3_jPKiPS6_PKS6_NS0_5tupleIJPiS6_EEENSE_IJSB_SB_EEENS0_18inequality_wrapperIN6hipcub16HIPCUB_304000_NS8EqualityEEEPlJS6_EEE10hipError_tPvRmT3_T4_T5_T6_T7_T9_mT8_P12ihipStream_tbDpT10_ENKUlT_T0_E_clISt17integral_constantIbLb0EES16_IbLb1EEEEDaS12_S13_EUlS12_E_NS1_11comp_targetILNS1_3genE4ELNS1_11target_archE910ELNS1_3gpuE8ELNS1_3repE0EEENS1_30default_config_static_selectorELNS0_4arch9wavefront6targetE0EEEvT1_.has_recursion, 0
	.set _ZN7rocprim17ROCPRIM_400000_NS6detail17trampoline_kernelINS0_14default_configENS1_25partition_config_selectorILNS1_17partition_subalgoE8EiNS0_10empty_typeEbEEZZNS1_14partition_implILS5_8ELb0ES3_jPKiPS6_PKS6_NS0_5tupleIJPiS6_EEENSE_IJSB_SB_EEENS0_18inequality_wrapperIN6hipcub16HIPCUB_304000_NS8EqualityEEEPlJS6_EEE10hipError_tPvRmT3_T4_T5_T6_T7_T9_mT8_P12ihipStream_tbDpT10_ENKUlT_T0_E_clISt17integral_constantIbLb0EES16_IbLb1EEEEDaS12_S13_EUlS12_E_NS1_11comp_targetILNS1_3genE4ELNS1_11target_archE910ELNS1_3gpuE8ELNS1_3repE0EEENS1_30default_config_static_selectorELNS0_4arch9wavefront6targetE0EEEvT1_.has_indirect_call, 0
	.section	.AMDGPU.csdata,"",@progbits
; Kernel info:
; codeLenInByte = 0
; TotalNumSgprs: 0
; NumVgprs: 0
; ScratchSize: 0
; MemoryBound: 0
; FloatMode: 240
; IeeeMode: 1
; LDSByteSize: 0 bytes/workgroup (compile time only)
; SGPRBlocks: 0
; VGPRBlocks: 0
; NumSGPRsForWavesPerEU: 1
; NumVGPRsForWavesPerEU: 1
; Occupancy: 16
; WaveLimiterHint : 0
; COMPUTE_PGM_RSRC2:SCRATCH_EN: 0
; COMPUTE_PGM_RSRC2:USER_SGPR: 6
; COMPUTE_PGM_RSRC2:TRAP_HANDLER: 0
; COMPUTE_PGM_RSRC2:TGID_X_EN: 1
; COMPUTE_PGM_RSRC2:TGID_Y_EN: 0
; COMPUTE_PGM_RSRC2:TGID_Z_EN: 0
; COMPUTE_PGM_RSRC2:TIDIG_COMP_CNT: 0
	.section	.text._ZN7rocprim17ROCPRIM_400000_NS6detail17trampoline_kernelINS0_14default_configENS1_25partition_config_selectorILNS1_17partition_subalgoE8EiNS0_10empty_typeEbEEZZNS1_14partition_implILS5_8ELb0ES3_jPKiPS6_PKS6_NS0_5tupleIJPiS6_EEENSE_IJSB_SB_EEENS0_18inequality_wrapperIN6hipcub16HIPCUB_304000_NS8EqualityEEEPlJS6_EEE10hipError_tPvRmT3_T4_T5_T6_T7_T9_mT8_P12ihipStream_tbDpT10_ENKUlT_T0_E_clISt17integral_constantIbLb0EES16_IbLb1EEEEDaS12_S13_EUlS12_E_NS1_11comp_targetILNS1_3genE3ELNS1_11target_archE908ELNS1_3gpuE7ELNS1_3repE0EEENS1_30default_config_static_selectorELNS0_4arch9wavefront6targetE0EEEvT1_,"axG",@progbits,_ZN7rocprim17ROCPRIM_400000_NS6detail17trampoline_kernelINS0_14default_configENS1_25partition_config_selectorILNS1_17partition_subalgoE8EiNS0_10empty_typeEbEEZZNS1_14partition_implILS5_8ELb0ES3_jPKiPS6_PKS6_NS0_5tupleIJPiS6_EEENSE_IJSB_SB_EEENS0_18inequality_wrapperIN6hipcub16HIPCUB_304000_NS8EqualityEEEPlJS6_EEE10hipError_tPvRmT3_T4_T5_T6_T7_T9_mT8_P12ihipStream_tbDpT10_ENKUlT_T0_E_clISt17integral_constantIbLb0EES16_IbLb1EEEEDaS12_S13_EUlS12_E_NS1_11comp_targetILNS1_3genE3ELNS1_11target_archE908ELNS1_3gpuE7ELNS1_3repE0EEENS1_30default_config_static_selectorELNS0_4arch9wavefront6targetE0EEEvT1_,comdat
	.protected	_ZN7rocprim17ROCPRIM_400000_NS6detail17trampoline_kernelINS0_14default_configENS1_25partition_config_selectorILNS1_17partition_subalgoE8EiNS0_10empty_typeEbEEZZNS1_14partition_implILS5_8ELb0ES3_jPKiPS6_PKS6_NS0_5tupleIJPiS6_EEENSE_IJSB_SB_EEENS0_18inequality_wrapperIN6hipcub16HIPCUB_304000_NS8EqualityEEEPlJS6_EEE10hipError_tPvRmT3_T4_T5_T6_T7_T9_mT8_P12ihipStream_tbDpT10_ENKUlT_T0_E_clISt17integral_constantIbLb0EES16_IbLb1EEEEDaS12_S13_EUlS12_E_NS1_11comp_targetILNS1_3genE3ELNS1_11target_archE908ELNS1_3gpuE7ELNS1_3repE0EEENS1_30default_config_static_selectorELNS0_4arch9wavefront6targetE0EEEvT1_ ; -- Begin function _ZN7rocprim17ROCPRIM_400000_NS6detail17trampoline_kernelINS0_14default_configENS1_25partition_config_selectorILNS1_17partition_subalgoE8EiNS0_10empty_typeEbEEZZNS1_14partition_implILS5_8ELb0ES3_jPKiPS6_PKS6_NS0_5tupleIJPiS6_EEENSE_IJSB_SB_EEENS0_18inequality_wrapperIN6hipcub16HIPCUB_304000_NS8EqualityEEEPlJS6_EEE10hipError_tPvRmT3_T4_T5_T6_T7_T9_mT8_P12ihipStream_tbDpT10_ENKUlT_T0_E_clISt17integral_constantIbLb0EES16_IbLb1EEEEDaS12_S13_EUlS12_E_NS1_11comp_targetILNS1_3genE3ELNS1_11target_archE908ELNS1_3gpuE7ELNS1_3repE0EEENS1_30default_config_static_selectorELNS0_4arch9wavefront6targetE0EEEvT1_
	.globl	_ZN7rocprim17ROCPRIM_400000_NS6detail17trampoline_kernelINS0_14default_configENS1_25partition_config_selectorILNS1_17partition_subalgoE8EiNS0_10empty_typeEbEEZZNS1_14partition_implILS5_8ELb0ES3_jPKiPS6_PKS6_NS0_5tupleIJPiS6_EEENSE_IJSB_SB_EEENS0_18inequality_wrapperIN6hipcub16HIPCUB_304000_NS8EqualityEEEPlJS6_EEE10hipError_tPvRmT3_T4_T5_T6_T7_T9_mT8_P12ihipStream_tbDpT10_ENKUlT_T0_E_clISt17integral_constantIbLb0EES16_IbLb1EEEEDaS12_S13_EUlS12_E_NS1_11comp_targetILNS1_3genE3ELNS1_11target_archE908ELNS1_3gpuE7ELNS1_3repE0EEENS1_30default_config_static_selectorELNS0_4arch9wavefront6targetE0EEEvT1_
	.p2align	8
	.type	_ZN7rocprim17ROCPRIM_400000_NS6detail17trampoline_kernelINS0_14default_configENS1_25partition_config_selectorILNS1_17partition_subalgoE8EiNS0_10empty_typeEbEEZZNS1_14partition_implILS5_8ELb0ES3_jPKiPS6_PKS6_NS0_5tupleIJPiS6_EEENSE_IJSB_SB_EEENS0_18inequality_wrapperIN6hipcub16HIPCUB_304000_NS8EqualityEEEPlJS6_EEE10hipError_tPvRmT3_T4_T5_T6_T7_T9_mT8_P12ihipStream_tbDpT10_ENKUlT_T0_E_clISt17integral_constantIbLb0EES16_IbLb1EEEEDaS12_S13_EUlS12_E_NS1_11comp_targetILNS1_3genE3ELNS1_11target_archE908ELNS1_3gpuE7ELNS1_3repE0EEENS1_30default_config_static_selectorELNS0_4arch9wavefront6targetE0EEEvT1_,@function
_ZN7rocprim17ROCPRIM_400000_NS6detail17trampoline_kernelINS0_14default_configENS1_25partition_config_selectorILNS1_17partition_subalgoE8EiNS0_10empty_typeEbEEZZNS1_14partition_implILS5_8ELb0ES3_jPKiPS6_PKS6_NS0_5tupleIJPiS6_EEENSE_IJSB_SB_EEENS0_18inequality_wrapperIN6hipcub16HIPCUB_304000_NS8EqualityEEEPlJS6_EEE10hipError_tPvRmT3_T4_T5_T6_T7_T9_mT8_P12ihipStream_tbDpT10_ENKUlT_T0_E_clISt17integral_constantIbLb0EES16_IbLb1EEEEDaS12_S13_EUlS12_E_NS1_11comp_targetILNS1_3genE3ELNS1_11target_archE908ELNS1_3gpuE7ELNS1_3repE0EEENS1_30default_config_static_selectorELNS0_4arch9wavefront6targetE0EEEvT1_: ; @_ZN7rocprim17ROCPRIM_400000_NS6detail17trampoline_kernelINS0_14default_configENS1_25partition_config_selectorILNS1_17partition_subalgoE8EiNS0_10empty_typeEbEEZZNS1_14partition_implILS5_8ELb0ES3_jPKiPS6_PKS6_NS0_5tupleIJPiS6_EEENSE_IJSB_SB_EEENS0_18inequality_wrapperIN6hipcub16HIPCUB_304000_NS8EqualityEEEPlJS6_EEE10hipError_tPvRmT3_T4_T5_T6_T7_T9_mT8_P12ihipStream_tbDpT10_ENKUlT_T0_E_clISt17integral_constantIbLb0EES16_IbLb1EEEEDaS12_S13_EUlS12_E_NS1_11comp_targetILNS1_3genE3ELNS1_11target_archE908ELNS1_3gpuE7ELNS1_3repE0EEENS1_30default_config_static_selectorELNS0_4arch9wavefront6targetE0EEEvT1_
; %bb.0:
	.section	.rodata,"a",@progbits
	.p2align	6, 0x0
	.amdhsa_kernel _ZN7rocprim17ROCPRIM_400000_NS6detail17trampoline_kernelINS0_14default_configENS1_25partition_config_selectorILNS1_17partition_subalgoE8EiNS0_10empty_typeEbEEZZNS1_14partition_implILS5_8ELb0ES3_jPKiPS6_PKS6_NS0_5tupleIJPiS6_EEENSE_IJSB_SB_EEENS0_18inequality_wrapperIN6hipcub16HIPCUB_304000_NS8EqualityEEEPlJS6_EEE10hipError_tPvRmT3_T4_T5_T6_T7_T9_mT8_P12ihipStream_tbDpT10_ENKUlT_T0_E_clISt17integral_constantIbLb0EES16_IbLb1EEEEDaS12_S13_EUlS12_E_NS1_11comp_targetILNS1_3genE3ELNS1_11target_archE908ELNS1_3gpuE7ELNS1_3repE0EEENS1_30default_config_static_selectorELNS0_4arch9wavefront6targetE0EEEvT1_
		.amdhsa_group_segment_fixed_size 0
		.amdhsa_private_segment_fixed_size 0
		.amdhsa_kernarg_size 128
		.amdhsa_user_sgpr_count 6
		.amdhsa_user_sgpr_private_segment_buffer 1
		.amdhsa_user_sgpr_dispatch_ptr 0
		.amdhsa_user_sgpr_queue_ptr 0
		.amdhsa_user_sgpr_kernarg_segment_ptr 1
		.amdhsa_user_sgpr_dispatch_id 0
		.amdhsa_user_sgpr_flat_scratch_init 0
		.amdhsa_user_sgpr_private_segment_size 0
		.amdhsa_wavefront_size32 1
		.amdhsa_uses_dynamic_stack 0
		.amdhsa_system_sgpr_private_segment_wavefront_offset 0
		.amdhsa_system_sgpr_workgroup_id_x 1
		.amdhsa_system_sgpr_workgroup_id_y 0
		.amdhsa_system_sgpr_workgroup_id_z 0
		.amdhsa_system_sgpr_workgroup_info 0
		.amdhsa_system_vgpr_workitem_id 0
		.amdhsa_next_free_vgpr 1
		.amdhsa_next_free_sgpr 1
		.amdhsa_reserve_vcc 0
		.amdhsa_reserve_flat_scratch 0
		.amdhsa_float_round_mode_32 0
		.amdhsa_float_round_mode_16_64 0
		.amdhsa_float_denorm_mode_32 3
		.amdhsa_float_denorm_mode_16_64 3
		.amdhsa_dx10_clamp 1
		.amdhsa_ieee_mode 1
		.amdhsa_fp16_overflow 0
		.amdhsa_workgroup_processor_mode 1
		.amdhsa_memory_ordered 1
		.amdhsa_forward_progress 1
		.amdhsa_shared_vgpr_count 0
		.amdhsa_exception_fp_ieee_invalid_op 0
		.amdhsa_exception_fp_denorm_src 0
		.amdhsa_exception_fp_ieee_div_zero 0
		.amdhsa_exception_fp_ieee_overflow 0
		.amdhsa_exception_fp_ieee_underflow 0
		.amdhsa_exception_fp_ieee_inexact 0
		.amdhsa_exception_int_div_zero 0
	.end_amdhsa_kernel
	.section	.text._ZN7rocprim17ROCPRIM_400000_NS6detail17trampoline_kernelINS0_14default_configENS1_25partition_config_selectorILNS1_17partition_subalgoE8EiNS0_10empty_typeEbEEZZNS1_14partition_implILS5_8ELb0ES3_jPKiPS6_PKS6_NS0_5tupleIJPiS6_EEENSE_IJSB_SB_EEENS0_18inequality_wrapperIN6hipcub16HIPCUB_304000_NS8EqualityEEEPlJS6_EEE10hipError_tPvRmT3_T4_T5_T6_T7_T9_mT8_P12ihipStream_tbDpT10_ENKUlT_T0_E_clISt17integral_constantIbLb0EES16_IbLb1EEEEDaS12_S13_EUlS12_E_NS1_11comp_targetILNS1_3genE3ELNS1_11target_archE908ELNS1_3gpuE7ELNS1_3repE0EEENS1_30default_config_static_selectorELNS0_4arch9wavefront6targetE0EEEvT1_,"axG",@progbits,_ZN7rocprim17ROCPRIM_400000_NS6detail17trampoline_kernelINS0_14default_configENS1_25partition_config_selectorILNS1_17partition_subalgoE8EiNS0_10empty_typeEbEEZZNS1_14partition_implILS5_8ELb0ES3_jPKiPS6_PKS6_NS0_5tupleIJPiS6_EEENSE_IJSB_SB_EEENS0_18inequality_wrapperIN6hipcub16HIPCUB_304000_NS8EqualityEEEPlJS6_EEE10hipError_tPvRmT3_T4_T5_T6_T7_T9_mT8_P12ihipStream_tbDpT10_ENKUlT_T0_E_clISt17integral_constantIbLb0EES16_IbLb1EEEEDaS12_S13_EUlS12_E_NS1_11comp_targetILNS1_3genE3ELNS1_11target_archE908ELNS1_3gpuE7ELNS1_3repE0EEENS1_30default_config_static_selectorELNS0_4arch9wavefront6targetE0EEEvT1_,comdat
.Lfunc_end216:
	.size	_ZN7rocprim17ROCPRIM_400000_NS6detail17trampoline_kernelINS0_14default_configENS1_25partition_config_selectorILNS1_17partition_subalgoE8EiNS0_10empty_typeEbEEZZNS1_14partition_implILS5_8ELb0ES3_jPKiPS6_PKS6_NS0_5tupleIJPiS6_EEENSE_IJSB_SB_EEENS0_18inequality_wrapperIN6hipcub16HIPCUB_304000_NS8EqualityEEEPlJS6_EEE10hipError_tPvRmT3_T4_T5_T6_T7_T9_mT8_P12ihipStream_tbDpT10_ENKUlT_T0_E_clISt17integral_constantIbLb0EES16_IbLb1EEEEDaS12_S13_EUlS12_E_NS1_11comp_targetILNS1_3genE3ELNS1_11target_archE908ELNS1_3gpuE7ELNS1_3repE0EEENS1_30default_config_static_selectorELNS0_4arch9wavefront6targetE0EEEvT1_, .Lfunc_end216-_ZN7rocprim17ROCPRIM_400000_NS6detail17trampoline_kernelINS0_14default_configENS1_25partition_config_selectorILNS1_17partition_subalgoE8EiNS0_10empty_typeEbEEZZNS1_14partition_implILS5_8ELb0ES3_jPKiPS6_PKS6_NS0_5tupleIJPiS6_EEENSE_IJSB_SB_EEENS0_18inequality_wrapperIN6hipcub16HIPCUB_304000_NS8EqualityEEEPlJS6_EEE10hipError_tPvRmT3_T4_T5_T6_T7_T9_mT8_P12ihipStream_tbDpT10_ENKUlT_T0_E_clISt17integral_constantIbLb0EES16_IbLb1EEEEDaS12_S13_EUlS12_E_NS1_11comp_targetILNS1_3genE3ELNS1_11target_archE908ELNS1_3gpuE7ELNS1_3repE0EEENS1_30default_config_static_selectorELNS0_4arch9wavefront6targetE0EEEvT1_
                                        ; -- End function
	.set _ZN7rocprim17ROCPRIM_400000_NS6detail17trampoline_kernelINS0_14default_configENS1_25partition_config_selectorILNS1_17partition_subalgoE8EiNS0_10empty_typeEbEEZZNS1_14partition_implILS5_8ELb0ES3_jPKiPS6_PKS6_NS0_5tupleIJPiS6_EEENSE_IJSB_SB_EEENS0_18inequality_wrapperIN6hipcub16HIPCUB_304000_NS8EqualityEEEPlJS6_EEE10hipError_tPvRmT3_T4_T5_T6_T7_T9_mT8_P12ihipStream_tbDpT10_ENKUlT_T0_E_clISt17integral_constantIbLb0EES16_IbLb1EEEEDaS12_S13_EUlS12_E_NS1_11comp_targetILNS1_3genE3ELNS1_11target_archE908ELNS1_3gpuE7ELNS1_3repE0EEENS1_30default_config_static_selectorELNS0_4arch9wavefront6targetE0EEEvT1_.num_vgpr, 0
	.set _ZN7rocprim17ROCPRIM_400000_NS6detail17trampoline_kernelINS0_14default_configENS1_25partition_config_selectorILNS1_17partition_subalgoE8EiNS0_10empty_typeEbEEZZNS1_14partition_implILS5_8ELb0ES3_jPKiPS6_PKS6_NS0_5tupleIJPiS6_EEENSE_IJSB_SB_EEENS0_18inequality_wrapperIN6hipcub16HIPCUB_304000_NS8EqualityEEEPlJS6_EEE10hipError_tPvRmT3_T4_T5_T6_T7_T9_mT8_P12ihipStream_tbDpT10_ENKUlT_T0_E_clISt17integral_constantIbLb0EES16_IbLb1EEEEDaS12_S13_EUlS12_E_NS1_11comp_targetILNS1_3genE3ELNS1_11target_archE908ELNS1_3gpuE7ELNS1_3repE0EEENS1_30default_config_static_selectorELNS0_4arch9wavefront6targetE0EEEvT1_.num_agpr, 0
	.set _ZN7rocprim17ROCPRIM_400000_NS6detail17trampoline_kernelINS0_14default_configENS1_25partition_config_selectorILNS1_17partition_subalgoE8EiNS0_10empty_typeEbEEZZNS1_14partition_implILS5_8ELb0ES3_jPKiPS6_PKS6_NS0_5tupleIJPiS6_EEENSE_IJSB_SB_EEENS0_18inequality_wrapperIN6hipcub16HIPCUB_304000_NS8EqualityEEEPlJS6_EEE10hipError_tPvRmT3_T4_T5_T6_T7_T9_mT8_P12ihipStream_tbDpT10_ENKUlT_T0_E_clISt17integral_constantIbLb0EES16_IbLb1EEEEDaS12_S13_EUlS12_E_NS1_11comp_targetILNS1_3genE3ELNS1_11target_archE908ELNS1_3gpuE7ELNS1_3repE0EEENS1_30default_config_static_selectorELNS0_4arch9wavefront6targetE0EEEvT1_.numbered_sgpr, 0
	.set _ZN7rocprim17ROCPRIM_400000_NS6detail17trampoline_kernelINS0_14default_configENS1_25partition_config_selectorILNS1_17partition_subalgoE8EiNS0_10empty_typeEbEEZZNS1_14partition_implILS5_8ELb0ES3_jPKiPS6_PKS6_NS0_5tupleIJPiS6_EEENSE_IJSB_SB_EEENS0_18inequality_wrapperIN6hipcub16HIPCUB_304000_NS8EqualityEEEPlJS6_EEE10hipError_tPvRmT3_T4_T5_T6_T7_T9_mT8_P12ihipStream_tbDpT10_ENKUlT_T0_E_clISt17integral_constantIbLb0EES16_IbLb1EEEEDaS12_S13_EUlS12_E_NS1_11comp_targetILNS1_3genE3ELNS1_11target_archE908ELNS1_3gpuE7ELNS1_3repE0EEENS1_30default_config_static_selectorELNS0_4arch9wavefront6targetE0EEEvT1_.num_named_barrier, 0
	.set _ZN7rocprim17ROCPRIM_400000_NS6detail17trampoline_kernelINS0_14default_configENS1_25partition_config_selectorILNS1_17partition_subalgoE8EiNS0_10empty_typeEbEEZZNS1_14partition_implILS5_8ELb0ES3_jPKiPS6_PKS6_NS0_5tupleIJPiS6_EEENSE_IJSB_SB_EEENS0_18inequality_wrapperIN6hipcub16HIPCUB_304000_NS8EqualityEEEPlJS6_EEE10hipError_tPvRmT3_T4_T5_T6_T7_T9_mT8_P12ihipStream_tbDpT10_ENKUlT_T0_E_clISt17integral_constantIbLb0EES16_IbLb1EEEEDaS12_S13_EUlS12_E_NS1_11comp_targetILNS1_3genE3ELNS1_11target_archE908ELNS1_3gpuE7ELNS1_3repE0EEENS1_30default_config_static_selectorELNS0_4arch9wavefront6targetE0EEEvT1_.private_seg_size, 0
	.set _ZN7rocprim17ROCPRIM_400000_NS6detail17trampoline_kernelINS0_14default_configENS1_25partition_config_selectorILNS1_17partition_subalgoE8EiNS0_10empty_typeEbEEZZNS1_14partition_implILS5_8ELb0ES3_jPKiPS6_PKS6_NS0_5tupleIJPiS6_EEENSE_IJSB_SB_EEENS0_18inequality_wrapperIN6hipcub16HIPCUB_304000_NS8EqualityEEEPlJS6_EEE10hipError_tPvRmT3_T4_T5_T6_T7_T9_mT8_P12ihipStream_tbDpT10_ENKUlT_T0_E_clISt17integral_constantIbLb0EES16_IbLb1EEEEDaS12_S13_EUlS12_E_NS1_11comp_targetILNS1_3genE3ELNS1_11target_archE908ELNS1_3gpuE7ELNS1_3repE0EEENS1_30default_config_static_selectorELNS0_4arch9wavefront6targetE0EEEvT1_.uses_vcc, 0
	.set _ZN7rocprim17ROCPRIM_400000_NS6detail17trampoline_kernelINS0_14default_configENS1_25partition_config_selectorILNS1_17partition_subalgoE8EiNS0_10empty_typeEbEEZZNS1_14partition_implILS5_8ELb0ES3_jPKiPS6_PKS6_NS0_5tupleIJPiS6_EEENSE_IJSB_SB_EEENS0_18inequality_wrapperIN6hipcub16HIPCUB_304000_NS8EqualityEEEPlJS6_EEE10hipError_tPvRmT3_T4_T5_T6_T7_T9_mT8_P12ihipStream_tbDpT10_ENKUlT_T0_E_clISt17integral_constantIbLb0EES16_IbLb1EEEEDaS12_S13_EUlS12_E_NS1_11comp_targetILNS1_3genE3ELNS1_11target_archE908ELNS1_3gpuE7ELNS1_3repE0EEENS1_30default_config_static_selectorELNS0_4arch9wavefront6targetE0EEEvT1_.uses_flat_scratch, 0
	.set _ZN7rocprim17ROCPRIM_400000_NS6detail17trampoline_kernelINS0_14default_configENS1_25partition_config_selectorILNS1_17partition_subalgoE8EiNS0_10empty_typeEbEEZZNS1_14partition_implILS5_8ELb0ES3_jPKiPS6_PKS6_NS0_5tupleIJPiS6_EEENSE_IJSB_SB_EEENS0_18inequality_wrapperIN6hipcub16HIPCUB_304000_NS8EqualityEEEPlJS6_EEE10hipError_tPvRmT3_T4_T5_T6_T7_T9_mT8_P12ihipStream_tbDpT10_ENKUlT_T0_E_clISt17integral_constantIbLb0EES16_IbLb1EEEEDaS12_S13_EUlS12_E_NS1_11comp_targetILNS1_3genE3ELNS1_11target_archE908ELNS1_3gpuE7ELNS1_3repE0EEENS1_30default_config_static_selectorELNS0_4arch9wavefront6targetE0EEEvT1_.has_dyn_sized_stack, 0
	.set _ZN7rocprim17ROCPRIM_400000_NS6detail17trampoline_kernelINS0_14default_configENS1_25partition_config_selectorILNS1_17partition_subalgoE8EiNS0_10empty_typeEbEEZZNS1_14partition_implILS5_8ELb0ES3_jPKiPS6_PKS6_NS0_5tupleIJPiS6_EEENSE_IJSB_SB_EEENS0_18inequality_wrapperIN6hipcub16HIPCUB_304000_NS8EqualityEEEPlJS6_EEE10hipError_tPvRmT3_T4_T5_T6_T7_T9_mT8_P12ihipStream_tbDpT10_ENKUlT_T0_E_clISt17integral_constantIbLb0EES16_IbLb1EEEEDaS12_S13_EUlS12_E_NS1_11comp_targetILNS1_3genE3ELNS1_11target_archE908ELNS1_3gpuE7ELNS1_3repE0EEENS1_30default_config_static_selectorELNS0_4arch9wavefront6targetE0EEEvT1_.has_recursion, 0
	.set _ZN7rocprim17ROCPRIM_400000_NS6detail17trampoline_kernelINS0_14default_configENS1_25partition_config_selectorILNS1_17partition_subalgoE8EiNS0_10empty_typeEbEEZZNS1_14partition_implILS5_8ELb0ES3_jPKiPS6_PKS6_NS0_5tupleIJPiS6_EEENSE_IJSB_SB_EEENS0_18inequality_wrapperIN6hipcub16HIPCUB_304000_NS8EqualityEEEPlJS6_EEE10hipError_tPvRmT3_T4_T5_T6_T7_T9_mT8_P12ihipStream_tbDpT10_ENKUlT_T0_E_clISt17integral_constantIbLb0EES16_IbLb1EEEEDaS12_S13_EUlS12_E_NS1_11comp_targetILNS1_3genE3ELNS1_11target_archE908ELNS1_3gpuE7ELNS1_3repE0EEENS1_30default_config_static_selectorELNS0_4arch9wavefront6targetE0EEEvT1_.has_indirect_call, 0
	.section	.AMDGPU.csdata,"",@progbits
; Kernel info:
; codeLenInByte = 0
; TotalNumSgprs: 0
; NumVgprs: 0
; ScratchSize: 0
; MemoryBound: 0
; FloatMode: 240
; IeeeMode: 1
; LDSByteSize: 0 bytes/workgroup (compile time only)
; SGPRBlocks: 0
; VGPRBlocks: 0
; NumSGPRsForWavesPerEU: 1
; NumVGPRsForWavesPerEU: 1
; Occupancy: 16
; WaveLimiterHint : 0
; COMPUTE_PGM_RSRC2:SCRATCH_EN: 0
; COMPUTE_PGM_RSRC2:USER_SGPR: 6
; COMPUTE_PGM_RSRC2:TRAP_HANDLER: 0
; COMPUTE_PGM_RSRC2:TGID_X_EN: 1
; COMPUTE_PGM_RSRC2:TGID_Y_EN: 0
; COMPUTE_PGM_RSRC2:TGID_Z_EN: 0
; COMPUTE_PGM_RSRC2:TIDIG_COMP_CNT: 0
	.section	.text._ZN7rocprim17ROCPRIM_400000_NS6detail17trampoline_kernelINS0_14default_configENS1_25partition_config_selectorILNS1_17partition_subalgoE8EiNS0_10empty_typeEbEEZZNS1_14partition_implILS5_8ELb0ES3_jPKiPS6_PKS6_NS0_5tupleIJPiS6_EEENSE_IJSB_SB_EEENS0_18inequality_wrapperIN6hipcub16HIPCUB_304000_NS8EqualityEEEPlJS6_EEE10hipError_tPvRmT3_T4_T5_T6_T7_T9_mT8_P12ihipStream_tbDpT10_ENKUlT_T0_E_clISt17integral_constantIbLb0EES16_IbLb1EEEEDaS12_S13_EUlS12_E_NS1_11comp_targetILNS1_3genE2ELNS1_11target_archE906ELNS1_3gpuE6ELNS1_3repE0EEENS1_30default_config_static_selectorELNS0_4arch9wavefront6targetE0EEEvT1_,"axG",@progbits,_ZN7rocprim17ROCPRIM_400000_NS6detail17trampoline_kernelINS0_14default_configENS1_25partition_config_selectorILNS1_17partition_subalgoE8EiNS0_10empty_typeEbEEZZNS1_14partition_implILS5_8ELb0ES3_jPKiPS6_PKS6_NS0_5tupleIJPiS6_EEENSE_IJSB_SB_EEENS0_18inequality_wrapperIN6hipcub16HIPCUB_304000_NS8EqualityEEEPlJS6_EEE10hipError_tPvRmT3_T4_T5_T6_T7_T9_mT8_P12ihipStream_tbDpT10_ENKUlT_T0_E_clISt17integral_constantIbLb0EES16_IbLb1EEEEDaS12_S13_EUlS12_E_NS1_11comp_targetILNS1_3genE2ELNS1_11target_archE906ELNS1_3gpuE6ELNS1_3repE0EEENS1_30default_config_static_selectorELNS0_4arch9wavefront6targetE0EEEvT1_,comdat
	.protected	_ZN7rocprim17ROCPRIM_400000_NS6detail17trampoline_kernelINS0_14default_configENS1_25partition_config_selectorILNS1_17partition_subalgoE8EiNS0_10empty_typeEbEEZZNS1_14partition_implILS5_8ELb0ES3_jPKiPS6_PKS6_NS0_5tupleIJPiS6_EEENSE_IJSB_SB_EEENS0_18inequality_wrapperIN6hipcub16HIPCUB_304000_NS8EqualityEEEPlJS6_EEE10hipError_tPvRmT3_T4_T5_T6_T7_T9_mT8_P12ihipStream_tbDpT10_ENKUlT_T0_E_clISt17integral_constantIbLb0EES16_IbLb1EEEEDaS12_S13_EUlS12_E_NS1_11comp_targetILNS1_3genE2ELNS1_11target_archE906ELNS1_3gpuE6ELNS1_3repE0EEENS1_30default_config_static_selectorELNS0_4arch9wavefront6targetE0EEEvT1_ ; -- Begin function _ZN7rocprim17ROCPRIM_400000_NS6detail17trampoline_kernelINS0_14default_configENS1_25partition_config_selectorILNS1_17partition_subalgoE8EiNS0_10empty_typeEbEEZZNS1_14partition_implILS5_8ELb0ES3_jPKiPS6_PKS6_NS0_5tupleIJPiS6_EEENSE_IJSB_SB_EEENS0_18inequality_wrapperIN6hipcub16HIPCUB_304000_NS8EqualityEEEPlJS6_EEE10hipError_tPvRmT3_T4_T5_T6_T7_T9_mT8_P12ihipStream_tbDpT10_ENKUlT_T0_E_clISt17integral_constantIbLb0EES16_IbLb1EEEEDaS12_S13_EUlS12_E_NS1_11comp_targetILNS1_3genE2ELNS1_11target_archE906ELNS1_3gpuE6ELNS1_3repE0EEENS1_30default_config_static_selectorELNS0_4arch9wavefront6targetE0EEEvT1_
	.globl	_ZN7rocprim17ROCPRIM_400000_NS6detail17trampoline_kernelINS0_14default_configENS1_25partition_config_selectorILNS1_17partition_subalgoE8EiNS0_10empty_typeEbEEZZNS1_14partition_implILS5_8ELb0ES3_jPKiPS6_PKS6_NS0_5tupleIJPiS6_EEENSE_IJSB_SB_EEENS0_18inequality_wrapperIN6hipcub16HIPCUB_304000_NS8EqualityEEEPlJS6_EEE10hipError_tPvRmT3_T4_T5_T6_T7_T9_mT8_P12ihipStream_tbDpT10_ENKUlT_T0_E_clISt17integral_constantIbLb0EES16_IbLb1EEEEDaS12_S13_EUlS12_E_NS1_11comp_targetILNS1_3genE2ELNS1_11target_archE906ELNS1_3gpuE6ELNS1_3repE0EEENS1_30default_config_static_selectorELNS0_4arch9wavefront6targetE0EEEvT1_
	.p2align	8
	.type	_ZN7rocprim17ROCPRIM_400000_NS6detail17trampoline_kernelINS0_14default_configENS1_25partition_config_selectorILNS1_17partition_subalgoE8EiNS0_10empty_typeEbEEZZNS1_14partition_implILS5_8ELb0ES3_jPKiPS6_PKS6_NS0_5tupleIJPiS6_EEENSE_IJSB_SB_EEENS0_18inequality_wrapperIN6hipcub16HIPCUB_304000_NS8EqualityEEEPlJS6_EEE10hipError_tPvRmT3_T4_T5_T6_T7_T9_mT8_P12ihipStream_tbDpT10_ENKUlT_T0_E_clISt17integral_constantIbLb0EES16_IbLb1EEEEDaS12_S13_EUlS12_E_NS1_11comp_targetILNS1_3genE2ELNS1_11target_archE906ELNS1_3gpuE6ELNS1_3repE0EEENS1_30default_config_static_selectorELNS0_4arch9wavefront6targetE0EEEvT1_,@function
_ZN7rocprim17ROCPRIM_400000_NS6detail17trampoline_kernelINS0_14default_configENS1_25partition_config_selectorILNS1_17partition_subalgoE8EiNS0_10empty_typeEbEEZZNS1_14partition_implILS5_8ELb0ES3_jPKiPS6_PKS6_NS0_5tupleIJPiS6_EEENSE_IJSB_SB_EEENS0_18inequality_wrapperIN6hipcub16HIPCUB_304000_NS8EqualityEEEPlJS6_EEE10hipError_tPvRmT3_T4_T5_T6_T7_T9_mT8_P12ihipStream_tbDpT10_ENKUlT_T0_E_clISt17integral_constantIbLb0EES16_IbLb1EEEEDaS12_S13_EUlS12_E_NS1_11comp_targetILNS1_3genE2ELNS1_11target_archE906ELNS1_3gpuE6ELNS1_3repE0EEENS1_30default_config_static_selectorELNS0_4arch9wavefront6targetE0EEEvT1_: ; @_ZN7rocprim17ROCPRIM_400000_NS6detail17trampoline_kernelINS0_14default_configENS1_25partition_config_selectorILNS1_17partition_subalgoE8EiNS0_10empty_typeEbEEZZNS1_14partition_implILS5_8ELb0ES3_jPKiPS6_PKS6_NS0_5tupleIJPiS6_EEENSE_IJSB_SB_EEENS0_18inequality_wrapperIN6hipcub16HIPCUB_304000_NS8EqualityEEEPlJS6_EEE10hipError_tPvRmT3_T4_T5_T6_T7_T9_mT8_P12ihipStream_tbDpT10_ENKUlT_T0_E_clISt17integral_constantIbLb0EES16_IbLb1EEEEDaS12_S13_EUlS12_E_NS1_11comp_targetILNS1_3genE2ELNS1_11target_archE906ELNS1_3gpuE6ELNS1_3repE0EEENS1_30default_config_static_selectorELNS0_4arch9wavefront6targetE0EEEvT1_
; %bb.0:
	.section	.rodata,"a",@progbits
	.p2align	6, 0x0
	.amdhsa_kernel _ZN7rocprim17ROCPRIM_400000_NS6detail17trampoline_kernelINS0_14default_configENS1_25partition_config_selectorILNS1_17partition_subalgoE8EiNS0_10empty_typeEbEEZZNS1_14partition_implILS5_8ELb0ES3_jPKiPS6_PKS6_NS0_5tupleIJPiS6_EEENSE_IJSB_SB_EEENS0_18inequality_wrapperIN6hipcub16HIPCUB_304000_NS8EqualityEEEPlJS6_EEE10hipError_tPvRmT3_T4_T5_T6_T7_T9_mT8_P12ihipStream_tbDpT10_ENKUlT_T0_E_clISt17integral_constantIbLb0EES16_IbLb1EEEEDaS12_S13_EUlS12_E_NS1_11comp_targetILNS1_3genE2ELNS1_11target_archE906ELNS1_3gpuE6ELNS1_3repE0EEENS1_30default_config_static_selectorELNS0_4arch9wavefront6targetE0EEEvT1_
		.amdhsa_group_segment_fixed_size 0
		.amdhsa_private_segment_fixed_size 0
		.amdhsa_kernarg_size 128
		.amdhsa_user_sgpr_count 6
		.amdhsa_user_sgpr_private_segment_buffer 1
		.amdhsa_user_sgpr_dispatch_ptr 0
		.amdhsa_user_sgpr_queue_ptr 0
		.amdhsa_user_sgpr_kernarg_segment_ptr 1
		.amdhsa_user_sgpr_dispatch_id 0
		.amdhsa_user_sgpr_flat_scratch_init 0
		.amdhsa_user_sgpr_private_segment_size 0
		.amdhsa_wavefront_size32 1
		.amdhsa_uses_dynamic_stack 0
		.amdhsa_system_sgpr_private_segment_wavefront_offset 0
		.amdhsa_system_sgpr_workgroup_id_x 1
		.amdhsa_system_sgpr_workgroup_id_y 0
		.amdhsa_system_sgpr_workgroup_id_z 0
		.amdhsa_system_sgpr_workgroup_info 0
		.amdhsa_system_vgpr_workitem_id 0
		.amdhsa_next_free_vgpr 1
		.amdhsa_next_free_sgpr 1
		.amdhsa_reserve_vcc 0
		.amdhsa_reserve_flat_scratch 0
		.amdhsa_float_round_mode_32 0
		.amdhsa_float_round_mode_16_64 0
		.amdhsa_float_denorm_mode_32 3
		.amdhsa_float_denorm_mode_16_64 3
		.amdhsa_dx10_clamp 1
		.amdhsa_ieee_mode 1
		.amdhsa_fp16_overflow 0
		.amdhsa_workgroup_processor_mode 1
		.amdhsa_memory_ordered 1
		.amdhsa_forward_progress 1
		.amdhsa_shared_vgpr_count 0
		.amdhsa_exception_fp_ieee_invalid_op 0
		.amdhsa_exception_fp_denorm_src 0
		.amdhsa_exception_fp_ieee_div_zero 0
		.amdhsa_exception_fp_ieee_overflow 0
		.amdhsa_exception_fp_ieee_underflow 0
		.amdhsa_exception_fp_ieee_inexact 0
		.amdhsa_exception_int_div_zero 0
	.end_amdhsa_kernel
	.section	.text._ZN7rocprim17ROCPRIM_400000_NS6detail17trampoline_kernelINS0_14default_configENS1_25partition_config_selectorILNS1_17partition_subalgoE8EiNS0_10empty_typeEbEEZZNS1_14partition_implILS5_8ELb0ES3_jPKiPS6_PKS6_NS0_5tupleIJPiS6_EEENSE_IJSB_SB_EEENS0_18inequality_wrapperIN6hipcub16HIPCUB_304000_NS8EqualityEEEPlJS6_EEE10hipError_tPvRmT3_T4_T5_T6_T7_T9_mT8_P12ihipStream_tbDpT10_ENKUlT_T0_E_clISt17integral_constantIbLb0EES16_IbLb1EEEEDaS12_S13_EUlS12_E_NS1_11comp_targetILNS1_3genE2ELNS1_11target_archE906ELNS1_3gpuE6ELNS1_3repE0EEENS1_30default_config_static_selectorELNS0_4arch9wavefront6targetE0EEEvT1_,"axG",@progbits,_ZN7rocprim17ROCPRIM_400000_NS6detail17trampoline_kernelINS0_14default_configENS1_25partition_config_selectorILNS1_17partition_subalgoE8EiNS0_10empty_typeEbEEZZNS1_14partition_implILS5_8ELb0ES3_jPKiPS6_PKS6_NS0_5tupleIJPiS6_EEENSE_IJSB_SB_EEENS0_18inequality_wrapperIN6hipcub16HIPCUB_304000_NS8EqualityEEEPlJS6_EEE10hipError_tPvRmT3_T4_T5_T6_T7_T9_mT8_P12ihipStream_tbDpT10_ENKUlT_T0_E_clISt17integral_constantIbLb0EES16_IbLb1EEEEDaS12_S13_EUlS12_E_NS1_11comp_targetILNS1_3genE2ELNS1_11target_archE906ELNS1_3gpuE6ELNS1_3repE0EEENS1_30default_config_static_selectorELNS0_4arch9wavefront6targetE0EEEvT1_,comdat
.Lfunc_end217:
	.size	_ZN7rocprim17ROCPRIM_400000_NS6detail17trampoline_kernelINS0_14default_configENS1_25partition_config_selectorILNS1_17partition_subalgoE8EiNS0_10empty_typeEbEEZZNS1_14partition_implILS5_8ELb0ES3_jPKiPS6_PKS6_NS0_5tupleIJPiS6_EEENSE_IJSB_SB_EEENS0_18inequality_wrapperIN6hipcub16HIPCUB_304000_NS8EqualityEEEPlJS6_EEE10hipError_tPvRmT3_T4_T5_T6_T7_T9_mT8_P12ihipStream_tbDpT10_ENKUlT_T0_E_clISt17integral_constantIbLb0EES16_IbLb1EEEEDaS12_S13_EUlS12_E_NS1_11comp_targetILNS1_3genE2ELNS1_11target_archE906ELNS1_3gpuE6ELNS1_3repE0EEENS1_30default_config_static_selectorELNS0_4arch9wavefront6targetE0EEEvT1_, .Lfunc_end217-_ZN7rocprim17ROCPRIM_400000_NS6detail17trampoline_kernelINS0_14default_configENS1_25partition_config_selectorILNS1_17partition_subalgoE8EiNS0_10empty_typeEbEEZZNS1_14partition_implILS5_8ELb0ES3_jPKiPS6_PKS6_NS0_5tupleIJPiS6_EEENSE_IJSB_SB_EEENS0_18inequality_wrapperIN6hipcub16HIPCUB_304000_NS8EqualityEEEPlJS6_EEE10hipError_tPvRmT3_T4_T5_T6_T7_T9_mT8_P12ihipStream_tbDpT10_ENKUlT_T0_E_clISt17integral_constantIbLb0EES16_IbLb1EEEEDaS12_S13_EUlS12_E_NS1_11comp_targetILNS1_3genE2ELNS1_11target_archE906ELNS1_3gpuE6ELNS1_3repE0EEENS1_30default_config_static_selectorELNS0_4arch9wavefront6targetE0EEEvT1_
                                        ; -- End function
	.set _ZN7rocprim17ROCPRIM_400000_NS6detail17trampoline_kernelINS0_14default_configENS1_25partition_config_selectorILNS1_17partition_subalgoE8EiNS0_10empty_typeEbEEZZNS1_14partition_implILS5_8ELb0ES3_jPKiPS6_PKS6_NS0_5tupleIJPiS6_EEENSE_IJSB_SB_EEENS0_18inequality_wrapperIN6hipcub16HIPCUB_304000_NS8EqualityEEEPlJS6_EEE10hipError_tPvRmT3_T4_T5_T6_T7_T9_mT8_P12ihipStream_tbDpT10_ENKUlT_T0_E_clISt17integral_constantIbLb0EES16_IbLb1EEEEDaS12_S13_EUlS12_E_NS1_11comp_targetILNS1_3genE2ELNS1_11target_archE906ELNS1_3gpuE6ELNS1_3repE0EEENS1_30default_config_static_selectorELNS0_4arch9wavefront6targetE0EEEvT1_.num_vgpr, 0
	.set _ZN7rocprim17ROCPRIM_400000_NS6detail17trampoline_kernelINS0_14default_configENS1_25partition_config_selectorILNS1_17partition_subalgoE8EiNS0_10empty_typeEbEEZZNS1_14partition_implILS5_8ELb0ES3_jPKiPS6_PKS6_NS0_5tupleIJPiS6_EEENSE_IJSB_SB_EEENS0_18inequality_wrapperIN6hipcub16HIPCUB_304000_NS8EqualityEEEPlJS6_EEE10hipError_tPvRmT3_T4_T5_T6_T7_T9_mT8_P12ihipStream_tbDpT10_ENKUlT_T0_E_clISt17integral_constantIbLb0EES16_IbLb1EEEEDaS12_S13_EUlS12_E_NS1_11comp_targetILNS1_3genE2ELNS1_11target_archE906ELNS1_3gpuE6ELNS1_3repE0EEENS1_30default_config_static_selectorELNS0_4arch9wavefront6targetE0EEEvT1_.num_agpr, 0
	.set _ZN7rocprim17ROCPRIM_400000_NS6detail17trampoline_kernelINS0_14default_configENS1_25partition_config_selectorILNS1_17partition_subalgoE8EiNS0_10empty_typeEbEEZZNS1_14partition_implILS5_8ELb0ES3_jPKiPS6_PKS6_NS0_5tupleIJPiS6_EEENSE_IJSB_SB_EEENS0_18inequality_wrapperIN6hipcub16HIPCUB_304000_NS8EqualityEEEPlJS6_EEE10hipError_tPvRmT3_T4_T5_T6_T7_T9_mT8_P12ihipStream_tbDpT10_ENKUlT_T0_E_clISt17integral_constantIbLb0EES16_IbLb1EEEEDaS12_S13_EUlS12_E_NS1_11comp_targetILNS1_3genE2ELNS1_11target_archE906ELNS1_3gpuE6ELNS1_3repE0EEENS1_30default_config_static_selectorELNS0_4arch9wavefront6targetE0EEEvT1_.numbered_sgpr, 0
	.set _ZN7rocprim17ROCPRIM_400000_NS6detail17trampoline_kernelINS0_14default_configENS1_25partition_config_selectorILNS1_17partition_subalgoE8EiNS0_10empty_typeEbEEZZNS1_14partition_implILS5_8ELb0ES3_jPKiPS6_PKS6_NS0_5tupleIJPiS6_EEENSE_IJSB_SB_EEENS0_18inequality_wrapperIN6hipcub16HIPCUB_304000_NS8EqualityEEEPlJS6_EEE10hipError_tPvRmT3_T4_T5_T6_T7_T9_mT8_P12ihipStream_tbDpT10_ENKUlT_T0_E_clISt17integral_constantIbLb0EES16_IbLb1EEEEDaS12_S13_EUlS12_E_NS1_11comp_targetILNS1_3genE2ELNS1_11target_archE906ELNS1_3gpuE6ELNS1_3repE0EEENS1_30default_config_static_selectorELNS0_4arch9wavefront6targetE0EEEvT1_.num_named_barrier, 0
	.set _ZN7rocprim17ROCPRIM_400000_NS6detail17trampoline_kernelINS0_14default_configENS1_25partition_config_selectorILNS1_17partition_subalgoE8EiNS0_10empty_typeEbEEZZNS1_14partition_implILS5_8ELb0ES3_jPKiPS6_PKS6_NS0_5tupleIJPiS6_EEENSE_IJSB_SB_EEENS0_18inequality_wrapperIN6hipcub16HIPCUB_304000_NS8EqualityEEEPlJS6_EEE10hipError_tPvRmT3_T4_T5_T6_T7_T9_mT8_P12ihipStream_tbDpT10_ENKUlT_T0_E_clISt17integral_constantIbLb0EES16_IbLb1EEEEDaS12_S13_EUlS12_E_NS1_11comp_targetILNS1_3genE2ELNS1_11target_archE906ELNS1_3gpuE6ELNS1_3repE0EEENS1_30default_config_static_selectorELNS0_4arch9wavefront6targetE0EEEvT1_.private_seg_size, 0
	.set _ZN7rocprim17ROCPRIM_400000_NS6detail17trampoline_kernelINS0_14default_configENS1_25partition_config_selectorILNS1_17partition_subalgoE8EiNS0_10empty_typeEbEEZZNS1_14partition_implILS5_8ELb0ES3_jPKiPS6_PKS6_NS0_5tupleIJPiS6_EEENSE_IJSB_SB_EEENS0_18inequality_wrapperIN6hipcub16HIPCUB_304000_NS8EqualityEEEPlJS6_EEE10hipError_tPvRmT3_T4_T5_T6_T7_T9_mT8_P12ihipStream_tbDpT10_ENKUlT_T0_E_clISt17integral_constantIbLb0EES16_IbLb1EEEEDaS12_S13_EUlS12_E_NS1_11comp_targetILNS1_3genE2ELNS1_11target_archE906ELNS1_3gpuE6ELNS1_3repE0EEENS1_30default_config_static_selectorELNS0_4arch9wavefront6targetE0EEEvT1_.uses_vcc, 0
	.set _ZN7rocprim17ROCPRIM_400000_NS6detail17trampoline_kernelINS0_14default_configENS1_25partition_config_selectorILNS1_17partition_subalgoE8EiNS0_10empty_typeEbEEZZNS1_14partition_implILS5_8ELb0ES3_jPKiPS6_PKS6_NS0_5tupleIJPiS6_EEENSE_IJSB_SB_EEENS0_18inequality_wrapperIN6hipcub16HIPCUB_304000_NS8EqualityEEEPlJS6_EEE10hipError_tPvRmT3_T4_T5_T6_T7_T9_mT8_P12ihipStream_tbDpT10_ENKUlT_T0_E_clISt17integral_constantIbLb0EES16_IbLb1EEEEDaS12_S13_EUlS12_E_NS1_11comp_targetILNS1_3genE2ELNS1_11target_archE906ELNS1_3gpuE6ELNS1_3repE0EEENS1_30default_config_static_selectorELNS0_4arch9wavefront6targetE0EEEvT1_.uses_flat_scratch, 0
	.set _ZN7rocprim17ROCPRIM_400000_NS6detail17trampoline_kernelINS0_14default_configENS1_25partition_config_selectorILNS1_17partition_subalgoE8EiNS0_10empty_typeEbEEZZNS1_14partition_implILS5_8ELb0ES3_jPKiPS6_PKS6_NS0_5tupleIJPiS6_EEENSE_IJSB_SB_EEENS0_18inequality_wrapperIN6hipcub16HIPCUB_304000_NS8EqualityEEEPlJS6_EEE10hipError_tPvRmT3_T4_T5_T6_T7_T9_mT8_P12ihipStream_tbDpT10_ENKUlT_T0_E_clISt17integral_constantIbLb0EES16_IbLb1EEEEDaS12_S13_EUlS12_E_NS1_11comp_targetILNS1_3genE2ELNS1_11target_archE906ELNS1_3gpuE6ELNS1_3repE0EEENS1_30default_config_static_selectorELNS0_4arch9wavefront6targetE0EEEvT1_.has_dyn_sized_stack, 0
	.set _ZN7rocprim17ROCPRIM_400000_NS6detail17trampoline_kernelINS0_14default_configENS1_25partition_config_selectorILNS1_17partition_subalgoE8EiNS0_10empty_typeEbEEZZNS1_14partition_implILS5_8ELb0ES3_jPKiPS6_PKS6_NS0_5tupleIJPiS6_EEENSE_IJSB_SB_EEENS0_18inequality_wrapperIN6hipcub16HIPCUB_304000_NS8EqualityEEEPlJS6_EEE10hipError_tPvRmT3_T4_T5_T6_T7_T9_mT8_P12ihipStream_tbDpT10_ENKUlT_T0_E_clISt17integral_constantIbLb0EES16_IbLb1EEEEDaS12_S13_EUlS12_E_NS1_11comp_targetILNS1_3genE2ELNS1_11target_archE906ELNS1_3gpuE6ELNS1_3repE0EEENS1_30default_config_static_selectorELNS0_4arch9wavefront6targetE0EEEvT1_.has_recursion, 0
	.set _ZN7rocprim17ROCPRIM_400000_NS6detail17trampoline_kernelINS0_14default_configENS1_25partition_config_selectorILNS1_17partition_subalgoE8EiNS0_10empty_typeEbEEZZNS1_14partition_implILS5_8ELb0ES3_jPKiPS6_PKS6_NS0_5tupleIJPiS6_EEENSE_IJSB_SB_EEENS0_18inequality_wrapperIN6hipcub16HIPCUB_304000_NS8EqualityEEEPlJS6_EEE10hipError_tPvRmT3_T4_T5_T6_T7_T9_mT8_P12ihipStream_tbDpT10_ENKUlT_T0_E_clISt17integral_constantIbLb0EES16_IbLb1EEEEDaS12_S13_EUlS12_E_NS1_11comp_targetILNS1_3genE2ELNS1_11target_archE906ELNS1_3gpuE6ELNS1_3repE0EEENS1_30default_config_static_selectorELNS0_4arch9wavefront6targetE0EEEvT1_.has_indirect_call, 0
	.section	.AMDGPU.csdata,"",@progbits
; Kernel info:
; codeLenInByte = 0
; TotalNumSgprs: 0
; NumVgprs: 0
; ScratchSize: 0
; MemoryBound: 0
; FloatMode: 240
; IeeeMode: 1
; LDSByteSize: 0 bytes/workgroup (compile time only)
; SGPRBlocks: 0
; VGPRBlocks: 0
; NumSGPRsForWavesPerEU: 1
; NumVGPRsForWavesPerEU: 1
; Occupancy: 16
; WaveLimiterHint : 0
; COMPUTE_PGM_RSRC2:SCRATCH_EN: 0
; COMPUTE_PGM_RSRC2:USER_SGPR: 6
; COMPUTE_PGM_RSRC2:TRAP_HANDLER: 0
; COMPUTE_PGM_RSRC2:TGID_X_EN: 1
; COMPUTE_PGM_RSRC2:TGID_Y_EN: 0
; COMPUTE_PGM_RSRC2:TGID_Z_EN: 0
; COMPUTE_PGM_RSRC2:TIDIG_COMP_CNT: 0
	.section	.text._ZN7rocprim17ROCPRIM_400000_NS6detail17trampoline_kernelINS0_14default_configENS1_25partition_config_selectorILNS1_17partition_subalgoE8EiNS0_10empty_typeEbEEZZNS1_14partition_implILS5_8ELb0ES3_jPKiPS6_PKS6_NS0_5tupleIJPiS6_EEENSE_IJSB_SB_EEENS0_18inequality_wrapperIN6hipcub16HIPCUB_304000_NS8EqualityEEEPlJS6_EEE10hipError_tPvRmT3_T4_T5_T6_T7_T9_mT8_P12ihipStream_tbDpT10_ENKUlT_T0_E_clISt17integral_constantIbLb0EES16_IbLb1EEEEDaS12_S13_EUlS12_E_NS1_11comp_targetILNS1_3genE10ELNS1_11target_archE1200ELNS1_3gpuE4ELNS1_3repE0EEENS1_30default_config_static_selectorELNS0_4arch9wavefront6targetE0EEEvT1_,"axG",@progbits,_ZN7rocprim17ROCPRIM_400000_NS6detail17trampoline_kernelINS0_14default_configENS1_25partition_config_selectorILNS1_17partition_subalgoE8EiNS0_10empty_typeEbEEZZNS1_14partition_implILS5_8ELb0ES3_jPKiPS6_PKS6_NS0_5tupleIJPiS6_EEENSE_IJSB_SB_EEENS0_18inequality_wrapperIN6hipcub16HIPCUB_304000_NS8EqualityEEEPlJS6_EEE10hipError_tPvRmT3_T4_T5_T6_T7_T9_mT8_P12ihipStream_tbDpT10_ENKUlT_T0_E_clISt17integral_constantIbLb0EES16_IbLb1EEEEDaS12_S13_EUlS12_E_NS1_11comp_targetILNS1_3genE10ELNS1_11target_archE1200ELNS1_3gpuE4ELNS1_3repE0EEENS1_30default_config_static_selectorELNS0_4arch9wavefront6targetE0EEEvT1_,comdat
	.protected	_ZN7rocprim17ROCPRIM_400000_NS6detail17trampoline_kernelINS0_14default_configENS1_25partition_config_selectorILNS1_17partition_subalgoE8EiNS0_10empty_typeEbEEZZNS1_14partition_implILS5_8ELb0ES3_jPKiPS6_PKS6_NS0_5tupleIJPiS6_EEENSE_IJSB_SB_EEENS0_18inequality_wrapperIN6hipcub16HIPCUB_304000_NS8EqualityEEEPlJS6_EEE10hipError_tPvRmT3_T4_T5_T6_T7_T9_mT8_P12ihipStream_tbDpT10_ENKUlT_T0_E_clISt17integral_constantIbLb0EES16_IbLb1EEEEDaS12_S13_EUlS12_E_NS1_11comp_targetILNS1_3genE10ELNS1_11target_archE1200ELNS1_3gpuE4ELNS1_3repE0EEENS1_30default_config_static_selectorELNS0_4arch9wavefront6targetE0EEEvT1_ ; -- Begin function _ZN7rocprim17ROCPRIM_400000_NS6detail17trampoline_kernelINS0_14default_configENS1_25partition_config_selectorILNS1_17partition_subalgoE8EiNS0_10empty_typeEbEEZZNS1_14partition_implILS5_8ELb0ES3_jPKiPS6_PKS6_NS0_5tupleIJPiS6_EEENSE_IJSB_SB_EEENS0_18inequality_wrapperIN6hipcub16HIPCUB_304000_NS8EqualityEEEPlJS6_EEE10hipError_tPvRmT3_T4_T5_T6_T7_T9_mT8_P12ihipStream_tbDpT10_ENKUlT_T0_E_clISt17integral_constantIbLb0EES16_IbLb1EEEEDaS12_S13_EUlS12_E_NS1_11comp_targetILNS1_3genE10ELNS1_11target_archE1200ELNS1_3gpuE4ELNS1_3repE0EEENS1_30default_config_static_selectorELNS0_4arch9wavefront6targetE0EEEvT1_
	.globl	_ZN7rocprim17ROCPRIM_400000_NS6detail17trampoline_kernelINS0_14default_configENS1_25partition_config_selectorILNS1_17partition_subalgoE8EiNS0_10empty_typeEbEEZZNS1_14partition_implILS5_8ELb0ES3_jPKiPS6_PKS6_NS0_5tupleIJPiS6_EEENSE_IJSB_SB_EEENS0_18inequality_wrapperIN6hipcub16HIPCUB_304000_NS8EqualityEEEPlJS6_EEE10hipError_tPvRmT3_T4_T5_T6_T7_T9_mT8_P12ihipStream_tbDpT10_ENKUlT_T0_E_clISt17integral_constantIbLb0EES16_IbLb1EEEEDaS12_S13_EUlS12_E_NS1_11comp_targetILNS1_3genE10ELNS1_11target_archE1200ELNS1_3gpuE4ELNS1_3repE0EEENS1_30default_config_static_selectorELNS0_4arch9wavefront6targetE0EEEvT1_
	.p2align	8
	.type	_ZN7rocprim17ROCPRIM_400000_NS6detail17trampoline_kernelINS0_14default_configENS1_25partition_config_selectorILNS1_17partition_subalgoE8EiNS0_10empty_typeEbEEZZNS1_14partition_implILS5_8ELb0ES3_jPKiPS6_PKS6_NS0_5tupleIJPiS6_EEENSE_IJSB_SB_EEENS0_18inequality_wrapperIN6hipcub16HIPCUB_304000_NS8EqualityEEEPlJS6_EEE10hipError_tPvRmT3_T4_T5_T6_T7_T9_mT8_P12ihipStream_tbDpT10_ENKUlT_T0_E_clISt17integral_constantIbLb0EES16_IbLb1EEEEDaS12_S13_EUlS12_E_NS1_11comp_targetILNS1_3genE10ELNS1_11target_archE1200ELNS1_3gpuE4ELNS1_3repE0EEENS1_30default_config_static_selectorELNS0_4arch9wavefront6targetE0EEEvT1_,@function
_ZN7rocprim17ROCPRIM_400000_NS6detail17trampoline_kernelINS0_14default_configENS1_25partition_config_selectorILNS1_17partition_subalgoE8EiNS0_10empty_typeEbEEZZNS1_14partition_implILS5_8ELb0ES3_jPKiPS6_PKS6_NS0_5tupleIJPiS6_EEENSE_IJSB_SB_EEENS0_18inequality_wrapperIN6hipcub16HIPCUB_304000_NS8EqualityEEEPlJS6_EEE10hipError_tPvRmT3_T4_T5_T6_T7_T9_mT8_P12ihipStream_tbDpT10_ENKUlT_T0_E_clISt17integral_constantIbLb0EES16_IbLb1EEEEDaS12_S13_EUlS12_E_NS1_11comp_targetILNS1_3genE10ELNS1_11target_archE1200ELNS1_3gpuE4ELNS1_3repE0EEENS1_30default_config_static_selectorELNS0_4arch9wavefront6targetE0EEEvT1_: ; @_ZN7rocprim17ROCPRIM_400000_NS6detail17trampoline_kernelINS0_14default_configENS1_25partition_config_selectorILNS1_17partition_subalgoE8EiNS0_10empty_typeEbEEZZNS1_14partition_implILS5_8ELb0ES3_jPKiPS6_PKS6_NS0_5tupleIJPiS6_EEENSE_IJSB_SB_EEENS0_18inequality_wrapperIN6hipcub16HIPCUB_304000_NS8EqualityEEEPlJS6_EEE10hipError_tPvRmT3_T4_T5_T6_T7_T9_mT8_P12ihipStream_tbDpT10_ENKUlT_T0_E_clISt17integral_constantIbLb0EES16_IbLb1EEEEDaS12_S13_EUlS12_E_NS1_11comp_targetILNS1_3genE10ELNS1_11target_archE1200ELNS1_3gpuE4ELNS1_3repE0EEENS1_30default_config_static_selectorELNS0_4arch9wavefront6targetE0EEEvT1_
; %bb.0:
	.section	.rodata,"a",@progbits
	.p2align	6, 0x0
	.amdhsa_kernel _ZN7rocprim17ROCPRIM_400000_NS6detail17trampoline_kernelINS0_14default_configENS1_25partition_config_selectorILNS1_17partition_subalgoE8EiNS0_10empty_typeEbEEZZNS1_14partition_implILS5_8ELb0ES3_jPKiPS6_PKS6_NS0_5tupleIJPiS6_EEENSE_IJSB_SB_EEENS0_18inequality_wrapperIN6hipcub16HIPCUB_304000_NS8EqualityEEEPlJS6_EEE10hipError_tPvRmT3_T4_T5_T6_T7_T9_mT8_P12ihipStream_tbDpT10_ENKUlT_T0_E_clISt17integral_constantIbLb0EES16_IbLb1EEEEDaS12_S13_EUlS12_E_NS1_11comp_targetILNS1_3genE10ELNS1_11target_archE1200ELNS1_3gpuE4ELNS1_3repE0EEENS1_30default_config_static_selectorELNS0_4arch9wavefront6targetE0EEEvT1_
		.amdhsa_group_segment_fixed_size 0
		.amdhsa_private_segment_fixed_size 0
		.amdhsa_kernarg_size 128
		.amdhsa_user_sgpr_count 6
		.amdhsa_user_sgpr_private_segment_buffer 1
		.amdhsa_user_sgpr_dispatch_ptr 0
		.amdhsa_user_sgpr_queue_ptr 0
		.amdhsa_user_sgpr_kernarg_segment_ptr 1
		.amdhsa_user_sgpr_dispatch_id 0
		.amdhsa_user_sgpr_flat_scratch_init 0
		.amdhsa_user_sgpr_private_segment_size 0
		.amdhsa_wavefront_size32 1
		.amdhsa_uses_dynamic_stack 0
		.amdhsa_system_sgpr_private_segment_wavefront_offset 0
		.amdhsa_system_sgpr_workgroup_id_x 1
		.amdhsa_system_sgpr_workgroup_id_y 0
		.amdhsa_system_sgpr_workgroup_id_z 0
		.amdhsa_system_sgpr_workgroup_info 0
		.amdhsa_system_vgpr_workitem_id 0
		.amdhsa_next_free_vgpr 1
		.amdhsa_next_free_sgpr 1
		.amdhsa_reserve_vcc 0
		.amdhsa_reserve_flat_scratch 0
		.amdhsa_float_round_mode_32 0
		.amdhsa_float_round_mode_16_64 0
		.amdhsa_float_denorm_mode_32 3
		.amdhsa_float_denorm_mode_16_64 3
		.amdhsa_dx10_clamp 1
		.amdhsa_ieee_mode 1
		.amdhsa_fp16_overflow 0
		.amdhsa_workgroup_processor_mode 1
		.amdhsa_memory_ordered 1
		.amdhsa_forward_progress 1
		.amdhsa_shared_vgpr_count 0
		.amdhsa_exception_fp_ieee_invalid_op 0
		.amdhsa_exception_fp_denorm_src 0
		.amdhsa_exception_fp_ieee_div_zero 0
		.amdhsa_exception_fp_ieee_overflow 0
		.amdhsa_exception_fp_ieee_underflow 0
		.amdhsa_exception_fp_ieee_inexact 0
		.amdhsa_exception_int_div_zero 0
	.end_amdhsa_kernel
	.section	.text._ZN7rocprim17ROCPRIM_400000_NS6detail17trampoline_kernelINS0_14default_configENS1_25partition_config_selectorILNS1_17partition_subalgoE8EiNS0_10empty_typeEbEEZZNS1_14partition_implILS5_8ELb0ES3_jPKiPS6_PKS6_NS0_5tupleIJPiS6_EEENSE_IJSB_SB_EEENS0_18inequality_wrapperIN6hipcub16HIPCUB_304000_NS8EqualityEEEPlJS6_EEE10hipError_tPvRmT3_T4_T5_T6_T7_T9_mT8_P12ihipStream_tbDpT10_ENKUlT_T0_E_clISt17integral_constantIbLb0EES16_IbLb1EEEEDaS12_S13_EUlS12_E_NS1_11comp_targetILNS1_3genE10ELNS1_11target_archE1200ELNS1_3gpuE4ELNS1_3repE0EEENS1_30default_config_static_selectorELNS0_4arch9wavefront6targetE0EEEvT1_,"axG",@progbits,_ZN7rocprim17ROCPRIM_400000_NS6detail17trampoline_kernelINS0_14default_configENS1_25partition_config_selectorILNS1_17partition_subalgoE8EiNS0_10empty_typeEbEEZZNS1_14partition_implILS5_8ELb0ES3_jPKiPS6_PKS6_NS0_5tupleIJPiS6_EEENSE_IJSB_SB_EEENS0_18inequality_wrapperIN6hipcub16HIPCUB_304000_NS8EqualityEEEPlJS6_EEE10hipError_tPvRmT3_T4_T5_T6_T7_T9_mT8_P12ihipStream_tbDpT10_ENKUlT_T0_E_clISt17integral_constantIbLb0EES16_IbLb1EEEEDaS12_S13_EUlS12_E_NS1_11comp_targetILNS1_3genE10ELNS1_11target_archE1200ELNS1_3gpuE4ELNS1_3repE0EEENS1_30default_config_static_selectorELNS0_4arch9wavefront6targetE0EEEvT1_,comdat
.Lfunc_end218:
	.size	_ZN7rocprim17ROCPRIM_400000_NS6detail17trampoline_kernelINS0_14default_configENS1_25partition_config_selectorILNS1_17partition_subalgoE8EiNS0_10empty_typeEbEEZZNS1_14partition_implILS5_8ELb0ES3_jPKiPS6_PKS6_NS0_5tupleIJPiS6_EEENSE_IJSB_SB_EEENS0_18inequality_wrapperIN6hipcub16HIPCUB_304000_NS8EqualityEEEPlJS6_EEE10hipError_tPvRmT3_T4_T5_T6_T7_T9_mT8_P12ihipStream_tbDpT10_ENKUlT_T0_E_clISt17integral_constantIbLb0EES16_IbLb1EEEEDaS12_S13_EUlS12_E_NS1_11comp_targetILNS1_3genE10ELNS1_11target_archE1200ELNS1_3gpuE4ELNS1_3repE0EEENS1_30default_config_static_selectorELNS0_4arch9wavefront6targetE0EEEvT1_, .Lfunc_end218-_ZN7rocprim17ROCPRIM_400000_NS6detail17trampoline_kernelINS0_14default_configENS1_25partition_config_selectorILNS1_17partition_subalgoE8EiNS0_10empty_typeEbEEZZNS1_14partition_implILS5_8ELb0ES3_jPKiPS6_PKS6_NS0_5tupleIJPiS6_EEENSE_IJSB_SB_EEENS0_18inequality_wrapperIN6hipcub16HIPCUB_304000_NS8EqualityEEEPlJS6_EEE10hipError_tPvRmT3_T4_T5_T6_T7_T9_mT8_P12ihipStream_tbDpT10_ENKUlT_T0_E_clISt17integral_constantIbLb0EES16_IbLb1EEEEDaS12_S13_EUlS12_E_NS1_11comp_targetILNS1_3genE10ELNS1_11target_archE1200ELNS1_3gpuE4ELNS1_3repE0EEENS1_30default_config_static_selectorELNS0_4arch9wavefront6targetE0EEEvT1_
                                        ; -- End function
	.set _ZN7rocprim17ROCPRIM_400000_NS6detail17trampoline_kernelINS0_14default_configENS1_25partition_config_selectorILNS1_17partition_subalgoE8EiNS0_10empty_typeEbEEZZNS1_14partition_implILS5_8ELb0ES3_jPKiPS6_PKS6_NS0_5tupleIJPiS6_EEENSE_IJSB_SB_EEENS0_18inequality_wrapperIN6hipcub16HIPCUB_304000_NS8EqualityEEEPlJS6_EEE10hipError_tPvRmT3_T4_T5_T6_T7_T9_mT8_P12ihipStream_tbDpT10_ENKUlT_T0_E_clISt17integral_constantIbLb0EES16_IbLb1EEEEDaS12_S13_EUlS12_E_NS1_11comp_targetILNS1_3genE10ELNS1_11target_archE1200ELNS1_3gpuE4ELNS1_3repE0EEENS1_30default_config_static_selectorELNS0_4arch9wavefront6targetE0EEEvT1_.num_vgpr, 0
	.set _ZN7rocprim17ROCPRIM_400000_NS6detail17trampoline_kernelINS0_14default_configENS1_25partition_config_selectorILNS1_17partition_subalgoE8EiNS0_10empty_typeEbEEZZNS1_14partition_implILS5_8ELb0ES3_jPKiPS6_PKS6_NS0_5tupleIJPiS6_EEENSE_IJSB_SB_EEENS0_18inequality_wrapperIN6hipcub16HIPCUB_304000_NS8EqualityEEEPlJS6_EEE10hipError_tPvRmT3_T4_T5_T6_T7_T9_mT8_P12ihipStream_tbDpT10_ENKUlT_T0_E_clISt17integral_constantIbLb0EES16_IbLb1EEEEDaS12_S13_EUlS12_E_NS1_11comp_targetILNS1_3genE10ELNS1_11target_archE1200ELNS1_3gpuE4ELNS1_3repE0EEENS1_30default_config_static_selectorELNS0_4arch9wavefront6targetE0EEEvT1_.num_agpr, 0
	.set _ZN7rocprim17ROCPRIM_400000_NS6detail17trampoline_kernelINS0_14default_configENS1_25partition_config_selectorILNS1_17partition_subalgoE8EiNS0_10empty_typeEbEEZZNS1_14partition_implILS5_8ELb0ES3_jPKiPS6_PKS6_NS0_5tupleIJPiS6_EEENSE_IJSB_SB_EEENS0_18inequality_wrapperIN6hipcub16HIPCUB_304000_NS8EqualityEEEPlJS6_EEE10hipError_tPvRmT3_T4_T5_T6_T7_T9_mT8_P12ihipStream_tbDpT10_ENKUlT_T0_E_clISt17integral_constantIbLb0EES16_IbLb1EEEEDaS12_S13_EUlS12_E_NS1_11comp_targetILNS1_3genE10ELNS1_11target_archE1200ELNS1_3gpuE4ELNS1_3repE0EEENS1_30default_config_static_selectorELNS0_4arch9wavefront6targetE0EEEvT1_.numbered_sgpr, 0
	.set _ZN7rocprim17ROCPRIM_400000_NS6detail17trampoline_kernelINS0_14default_configENS1_25partition_config_selectorILNS1_17partition_subalgoE8EiNS0_10empty_typeEbEEZZNS1_14partition_implILS5_8ELb0ES3_jPKiPS6_PKS6_NS0_5tupleIJPiS6_EEENSE_IJSB_SB_EEENS0_18inequality_wrapperIN6hipcub16HIPCUB_304000_NS8EqualityEEEPlJS6_EEE10hipError_tPvRmT3_T4_T5_T6_T7_T9_mT8_P12ihipStream_tbDpT10_ENKUlT_T0_E_clISt17integral_constantIbLb0EES16_IbLb1EEEEDaS12_S13_EUlS12_E_NS1_11comp_targetILNS1_3genE10ELNS1_11target_archE1200ELNS1_3gpuE4ELNS1_3repE0EEENS1_30default_config_static_selectorELNS0_4arch9wavefront6targetE0EEEvT1_.num_named_barrier, 0
	.set _ZN7rocprim17ROCPRIM_400000_NS6detail17trampoline_kernelINS0_14default_configENS1_25partition_config_selectorILNS1_17partition_subalgoE8EiNS0_10empty_typeEbEEZZNS1_14partition_implILS5_8ELb0ES3_jPKiPS6_PKS6_NS0_5tupleIJPiS6_EEENSE_IJSB_SB_EEENS0_18inequality_wrapperIN6hipcub16HIPCUB_304000_NS8EqualityEEEPlJS6_EEE10hipError_tPvRmT3_T4_T5_T6_T7_T9_mT8_P12ihipStream_tbDpT10_ENKUlT_T0_E_clISt17integral_constantIbLb0EES16_IbLb1EEEEDaS12_S13_EUlS12_E_NS1_11comp_targetILNS1_3genE10ELNS1_11target_archE1200ELNS1_3gpuE4ELNS1_3repE0EEENS1_30default_config_static_selectorELNS0_4arch9wavefront6targetE0EEEvT1_.private_seg_size, 0
	.set _ZN7rocprim17ROCPRIM_400000_NS6detail17trampoline_kernelINS0_14default_configENS1_25partition_config_selectorILNS1_17partition_subalgoE8EiNS0_10empty_typeEbEEZZNS1_14partition_implILS5_8ELb0ES3_jPKiPS6_PKS6_NS0_5tupleIJPiS6_EEENSE_IJSB_SB_EEENS0_18inequality_wrapperIN6hipcub16HIPCUB_304000_NS8EqualityEEEPlJS6_EEE10hipError_tPvRmT3_T4_T5_T6_T7_T9_mT8_P12ihipStream_tbDpT10_ENKUlT_T0_E_clISt17integral_constantIbLb0EES16_IbLb1EEEEDaS12_S13_EUlS12_E_NS1_11comp_targetILNS1_3genE10ELNS1_11target_archE1200ELNS1_3gpuE4ELNS1_3repE0EEENS1_30default_config_static_selectorELNS0_4arch9wavefront6targetE0EEEvT1_.uses_vcc, 0
	.set _ZN7rocprim17ROCPRIM_400000_NS6detail17trampoline_kernelINS0_14default_configENS1_25partition_config_selectorILNS1_17partition_subalgoE8EiNS0_10empty_typeEbEEZZNS1_14partition_implILS5_8ELb0ES3_jPKiPS6_PKS6_NS0_5tupleIJPiS6_EEENSE_IJSB_SB_EEENS0_18inequality_wrapperIN6hipcub16HIPCUB_304000_NS8EqualityEEEPlJS6_EEE10hipError_tPvRmT3_T4_T5_T6_T7_T9_mT8_P12ihipStream_tbDpT10_ENKUlT_T0_E_clISt17integral_constantIbLb0EES16_IbLb1EEEEDaS12_S13_EUlS12_E_NS1_11comp_targetILNS1_3genE10ELNS1_11target_archE1200ELNS1_3gpuE4ELNS1_3repE0EEENS1_30default_config_static_selectorELNS0_4arch9wavefront6targetE0EEEvT1_.uses_flat_scratch, 0
	.set _ZN7rocprim17ROCPRIM_400000_NS6detail17trampoline_kernelINS0_14default_configENS1_25partition_config_selectorILNS1_17partition_subalgoE8EiNS0_10empty_typeEbEEZZNS1_14partition_implILS5_8ELb0ES3_jPKiPS6_PKS6_NS0_5tupleIJPiS6_EEENSE_IJSB_SB_EEENS0_18inequality_wrapperIN6hipcub16HIPCUB_304000_NS8EqualityEEEPlJS6_EEE10hipError_tPvRmT3_T4_T5_T6_T7_T9_mT8_P12ihipStream_tbDpT10_ENKUlT_T0_E_clISt17integral_constantIbLb0EES16_IbLb1EEEEDaS12_S13_EUlS12_E_NS1_11comp_targetILNS1_3genE10ELNS1_11target_archE1200ELNS1_3gpuE4ELNS1_3repE0EEENS1_30default_config_static_selectorELNS0_4arch9wavefront6targetE0EEEvT1_.has_dyn_sized_stack, 0
	.set _ZN7rocprim17ROCPRIM_400000_NS6detail17trampoline_kernelINS0_14default_configENS1_25partition_config_selectorILNS1_17partition_subalgoE8EiNS0_10empty_typeEbEEZZNS1_14partition_implILS5_8ELb0ES3_jPKiPS6_PKS6_NS0_5tupleIJPiS6_EEENSE_IJSB_SB_EEENS0_18inequality_wrapperIN6hipcub16HIPCUB_304000_NS8EqualityEEEPlJS6_EEE10hipError_tPvRmT3_T4_T5_T6_T7_T9_mT8_P12ihipStream_tbDpT10_ENKUlT_T0_E_clISt17integral_constantIbLb0EES16_IbLb1EEEEDaS12_S13_EUlS12_E_NS1_11comp_targetILNS1_3genE10ELNS1_11target_archE1200ELNS1_3gpuE4ELNS1_3repE0EEENS1_30default_config_static_selectorELNS0_4arch9wavefront6targetE0EEEvT1_.has_recursion, 0
	.set _ZN7rocprim17ROCPRIM_400000_NS6detail17trampoline_kernelINS0_14default_configENS1_25partition_config_selectorILNS1_17partition_subalgoE8EiNS0_10empty_typeEbEEZZNS1_14partition_implILS5_8ELb0ES3_jPKiPS6_PKS6_NS0_5tupleIJPiS6_EEENSE_IJSB_SB_EEENS0_18inequality_wrapperIN6hipcub16HIPCUB_304000_NS8EqualityEEEPlJS6_EEE10hipError_tPvRmT3_T4_T5_T6_T7_T9_mT8_P12ihipStream_tbDpT10_ENKUlT_T0_E_clISt17integral_constantIbLb0EES16_IbLb1EEEEDaS12_S13_EUlS12_E_NS1_11comp_targetILNS1_3genE10ELNS1_11target_archE1200ELNS1_3gpuE4ELNS1_3repE0EEENS1_30default_config_static_selectorELNS0_4arch9wavefront6targetE0EEEvT1_.has_indirect_call, 0
	.section	.AMDGPU.csdata,"",@progbits
; Kernel info:
; codeLenInByte = 0
; TotalNumSgprs: 0
; NumVgprs: 0
; ScratchSize: 0
; MemoryBound: 0
; FloatMode: 240
; IeeeMode: 1
; LDSByteSize: 0 bytes/workgroup (compile time only)
; SGPRBlocks: 0
; VGPRBlocks: 0
; NumSGPRsForWavesPerEU: 1
; NumVGPRsForWavesPerEU: 1
; Occupancy: 16
; WaveLimiterHint : 0
; COMPUTE_PGM_RSRC2:SCRATCH_EN: 0
; COMPUTE_PGM_RSRC2:USER_SGPR: 6
; COMPUTE_PGM_RSRC2:TRAP_HANDLER: 0
; COMPUTE_PGM_RSRC2:TGID_X_EN: 1
; COMPUTE_PGM_RSRC2:TGID_Y_EN: 0
; COMPUTE_PGM_RSRC2:TGID_Z_EN: 0
; COMPUTE_PGM_RSRC2:TIDIG_COMP_CNT: 0
	.section	.text._ZN7rocprim17ROCPRIM_400000_NS6detail17trampoline_kernelINS0_14default_configENS1_25partition_config_selectorILNS1_17partition_subalgoE8EiNS0_10empty_typeEbEEZZNS1_14partition_implILS5_8ELb0ES3_jPKiPS6_PKS6_NS0_5tupleIJPiS6_EEENSE_IJSB_SB_EEENS0_18inequality_wrapperIN6hipcub16HIPCUB_304000_NS8EqualityEEEPlJS6_EEE10hipError_tPvRmT3_T4_T5_T6_T7_T9_mT8_P12ihipStream_tbDpT10_ENKUlT_T0_E_clISt17integral_constantIbLb0EES16_IbLb1EEEEDaS12_S13_EUlS12_E_NS1_11comp_targetILNS1_3genE9ELNS1_11target_archE1100ELNS1_3gpuE3ELNS1_3repE0EEENS1_30default_config_static_selectorELNS0_4arch9wavefront6targetE0EEEvT1_,"axG",@progbits,_ZN7rocprim17ROCPRIM_400000_NS6detail17trampoline_kernelINS0_14default_configENS1_25partition_config_selectorILNS1_17partition_subalgoE8EiNS0_10empty_typeEbEEZZNS1_14partition_implILS5_8ELb0ES3_jPKiPS6_PKS6_NS0_5tupleIJPiS6_EEENSE_IJSB_SB_EEENS0_18inequality_wrapperIN6hipcub16HIPCUB_304000_NS8EqualityEEEPlJS6_EEE10hipError_tPvRmT3_T4_T5_T6_T7_T9_mT8_P12ihipStream_tbDpT10_ENKUlT_T0_E_clISt17integral_constantIbLb0EES16_IbLb1EEEEDaS12_S13_EUlS12_E_NS1_11comp_targetILNS1_3genE9ELNS1_11target_archE1100ELNS1_3gpuE3ELNS1_3repE0EEENS1_30default_config_static_selectorELNS0_4arch9wavefront6targetE0EEEvT1_,comdat
	.protected	_ZN7rocprim17ROCPRIM_400000_NS6detail17trampoline_kernelINS0_14default_configENS1_25partition_config_selectorILNS1_17partition_subalgoE8EiNS0_10empty_typeEbEEZZNS1_14partition_implILS5_8ELb0ES3_jPKiPS6_PKS6_NS0_5tupleIJPiS6_EEENSE_IJSB_SB_EEENS0_18inequality_wrapperIN6hipcub16HIPCUB_304000_NS8EqualityEEEPlJS6_EEE10hipError_tPvRmT3_T4_T5_T6_T7_T9_mT8_P12ihipStream_tbDpT10_ENKUlT_T0_E_clISt17integral_constantIbLb0EES16_IbLb1EEEEDaS12_S13_EUlS12_E_NS1_11comp_targetILNS1_3genE9ELNS1_11target_archE1100ELNS1_3gpuE3ELNS1_3repE0EEENS1_30default_config_static_selectorELNS0_4arch9wavefront6targetE0EEEvT1_ ; -- Begin function _ZN7rocprim17ROCPRIM_400000_NS6detail17trampoline_kernelINS0_14default_configENS1_25partition_config_selectorILNS1_17partition_subalgoE8EiNS0_10empty_typeEbEEZZNS1_14partition_implILS5_8ELb0ES3_jPKiPS6_PKS6_NS0_5tupleIJPiS6_EEENSE_IJSB_SB_EEENS0_18inequality_wrapperIN6hipcub16HIPCUB_304000_NS8EqualityEEEPlJS6_EEE10hipError_tPvRmT3_T4_T5_T6_T7_T9_mT8_P12ihipStream_tbDpT10_ENKUlT_T0_E_clISt17integral_constantIbLb0EES16_IbLb1EEEEDaS12_S13_EUlS12_E_NS1_11comp_targetILNS1_3genE9ELNS1_11target_archE1100ELNS1_3gpuE3ELNS1_3repE0EEENS1_30default_config_static_selectorELNS0_4arch9wavefront6targetE0EEEvT1_
	.globl	_ZN7rocprim17ROCPRIM_400000_NS6detail17trampoline_kernelINS0_14default_configENS1_25partition_config_selectorILNS1_17partition_subalgoE8EiNS0_10empty_typeEbEEZZNS1_14partition_implILS5_8ELb0ES3_jPKiPS6_PKS6_NS0_5tupleIJPiS6_EEENSE_IJSB_SB_EEENS0_18inequality_wrapperIN6hipcub16HIPCUB_304000_NS8EqualityEEEPlJS6_EEE10hipError_tPvRmT3_T4_T5_T6_T7_T9_mT8_P12ihipStream_tbDpT10_ENKUlT_T0_E_clISt17integral_constantIbLb0EES16_IbLb1EEEEDaS12_S13_EUlS12_E_NS1_11comp_targetILNS1_3genE9ELNS1_11target_archE1100ELNS1_3gpuE3ELNS1_3repE0EEENS1_30default_config_static_selectorELNS0_4arch9wavefront6targetE0EEEvT1_
	.p2align	8
	.type	_ZN7rocprim17ROCPRIM_400000_NS6detail17trampoline_kernelINS0_14default_configENS1_25partition_config_selectorILNS1_17partition_subalgoE8EiNS0_10empty_typeEbEEZZNS1_14partition_implILS5_8ELb0ES3_jPKiPS6_PKS6_NS0_5tupleIJPiS6_EEENSE_IJSB_SB_EEENS0_18inequality_wrapperIN6hipcub16HIPCUB_304000_NS8EqualityEEEPlJS6_EEE10hipError_tPvRmT3_T4_T5_T6_T7_T9_mT8_P12ihipStream_tbDpT10_ENKUlT_T0_E_clISt17integral_constantIbLb0EES16_IbLb1EEEEDaS12_S13_EUlS12_E_NS1_11comp_targetILNS1_3genE9ELNS1_11target_archE1100ELNS1_3gpuE3ELNS1_3repE0EEENS1_30default_config_static_selectorELNS0_4arch9wavefront6targetE0EEEvT1_,@function
_ZN7rocprim17ROCPRIM_400000_NS6detail17trampoline_kernelINS0_14default_configENS1_25partition_config_selectorILNS1_17partition_subalgoE8EiNS0_10empty_typeEbEEZZNS1_14partition_implILS5_8ELb0ES3_jPKiPS6_PKS6_NS0_5tupleIJPiS6_EEENSE_IJSB_SB_EEENS0_18inequality_wrapperIN6hipcub16HIPCUB_304000_NS8EqualityEEEPlJS6_EEE10hipError_tPvRmT3_T4_T5_T6_T7_T9_mT8_P12ihipStream_tbDpT10_ENKUlT_T0_E_clISt17integral_constantIbLb0EES16_IbLb1EEEEDaS12_S13_EUlS12_E_NS1_11comp_targetILNS1_3genE9ELNS1_11target_archE1100ELNS1_3gpuE3ELNS1_3repE0EEENS1_30default_config_static_selectorELNS0_4arch9wavefront6targetE0EEEvT1_: ; @_ZN7rocprim17ROCPRIM_400000_NS6detail17trampoline_kernelINS0_14default_configENS1_25partition_config_selectorILNS1_17partition_subalgoE8EiNS0_10empty_typeEbEEZZNS1_14partition_implILS5_8ELb0ES3_jPKiPS6_PKS6_NS0_5tupleIJPiS6_EEENSE_IJSB_SB_EEENS0_18inequality_wrapperIN6hipcub16HIPCUB_304000_NS8EqualityEEEPlJS6_EEE10hipError_tPvRmT3_T4_T5_T6_T7_T9_mT8_P12ihipStream_tbDpT10_ENKUlT_T0_E_clISt17integral_constantIbLb0EES16_IbLb1EEEEDaS12_S13_EUlS12_E_NS1_11comp_targetILNS1_3genE9ELNS1_11target_archE1100ELNS1_3gpuE3ELNS1_3repE0EEENS1_30default_config_static_selectorELNS0_4arch9wavefront6targetE0EEEvT1_
; %bb.0:
	.section	.rodata,"a",@progbits
	.p2align	6, 0x0
	.amdhsa_kernel _ZN7rocprim17ROCPRIM_400000_NS6detail17trampoline_kernelINS0_14default_configENS1_25partition_config_selectorILNS1_17partition_subalgoE8EiNS0_10empty_typeEbEEZZNS1_14partition_implILS5_8ELb0ES3_jPKiPS6_PKS6_NS0_5tupleIJPiS6_EEENSE_IJSB_SB_EEENS0_18inequality_wrapperIN6hipcub16HIPCUB_304000_NS8EqualityEEEPlJS6_EEE10hipError_tPvRmT3_T4_T5_T6_T7_T9_mT8_P12ihipStream_tbDpT10_ENKUlT_T0_E_clISt17integral_constantIbLb0EES16_IbLb1EEEEDaS12_S13_EUlS12_E_NS1_11comp_targetILNS1_3genE9ELNS1_11target_archE1100ELNS1_3gpuE3ELNS1_3repE0EEENS1_30default_config_static_selectorELNS0_4arch9wavefront6targetE0EEEvT1_
		.amdhsa_group_segment_fixed_size 0
		.amdhsa_private_segment_fixed_size 0
		.amdhsa_kernarg_size 128
		.amdhsa_user_sgpr_count 6
		.amdhsa_user_sgpr_private_segment_buffer 1
		.amdhsa_user_sgpr_dispatch_ptr 0
		.amdhsa_user_sgpr_queue_ptr 0
		.amdhsa_user_sgpr_kernarg_segment_ptr 1
		.amdhsa_user_sgpr_dispatch_id 0
		.amdhsa_user_sgpr_flat_scratch_init 0
		.amdhsa_user_sgpr_private_segment_size 0
		.amdhsa_wavefront_size32 1
		.amdhsa_uses_dynamic_stack 0
		.amdhsa_system_sgpr_private_segment_wavefront_offset 0
		.amdhsa_system_sgpr_workgroup_id_x 1
		.amdhsa_system_sgpr_workgroup_id_y 0
		.amdhsa_system_sgpr_workgroup_id_z 0
		.amdhsa_system_sgpr_workgroup_info 0
		.amdhsa_system_vgpr_workitem_id 0
		.amdhsa_next_free_vgpr 1
		.amdhsa_next_free_sgpr 1
		.amdhsa_reserve_vcc 0
		.amdhsa_reserve_flat_scratch 0
		.amdhsa_float_round_mode_32 0
		.amdhsa_float_round_mode_16_64 0
		.amdhsa_float_denorm_mode_32 3
		.amdhsa_float_denorm_mode_16_64 3
		.amdhsa_dx10_clamp 1
		.amdhsa_ieee_mode 1
		.amdhsa_fp16_overflow 0
		.amdhsa_workgroup_processor_mode 1
		.amdhsa_memory_ordered 1
		.amdhsa_forward_progress 1
		.amdhsa_shared_vgpr_count 0
		.amdhsa_exception_fp_ieee_invalid_op 0
		.amdhsa_exception_fp_denorm_src 0
		.amdhsa_exception_fp_ieee_div_zero 0
		.amdhsa_exception_fp_ieee_overflow 0
		.amdhsa_exception_fp_ieee_underflow 0
		.amdhsa_exception_fp_ieee_inexact 0
		.amdhsa_exception_int_div_zero 0
	.end_amdhsa_kernel
	.section	.text._ZN7rocprim17ROCPRIM_400000_NS6detail17trampoline_kernelINS0_14default_configENS1_25partition_config_selectorILNS1_17partition_subalgoE8EiNS0_10empty_typeEbEEZZNS1_14partition_implILS5_8ELb0ES3_jPKiPS6_PKS6_NS0_5tupleIJPiS6_EEENSE_IJSB_SB_EEENS0_18inequality_wrapperIN6hipcub16HIPCUB_304000_NS8EqualityEEEPlJS6_EEE10hipError_tPvRmT3_T4_T5_T6_T7_T9_mT8_P12ihipStream_tbDpT10_ENKUlT_T0_E_clISt17integral_constantIbLb0EES16_IbLb1EEEEDaS12_S13_EUlS12_E_NS1_11comp_targetILNS1_3genE9ELNS1_11target_archE1100ELNS1_3gpuE3ELNS1_3repE0EEENS1_30default_config_static_selectorELNS0_4arch9wavefront6targetE0EEEvT1_,"axG",@progbits,_ZN7rocprim17ROCPRIM_400000_NS6detail17trampoline_kernelINS0_14default_configENS1_25partition_config_selectorILNS1_17partition_subalgoE8EiNS0_10empty_typeEbEEZZNS1_14partition_implILS5_8ELb0ES3_jPKiPS6_PKS6_NS0_5tupleIJPiS6_EEENSE_IJSB_SB_EEENS0_18inequality_wrapperIN6hipcub16HIPCUB_304000_NS8EqualityEEEPlJS6_EEE10hipError_tPvRmT3_T4_T5_T6_T7_T9_mT8_P12ihipStream_tbDpT10_ENKUlT_T0_E_clISt17integral_constantIbLb0EES16_IbLb1EEEEDaS12_S13_EUlS12_E_NS1_11comp_targetILNS1_3genE9ELNS1_11target_archE1100ELNS1_3gpuE3ELNS1_3repE0EEENS1_30default_config_static_selectorELNS0_4arch9wavefront6targetE0EEEvT1_,comdat
.Lfunc_end219:
	.size	_ZN7rocprim17ROCPRIM_400000_NS6detail17trampoline_kernelINS0_14default_configENS1_25partition_config_selectorILNS1_17partition_subalgoE8EiNS0_10empty_typeEbEEZZNS1_14partition_implILS5_8ELb0ES3_jPKiPS6_PKS6_NS0_5tupleIJPiS6_EEENSE_IJSB_SB_EEENS0_18inequality_wrapperIN6hipcub16HIPCUB_304000_NS8EqualityEEEPlJS6_EEE10hipError_tPvRmT3_T4_T5_T6_T7_T9_mT8_P12ihipStream_tbDpT10_ENKUlT_T0_E_clISt17integral_constantIbLb0EES16_IbLb1EEEEDaS12_S13_EUlS12_E_NS1_11comp_targetILNS1_3genE9ELNS1_11target_archE1100ELNS1_3gpuE3ELNS1_3repE0EEENS1_30default_config_static_selectorELNS0_4arch9wavefront6targetE0EEEvT1_, .Lfunc_end219-_ZN7rocprim17ROCPRIM_400000_NS6detail17trampoline_kernelINS0_14default_configENS1_25partition_config_selectorILNS1_17partition_subalgoE8EiNS0_10empty_typeEbEEZZNS1_14partition_implILS5_8ELb0ES3_jPKiPS6_PKS6_NS0_5tupleIJPiS6_EEENSE_IJSB_SB_EEENS0_18inequality_wrapperIN6hipcub16HIPCUB_304000_NS8EqualityEEEPlJS6_EEE10hipError_tPvRmT3_T4_T5_T6_T7_T9_mT8_P12ihipStream_tbDpT10_ENKUlT_T0_E_clISt17integral_constantIbLb0EES16_IbLb1EEEEDaS12_S13_EUlS12_E_NS1_11comp_targetILNS1_3genE9ELNS1_11target_archE1100ELNS1_3gpuE3ELNS1_3repE0EEENS1_30default_config_static_selectorELNS0_4arch9wavefront6targetE0EEEvT1_
                                        ; -- End function
	.set _ZN7rocprim17ROCPRIM_400000_NS6detail17trampoline_kernelINS0_14default_configENS1_25partition_config_selectorILNS1_17partition_subalgoE8EiNS0_10empty_typeEbEEZZNS1_14partition_implILS5_8ELb0ES3_jPKiPS6_PKS6_NS0_5tupleIJPiS6_EEENSE_IJSB_SB_EEENS0_18inequality_wrapperIN6hipcub16HIPCUB_304000_NS8EqualityEEEPlJS6_EEE10hipError_tPvRmT3_T4_T5_T6_T7_T9_mT8_P12ihipStream_tbDpT10_ENKUlT_T0_E_clISt17integral_constantIbLb0EES16_IbLb1EEEEDaS12_S13_EUlS12_E_NS1_11comp_targetILNS1_3genE9ELNS1_11target_archE1100ELNS1_3gpuE3ELNS1_3repE0EEENS1_30default_config_static_selectorELNS0_4arch9wavefront6targetE0EEEvT1_.num_vgpr, 0
	.set _ZN7rocprim17ROCPRIM_400000_NS6detail17trampoline_kernelINS0_14default_configENS1_25partition_config_selectorILNS1_17partition_subalgoE8EiNS0_10empty_typeEbEEZZNS1_14partition_implILS5_8ELb0ES3_jPKiPS6_PKS6_NS0_5tupleIJPiS6_EEENSE_IJSB_SB_EEENS0_18inequality_wrapperIN6hipcub16HIPCUB_304000_NS8EqualityEEEPlJS6_EEE10hipError_tPvRmT3_T4_T5_T6_T7_T9_mT8_P12ihipStream_tbDpT10_ENKUlT_T0_E_clISt17integral_constantIbLb0EES16_IbLb1EEEEDaS12_S13_EUlS12_E_NS1_11comp_targetILNS1_3genE9ELNS1_11target_archE1100ELNS1_3gpuE3ELNS1_3repE0EEENS1_30default_config_static_selectorELNS0_4arch9wavefront6targetE0EEEvT1_.num_agpr, 0
	.set _ZN7rocprim17ROCPRIM_400000_NS6detail17trampoline_kernelINS0_14default_configENS1_25partition_config_selectorILNS1_17partition_subalgoE8EiNS0_10empty_typeEbEEZZNS1_14partition_implILS5_8ELb0ES3_jPKiPS6_PKS6_NS0_5tupleIJPiS6_EEENSE_IJSB_SB_EEENS0_18inequality_wrapperIN6hipcub16HIPCUB_304000_NS8EqualityEEEPlJS6_EEE10hipError_tPvRmT3_T4_T5_T6_T7_T9_mT8_P12ihipStream_tbDpT10_ENKUlT_T0_E_clISt17integral_constantIbLb0EES16_IbLb1EEEEDaS12_S13_EUlS12_E_NS1_11comp_targetILNS1_3genE9ELNS1_11target_archE1100ELNS1_3gpuE3ELNS1_3repE0EEENS1_30default_config_static_selectorELNS0_4arch9wavefront6targetE0EEEvT1_.numbered_sgpr, 0
	.set _ZN7rocprim17ROCPRIM_400000_NS6detail17trampoline_kernelINS0_14default_configENS1_25partition_config_selectorILNS1_17partition_subalgoE8EiNS0_10empty_typeEbEEZZNS1_14partition_implILS5_8ELb0ES3_jPKiPS6_PKS6_NS0_5tupleIJPiS6_EEENSE_IJSB_SB_EEENS0_18inequality_wrapperIN6hipcub16HIPCUB_304000_NS8EqualityEEEPlJS6_EEE10hipError_tPvRmT3_T4_T5_T6_T7_T9_mT8_P12ihipStream_tbDpT10_ENKUlT_T0_E_clISt17integral_constantIbLb0EES16_IbLb1EEEEDaS12_S13_EUlS12_E_NS1_11comp_targetILNS1_3genE9ELNS1_11target_archE1100ELNS1_3gpuE3ELNS1_3repE0EEENS1_30default_config_static_selectorELNS0_4arch9wavefront6targetE0EEEvT1_.num_named_barrier, 0
	.set _ZN7rocprim17ROCPRIM_400000_NS6detail17trampoline_kernelINS0_14default_configENS1_25partition_config_selectorILNS1_17partition_subalgoE8EiNS0_10empty_typeEbEEZZNS1_14partition_implILS5_8ELb0ES3_jPKiPS6_PKS6_NS0_5tupleIJPiS6_EEENSE_IJSB_SB_EEENS0_18inequality_wrapperIN6hipcub16HIPCUB_304000_NS8EqualityEEEPlJS6_EEE10hipError_tPvRmT3_T4_T5_T6_T7_T9_mT8_P12ihipStream_tbDpT10_ENKUlT_T0_E_clISt17integral_constantIbLb0EES16_IbLb1EEEEDaS12_S13_EUlS12_E_NS1_11comp_targetILNS1_3genE9ELNS1_11target_archE1100ELNS1_3gpuE3ELNS1_3repE0EEENS1_30default_config_static_selectorELNS0_4arch9wavefront6targetE0EEEvT1_.private_seg_size, 0
	.set _ZN7rocprim17ROCPRIM_400000_NS6detail17trampoline_kernelINS0_14default_configENS1_25partition_config_selectorILNS1_17partition_subalgoE8EiNS0_10empty_typeEbEEZZNS1_14partition_implILS5_8ELb0ES3_jPKiPS6_PKS6_NS0_5tupleIJPiS6_EEENSE_IJSB_SB_EEENS0_18inequality_wrapperIN6hipcub16HIPCUB_304000_NS8EqualityEEEPlJS6_EEE10hipError_tPvRmT3_T4_T5_T6_T7_T9_mT8_P12ihipStream_tbDpT10_ENKUlT_T0_E_clISt17integral_constantIbLb0EES16_IbLb1EEEEDaS12_S13_EUlS12_E_NS1_11comp_targetILNS1_3genE9ELNS1_11target_archE1100ELNS1_3gpuE3ELNS1_3repE0EEENS1_30default_config_static_selectorELNS0_4arch9wavefront6targetE0EEEvT1_.uses_vcc, 0
	.set _ZN7rocprim17ROCPRIM_400000_NS6detail17trampoline_kernelINS0_14default_configENS1_25partition_config_selectorILNS1_17partition_subalgoE8EiNS0_10empty_typeEbEEZZNS1_14partition_implILS5_8ELb0ES3_jPKiPS6_PKS6_NS0_5tupleIJPiS6_EEENSE_IJSB_SB_EEENS0_18inequality_wrapperIN6hipcub16HIPCUB_304000_NS8EqualityEEEPlJS6_EEE10hipError_tPvRmT3_T4_T5_T6_T7_T9_mT8_P12ihipStream_tbDpT10_ENKUlT_T0_E_clISt17integral_constantIbLb0EES16_IbLb1EEEEDaS12_S13_EUlS12_E_NS1_11comp_targetILNS1_3genE9ELNS1_11target_archE1100ELNS1_3gpuE3ELNS1_3repE0EEENS1_30default_config_static_selectorELNS0_4arch9wavefront6targetE0EEEvT1_.uses_flat_scratch, 0
	.set _ZN7rocprim17ROCPRIM_400000_NS6detail17trampoline_kernelINS0_14default_configENS1_25partition_config_selectorILNS1_17partition_subalgoE8EiNS0_10empty_typeEbEEZZNS1_14partition_implILS5_8ELb0ES3_jPKiPS6_PKS6_NS0_5tupleIJPiS6_EEENSE_IJSB_SB_EEENS0_18inequality_wrapperIN6hipcub16HIPCUB_304000_NS8EqualityEEEPlJS6_EEE10hipError_tPvRmT3_T4_T5_T6_T7_T9_mT8_P12ihipStream_tbDpT10_ENKUlT_T0_E_clISt17integral_constantIbLb0EES16_IbLb1EEEEDaS12_S13_EUlS12_E_NS1_11comp_targetILNS1_3genE9ELNS1_11target_archE1100ELNS1_3gpuE3ELNS1_3repE0EEENS1_30default_config_static_selectorELNS0_4arch9wavefront6targetE0EEEvT1_.has_dyn_sized_stack, 0
	.set _ZN7rocprim17ROCPRIM_400000_NS6detail17trampoline_kernelINS0_14default_configENS1_25partition_config_selectorILNS1_17partition_subalgoE8EiNS0_10empty_typeEbEEZZNS1_14partition_implILS5_8ELb0ES3_jPKiPS6_PKS6_NS0_5tupleIJPiS6_EEENSE_IJSB_SB_EEENS0_18inequality_wrapperIN6hipcub16HIPCUB_304000_NS8EqualityEEEPlJS6_EEE10hipError_tPvRmT3_T4_T5_T6_T7_T9_mT8_P12ihipStream_tbDpT10_ENKUlT_T0_E_clISt17integral_constantIbLb0EES16_IbLb1EEEEDaS12_S13_EUlS12_E_NS1_11comp_targetILNS1_3genE9ELNS1_11target_archE1100ELNS1_3gpuE3ELNS1_3repE0EEENS1_30default_config_static_selectorELNS0_4arch9wavefront6targetE0EEEvT1_.has_recursion, 0
	.set _ZN7rocprim17ROCPRIM_400000_NS6detail17trampoline_kernelINS0_14default_configENS1_25partition_config_selectorILNS1_17partition_subalgoE8EiNS0_10empty_typeEbEEZZNS1_14partition_implILS5_8ELb0ES3_jPKiPS6_PKS6_NS0_5tupleIJPiS6_EEENSE_IJSB_SB_EEENS0_18inequality_wrapperIN6hipcub16HIPCUB_304000_NS8EqualityEEEPlJS6_EEE10hipError_tPvRmT3_T4_T5_T6_T7_T9_mT8_P12ihipStream_tbDpT10_ENKUlT_T0_E_clISt17integral_constantIbLb0EES16_IbLb1EEEEDaS12_S13_EUlS12_E_NS1_11comp_targetILNS1_3genE9ELNS1_11target_archE1100ELNS1_3gpuE3ELNS1_3repE0EEENS1_30default_config_static_selectorELNS0_4arch9wavefront6targetE0EEEvT1_.has_indirect_call, 0
	.section	.AMDGPU.csdata,"",@progbits
; Kernel info:
; codeLenInByte = 0
; TotalNumSgprs: 0
; NumVgprs: 0
; ScratchSize: 0
; MemoryBound: 0
; FloatMode: 240
; IeeeMode: 1
; LDSByteSize: 0 bytes/workgroup (compile time only)
; SGPRBlocks: 0
; VGPRBlocks: 0
; NumSGPRsForWavesPerEU: 1
; NumVGPRsForWavesPerEU: 1
; Occupancy: 16
; WaveLimiterHint : 0
; COMPUTE_PGM_RSRC2:SCRATCH_EN: 0
; COMPUTE_PGM_RSRC2:USER_SGPR: 6
; COMPUTE_PGM_RSRC2:TRAP_HANDLER: 0
; COMPUTE_PGM_RSRC2:TGID_X_EN: 1
; COMPUTE_PGM_RSRC2:TGID_Y_EN: 0
; COMPUTE_PGM_RSRC2:TGID_Z_EN: 0
; COMPUTE_PGM_RSRC2:TIDIG_COMP_CNT: 0
	.section	.text._ZN7rocprim17ROCPRIM_400000_NS6detail17trampoline_kernelINS0_14default_configENS1_25partition_config_selectorILNS1_17partition_subalgoE8EiNS0_10empty_typeEbEEZZNS1_14partition_implILS5_8ELb0ES3_jPKiPS6_PKS6_NS0_5tupleIJPiS6_EEENSE_IJSB_SB_EEENS0_18inequality_wrapperIN6hipcub16HIPCUB_304000_NS8EqualityEEEPlJS6_EEE10hipError_tPvRmT3_T4_T5_T6_T7_T9_mT8_P12ihipStream_tbDpT10_ENKUlT_T0_E_clISt17integral_constantIbLb0EES16_IbLb1EEEEDaS12_S13_EUlS12_E_NS1_11comp_targetILNS1_3genE8ELNS1_11target_archE1030ELNS1_3gpuE2ELNS1_3repE0EEENS1_30default_config_static_selectorELNS0_4arch9wavefront6targetE0EEEvT1_,"axG",@progbits,_ZN7rocprim17ROCPRIM_400000_NS6detail17trampoline_kernelINS0_14default_configENS1_25partition_config_selectorILNS1_17partition_subalgoE8EiNS0_10empty_typeEbEEZZNS1_14partition_implILS5_8ELb0ES3_jPKiPS6_PKS6_NS0_5tupleIJPiS6_EEENSE_IJSB_SB_EEENS0_18inequality_wrapperIN6hipcub16HIPCUB_304000_NS8EqualityEEEPlJS6_EEE10hipError_tPvRmT3_T4_T5_T6_T7_T9_mT8_P12ihipStream_tbDpT10_ENKUlT_T0_E_clISt17integral_constantIbLb0EES16_IbLb1EEEEDaS12_S13_EUlS12_E_NS1_11comp_targetILNS1_3genE8ELNS1_11target_archE1030ELNS1_3gpuE2ELNS1_3repE0EEENS1_30default_config_static_selectorELNS0_4arch9wavefront6targetE0EEEvT1_,comdat
	.protected	_ZN7rocprim17ROCPRIM_400000_NS6detail17trampoline_kernelINS0_14default_configENS1_25partition_config_selectorILNS1_17partition_subalgoE8EiNS0_10empty_typeEbEEZZNS1_14partition_implILS5_8ELb0ES3_jPKiPS6_PKS6_NS0_5tupleIJPiS6_EEENSE_IJSB_SB_EEENS0_18inequality_wrapperIN6hipcub16HIPCUB_304000_NS8EqualityEEEPlJS6_EEE10hipError_tPvRmT3_T4_T5_T6_T7_T9_mT8_P12ihipStream_tbDpT10_ENKUlT_T0_E_clISt17integral_constantIbLb0EES16_IbLb1EEEEDaS12_S13_EUlS12_E_NS1_11comp_targetILNS1_3genE8ELNS1_11target_archE1030ELNS1_3gpuE2ELNS1_3repE0EEENS1_30default_config_static_selectorELNS0_4arch9wavefront6targetE0EEEvT1_ ; -- Begin function _ZN7rocprim17ROCPRIM_400000_NS6detail17trampoline_kernelINS0_14default_configENS1_25partition_config_selectorILNS1_17partition_subalgoE8EiNS0_10empty_typeEbEEZZNS1_14partition_implILS5_8ELb0ES3_jPKiPS6_PKS6_NS0_5tupleIJPiS6_EEENSE_IJSB_SB_EEENS0_18inequality_wrapperIN6hipcub16HIPCUB_304000_NS8EqualityEEEPlJS6_EEE10hipError_tPvRmT3_T4_T5_T6_T7_T9_mT8_P12ihipStream_tbDpT10_ENKUlT_T0_E_clISt17integral_constantIbLb0EES16_IbLb1EEEEDaS12_S13_EUlS12_E_NS1_11comp_targetILNS1_3genE8ELNS1_11target_archE1030ELNS1_3gpuE2ELNS1_3repE0EEENS1_30default_config_static_selectorELNS0_4arch9wavefront6targetE0EEEvT1_
	.globl	_ZN7rocprim17ROCPRIM_400000_NS6detail17trampoline_kernelINS0_14default_configENS1_25partition_config_selectorILNS1_17partition_subalgoE8EiNS0_10empty_typeEbEEZZNS1_14partition_implILS5_8ELb0ES3_jPKiPS6_PKS6_NS0_5tupleIJPiS6_EEENSE_IJSB_SB_EEENS0_18inequality_wrapperIN6hipcub16HIPCUB_304000_NS8EqualityEEEPlJS6_EEE10hipError_tPvRmT3_T4_T5_T6_T7_T9_mT8_P12ihipStream_tbDpT10_ENKUlT_T0_E_clISt17integral_constantIbLb0EES16_IbLb1EEEEDaS12_S13_EUlS12_E_NS1_11comp_targetILNS1_3genE8ELNS1_11target_archE1030ELNS1_3gpuE2ELNS1_3repE0EEENS1_30default_config_static_selectorELNS0_4arch9wavefront6targetE0EEEvT1_
	.p2align	8
	.type	_ZN7rocprim17ROCPRIM_400000_NS6detail17trampoline_kernelINS0_14default_configENS1_25partition_config_selectorILNS1_17partition_subalgoE8EiNS0_10empty_typeEbEEZZNS1_14partition_implILS5_8ELb0ES3_jPKiPS6_PKS6_NS0_5tupleIJPiS6_EEENSE_IJSB_SB_EEENS0_18inequality_wrapperIN6hipcub16HIPCUB_304000_NS8EqualityEEEPlJS6_EEE10hipError_tPvRmT3_T4_T5_T6_T7_T9_mT8_P12ihipStream_tbDpT10_ENKUlT_T0_E_clISt17integral_constantIbLb0EES16_IbLb1EEEEDaS12_S13_EUlS12_E_NS1_11comp_targetILNS1_3genE8ELNS1_11target_archE1030ELNS1_3gpuE2ELNS1_3repE0EEENS1_30default_config_static_selectorELNS0_4arch9wavefront6targetE0EEEvT1_,@function
_ZN7rocprim17ROCPRIM_400000_NS6detail17trampoline_kernelINS0_14default_configENS1_25partition_config_selectorILNS1_17partition_subalgoE8EiNS0_10empty_typeEbEEZZNS1_14partition_implILS5_8ELb0ES3_jPKiPS6_PKS6_NS0_5tupleIJPiS6_EEENSE_IJSB_SB_EEENS0_18inequality_wrapperIN6hipcub16HIPCUB_304000_NS8EqualityEEEPlJS6_EEE10hipError_tPvRmT3_T4_T5_T6_T7_T9_mT8_P12ihipStream_tbDpT10_ENKUlT_T0_E_clISt17integral_constantIbLb0EES16_IbLb1EEEEDaS12_S13_EUlS12_E_NS1_11comp_targetILNS1_3genE8ELNS1_11target_archE1030ELNS1_3gpuE2ELNS1_3repE0EEENS1_30default_config_static_selectorELNS0_4arch9wavefront6targetE0EEEvT1_: ; @_ZN7rocprim17ROCPRIM_400000_NS6detail17trampoline_kernelINS0_14default_configENS1_25partition_config_selectorILNS1_17partition_subalgoE8EiNS0_10empty_typeEbEEZZNS1_14partition_implILS5_8ELb0ES3_jPKiPS6_PKS6_NS0_5tupleIJPiS6_EEENSE_IJSB_SB_EEENS0_18inequality_wrapperIN6hipcub16HIPCUB_304000_NS8EqualityEEEPlJS6_EEE10hipError_tPvRmT3_T4_T5_T6_T7_T9_mT8_P12ihipStream_tbDpT10_ENKUlT_T0_E_clISt17integral_constantIbLb0EES16_IbLb1EEEEDaS12_S13_EUlS12_E_NS1_11comp_targetILNS1_3genE8ELNS1_11target_archE1030ELNS1_3gpuE2ELNS1_3repE0EEENS1_30default_config_static_selectorELNS0_4arch9wavefront6targetE0EEEvT1_
; %bb.0:
	s_clause 0x3
	s_load_dwordx2 s[16:17], s[4:5], 0x28
	s_load_dwordx4 s[12:15], s[4:5], 0x40
	s_load_dwordx2 s[2:3], s[4:5], 0x50
	s_load_dwordx2 s[18:19], s[4:5], 0x60
	v_cmp_ne_u32_e64 s1, 0, v0
	v_cmp_eq_u32_e64 s0, 0, v0
	s_and_saveexec_b32 s6, s0
	s_cbranch_execz .LBB220_4
; %bb.1:
	s_mov_b32 s8, exec_lo
	s_mov_b32 s7, exec_lo
	v_mbcnt_lo_u32_b32 v1, s8, 0
                                        ; implicit-def: $vgpr2
	v_cmpx_eq_u32_e32 0, v1
	s_cbranch_execz .LBB220_3
; %bb.2:
	s_load_dwordx2 s[10:11], s[4:5], 0x70
	s_bcnt1_i32_b32 s8, s8
	v_mov_b32_e32 v2, 0
	v_mov_b32_e32 v3, s8
	s_waitcnt lgkmcnt(0)
	global_atomic_add v2, v2, v3, s[10:11] glc
.LBB220_3:
	s_or_b32 exec_lo, exec_lo, s7
	s_waitcnt vmcnt(0)
	v_readfirstlane_b32 s7, v2
	v_mov_b32_e32 v2, 0
	v_add_nc_u32_e32 v1, s7, v1
	ds_write_b32 v2, v1
.LBB220_4:
	s_or_b32 exec_lo, exec_lo, s6
	v_mov_b32_e32 v2, 0
	s_clause 0x1
	s_load_dwordx4 s[8:11], s[4:5], 0x8
	s_load_dword s4, s[4:5], 0x68
	s_waitcnt lgkmcnt(0)
	s_barrier
	buffer_gl0_inv
	ds_read_b32 v1, v2
	s_waitcnt lgkmcnt(0)
	s_barrier
	buffer_gl0_inv
	global_load_dwordx2 v[9:10], v2, s[14:15]
	v_lshrrev_b32_e32 v18, 3, v0
	v_or_b32_e32 v20, 0x200, v0
	v_or_b32_e32 v19, 0x400, v0
	;; [unrolled: 1-line block ×7, first 2 shown]
	s_lshl_b64 s[6:7], s[10:11], 2
	s_add_u32 s5, s8, s6
	s_addc_u32 s8, s9, s7
	s_add_i32 s9, s4, -1
	v_readfirstlane_b32 s15, v1
	s_lshl_b32 s6, s9, 12
	v_lshlrev_b32_e32 v1, 12, v1
	s_lshl_b32 s7, s4, 12
	s_add_i32 s4, s10, s6
	s_add_u32 s6, s10, s7
	s_addc_u32 s7, s11, 0
	v_lshlrev_b64 v[1:2], 2, v[1:2]
	v_cmp_le_u64_e64 s3, s[2:3], s[6:7]
	s_cmp_eq_u32 s15, s9
	s_cselect_b32 s9, -1, 0
	v_add_co_u32 v11, vcc_lo, s5, v1
	s_and_b32 s20, s3, s9
	v_add_co_ci_u32_e64 v12, null, s8, v2, vcc_lo
	s_xor_b32 s14, s20, -1
	s_mov_b32 s3, -1
	s_and_b32 vcc_lo, exec_lo, s14
	s_cbranch_vccz .LBB220_6
; %bb.5:
	v_lshlrev_b32_e32 v21, 2, v0
	v_readfirstlane_b32 s6, v11
	v_readfirstlane_b32 s7, v12
	v_lshrrev_b32_e32 v24, 3, v19
	v_lshrrev_b32_e32 v25, 3, v17
	v_add_co_u32 v7, vcc_lo, v11, v21
	v_add_co_ci_u32_e64 v8, null, 0, v12, vcc_lo
	v_lshrrev_b32_e32 v26, 3, v16
	v_add_co_u32 v1, vcc_lo, v7, 0x1000
	v_add_co_ci_u32_e64 v2, null, 0, v8, vcc_lo
	v_add_co_u32 v3, vcc_lo, v7, 0x2000
	v_add_co_ci_u32_e64 v4, null, 0, v8, vcc_lo
	;; [unrolled: 2-line block ×4, first 2 shown]
	s_clause 0x7
	global_load_dword v22, v21, s[6:7]
	global_load_dword v23, v[1:2], off offset:-2048
	global_load_dword v1, v[1:2], off
	global_load_dword v2, v[3:4], off offset:-2048
	global_load_dword v3, v[3:4], off
	;; [unrolled: 2-line block ×3, first 2 shown]
	global_load_dword v6, v[7:8], off
	v_lshrrev_b32_e32 v8, 3, v20
	v_and_b32_e32 v7, 60, v18
	v_lshrrev_b32_e32 v27, 3, v15
	v_lshrrev_b32_e32 v28, 3, v14
	;; [unrolled: 1-line block ×3, first 2 shown]
	v_and_b32_e32 v8, 0x7c, v8
	v_and_b32_e32 v24, 0xbc, v24
	;; [unrolled: 1-line block ×4, first 2 shown]
	v_add_nc_u32_e32 v7, v7, v21
	v_and_b32_e32 v27, 0x17c, v27
	v_and_b32_e32 v28, 0x1bc, v28
	;; [unrolled: 1-line block ×3, first 2 shown]
	v_add_nc_u32_e32 v8, v8, v21
	v_add_nc_u32_e32 v24, v24, v21
	;; [unrolled: 1-line block ×4, first 2 shown]
	s_mov_b32 s3, 0
	v_add_nc_u32_e32 v27, v27, v21
	v_add_nc_u32_e32 v28, v28, v21
	;; [unrolled: 1-line block ×3, first 2 shown]
	s_waitcnt vmcnt(7)
	ds_write_b32 v7, v22
	s_waitcnt vmcnt(6)
	ds_write_b32 v8, v23 offset:2048
	s_waitcnt vmcnt(5)
	ds_write_b32 v24, v1 offset:4096
	;; [unrolled: 2-line block ×7, first 2 shown]
	s_waitcnt lgkmcnt(0)
	s_barrier
.LBB220_6:
	s_andn2_b32 vcc_lo, exec_lo, s3
	s_sub_i32 s21, s2, s4
	s_cbranch_vccnz .LBB220_17
; %bb.7:
	v_mov_b32_e32 v1, 0
	s_mov_b32 s2, exec_lo
	v_mov_b32_e32 v2, v1
	v_mov_b32_e32 v3, v1
	;; [unrolled: 1-line block ×7, first 2 shown]
	v_cmpx_gt_u32_e64 s21, v0
	s_cbranch_execnz .LBB220_24
; %bb.8:
	s_or_b32 exec_lo, exec_lo, s2
	s_mov_b32 s2, exec_lo
	v_cmpx_gt_u32_e64 s21, v20
	s_cbranch_execnz .LBB220_25
.LBB220_9:
	s_or_b32 exec_lo, exec_lo, s2
	s_mov_b32 s2, exec_lo
	v_cmpx_gt_u32_e64 s21, v19
	s_cbranch_execnz .LBB220_26
.LBB220_10:
	s_or_b32 exec_lo, exec_lo, s2
	s_mov_b32 s2, exec_lo
	v_cmpx_gt_u32_e64 s21, v17
	s_cbranch_execnz .LBB220_27
.LBB220_11:
	s_or_b32 exec_lo, exec_lo, s2
	s_mov_b32 s2, exec_lo
	v_cmpx_gt_u32_e64 s21, v16
	s_cbranch_execnz .LBB220_28
.LBB220_12:
	s_or_b32 exec_lo, exec_lo, s2
	s_mov_b32 s2, exec_lo
	v_cmpx_gt_u32_e64 s21, v15
	s_cbranch_execnz .LBB220_29
.LBB220_13:
	s_or_b32 exec_lo, exec_lo, s2
	s_mov_b32 s2, exec_lo
	v_cmpx_gt_u32_e64 s21, v14
	s_cbranch_execnz .LBB220_30
.LBB220_14:
	s_or_b32 exec_lo, exec_lo, s2
	s_mov_b32 s2, exec_lo
	v_cmpx_gt_u32_e64 s21, v13
	s_cbranch_execz .LBB220_16
.LBB220_15:
	v_lshlrev_b32_e32 v8, 2, v13
	v_readfirstlane_b32 s4, v11
	v_readfirstlane_b32 s5, v12
	global_load_dword v8, v8, s[4:5]
.LBB220_16:
	s_or_b32 exec_lo, exec_lo, s2
	v_lshrrev_b32_e32 v20, 3, v20
	v_lshrrev_b32_e32 v19, 3, v19
	v_and_b32_e32 v18, 60, v18
	v_lshlrev_b32_e32 v21, 2, v0
	v_lshrrev_b32_e32 v17, 3, v17
	v_and_b32_e32 v20, 0x7c, v20
	v_and_b32_e32 v19, 0xfc, v19
	v_lshrrev_b32_e32 v16, 3, v16
	v_add_nc_u32_e32 v18, v18, v21
	v_lshrrev_b32_e32 v15, 3, v15
	v_add_nc_u32_e32 v20, v20, v21
	v_add_nc_u32_e32 v19, v19, v21
	v_lshrrev_b32_e32 v14, 3, v14
	ds_write_b32 v18, v1
	s_waitcnt vmcnt(0)
	ds_write_b32 v20, v2 offset:2048
	ds_write_b32 v19, v3 offset:4096
	v_lshrrev_b32_e32 v1, 3, v13
	v_and_b32_e32 v2, 0xfc, v17
	v_and_b32_e32 v3, 0x1fc, v16
	;; [unrolled: 1-line block ×5, first 2 shown]
	v_add_nc_u32_e32 v2, v2, v21
	v_add_nc_u32_e32 v3, v3, v21
	;; [unrolled: 1-line block ×5, first 2 shown]
	ds_write_b32 v2, v4 offset:6144
	ds_write_b32 v3, v5 offset:8192
	;; [unrolled: 1-line block ×5, first 2 shown]
	s_waitcnt lgkmcnt(0)
	s_barrier
.LBB220_17:
	v_and_b32_e32 v1, 0x1fc, v0
	s_waitcnt vmcnt(0)
	buffer_gl0_inv
	s_cmp_lg_u32 s15, 0
	v_lshlrev_b32_e32 v18, 3, v0
	s_cselect_b32 s22, -1, 0
	v_lshl_add_u32 v13, v0, 5, v1
	s_cmp_lg_u64 s[10:11], 0
	s_mov_b32 s10, 0
	s_cselect_b32 s2, -1, 0
	ds_read2_b32 v[5:6], v13 offset0:2 offset1:3
	ds_read2_b32 v[7:8], v13 offset1:1
	ds_read2_b32 v[3:4], v13 offset0:3 offset1:4
	ds_read2_b32 v[14:15], v13 offset0:1 offset1:2
	;; [unrolled: 1-line block ×3, first 2 shown]
	ds_read_b32 v32, v13 offset:28
	s_or_b32 s2, s2, s22
	s_waitcnt lgkmcnt(0)
	s_and_b32 vcc_lo, exec_lo, s2
	s_barrier
	buffer_gl0_inv
	s_cbranch_vccz .LBB220_22
; %bb.18:
	global_load_dword v11, v[11:12], off offset:-4
	v_lshlrev_b32_e32 v12, 2, v0
	s_and_b32 vcc_lo, exec_lo, s14
	ds_write_b32 v12, v32
	s_cbranch_vccz .LBB220_31
; %bb.19:
	s_waitcnt vmcnt(0)
	v_mov_b32_e32 v13, v11
	s_waitcnt lgkmcnt(0)
	s_barrier
	buffer_gl0_inv
	s_and_saveexec_b32 s2, s1
; %bb.20:
	v_add_nc_u32_e32 v13, -4, v12
	ds_read_b32 v13, v13
; %bb.21:
	s_or_b32 exec_lo, exec_lo, s2
	v_cmp_ne_u32_e32 vcc_lo, v2, v32
	s_waitcnt lgkmcnt(0)
	v_cmp_ne_u32_e64 s2, v13, v7
	v_cndmask_b32_e64 v16, 0, 1, vcc_lo
	v_cmp_ne_u32_e32 vcc_lo, v1, v2
	v_lshlrev_b16 v16, 8, v16
	v_cndmask_b32_e64 v17, 0, 1, vcc_lo
	v_cmp_ne_u32_e32 vcc_lo, v4, v1
	v_or_b32_sdwa v17, v17, v16 dst_sel:WORD_1 dst_unused:UNUSED_PAD src0_sel:DWORD src1_sel:DWORD
	v_cndmask_b32_e64 v19, 0, 1, vcc_lo
	v_cmp_ne_u32_e32 vcc_lo, v5, v6
	v_lshlrev_b16 v19, 8, v19
	v_cndmask_b32_e64 v20, 0, 1, vcc_lo
	v_cmp_ne_u32_e32 vcc_lo, v6, v4
	v_lshlrev_b16 v20, 8, v20
	v_cndmask_b32_e64 v21, 0, 1, vcc_lo
	v_cmp_ne_u32_e32 vcc_lo, v8, v5
	v_or_b32_e32 v19, v21, v19
	v_cndmask_b32_e64 v22, 0, 1, vcc_lo
	v_cmp_ne_u32_e32 vcc_lo, v7, v8
	v_or_b32_sdwa v17, v19, v17 dst_sel:DWORD dst_unused:UNUSED_PAD src0_sel:WORD_0 src1_sel:DWORD
	v_or_b32_sdwa v20, v22, v20 dst_sel:WORD_1 dst_unused:UNUSED_PAD src0_sel:DWORD src1_sel:DWORD
	v_cndmask_b32_e64 v23, 0, 1, vcc_lo
	v_lshlrev_b16 v22, 8, v23
	v_or_b32_sdwa v16, v22, v20 dst_sel:DWORD dst_unused:UNUSED_PAD src0_sel:WORD_0 src1_sel:DWORD
	s_branch .LBB220_35
.LBB220_22:
                                        ; implicit-def: $sgpr2
                                        ; implicit-def: $vgpr17
	s_branch .LBB220_36
.LBB220_23:
                                        ; implicit-def: $vgpr11
                                        ; implicit-def: $vgpr37
                                        ; implicit-def: $vgpr36
                                        ; implicit-def: $vgpr13
                                        ; implicit-def: $vgpr35
                                        ; implicit-def: $vgpr34
                                        ; implicit-def: $vgpr33
	s_branch .LBB220_44
.LBB220_24:
	v_lshlrev_b32_e32 v2, 2, v0
	v_readfirstlane_b32 s4, v11
	v_readfirstlane_b32 s5, v12
	v_mov_b32_e32 v22, v1
	v_mov_b32_e32 v23, v1
	;; [unrolled: 1-line block ×4, first 2 shown]
	global_load_dword v21, v2, s[4:5]
	v_mov_b32_e32 v26, v1
	v_mov_b32_e32 v27, v1
	;; [unrolled: 1-line block ×3, first 2 shown]
	s_waitcnt vmcnt(0)
	v_mov_b32_e32 v1, v21
	v_mov_b32_e32 v2, v22
	;; [unrolled: 1-line block ×8, first 2 shown]
	s_or_b32 exec_lo, exec_lo, s2
	s_mov_b32 s2, exec_lo
	v_cmpx_gt_u32_e64 s21, v20
	s_cbranch_execz .LBB220_9
.LBB220_25:
	v_lshlrev_b32_e32 v2, 2, v20
	v_readfirstlane_b32 s4, v11
	v_readfirstlane_b32 s5, v12
	global_load_dword v2, v2, s[4:5]
	s_or_b32 exec_lo, exec_lo, s2
	s_mov_b32 s2, exec_lo
	v_cmpx_gt_u32_e64 s21, v19
	s_cbranch_execz .LBB220_10
.LBB220_26:
	v_lshlrev_b32_e32 v3, 2, v19
	v_readfirstlane_b32 s4, v11
	v_readfirstlane_b32 s5, v12
	global_load_dword v3, v3, s[4:5]
	s_or_b32 exec_lo, exec_lo, s2
	s_mov_b32 s2, exec_lo
	v_cmpx_gt_u32_e64 s21, v17
	s_cbranch_execz .LBB220_11
.LBB220_27:
	v_lshlrev_b32_e32 v4, 2, v17
	v_readfirstlane_b32 s4, v11
	v_readfirstlane_b32 s5, v12
	global_load_dword v4, v4, s[4:5]
	s_or_b32 exec_lo, exec_lo, s2
	s_mov_b32 s2, exec_lo
	v_cmpx_gt_u32_e64 s21, v16
	s_cbranch_execz .LBB220_12
.LBB220_28:
	v_lshlrev_b32_e32 v5, 2, v16
	v_readfirstlane_b32 s4, v11
	v_readfirstlane_b32 s5, v12
	global_load_dword v5, v5, s[4:5]
	s_or_b32 exec_lo, exec_lo, s2
	s_mov_b32 s2, exec_lo
	v_cmpx_gt_u32_e64 s21, v15
	s_cbranch_execz .LBB220_13
.LBB220_29:
	v_lshlrev_b32_e32 v6, 2, v15
	v_readfirstlane_b32 s4, v11
	v_readfirstlane_b32 s5, v12
	global_load_dword v6, v6, s[4:5]
	s_or_b32 exec_lo, exec_lo, s2
	s_mov_b32 s2, exec_lo
	v_cmpx_gt_u32_e64 s21, v14
	s_cbranch_execz .LBB220_14
.LBB220_30:
	v_lshlrev_b32_e32 v7, 2, v14
	v_readfirstlane_b32 s4, v11
	v_readfirstlane_b32 s5, v12
	global_load_dword v7, v7, s[4:5]
	s_or_b32 exec_lo, exec_lo, s2
	s_mov_b32 s2, exec_lo
	v_cmpx_gt_u32_e64 s21, v13
	s_cbranch_execnz .LBB220_15
	s_branch .LBB220_16
.LBB220_31:
                                        ; implicit-def: $sgpr2
                                        ; implicit-def: $vgpr17
	s_cbranch_execz .LBB220_35
; %bb.32:
	s_waitcnt vmcnt(0) lgkmcnt(0)
	s_barrier
	buffer_gl0_inv
	s_and_saveexec_b32 s2, s1
; %bb.33:
	v_add_nc_u32_e32 v11, -4, v12
	ds_read_b32 v11, v11
; %bb.34:
	s_or_b32 exec_lo, exec_lo, s2
	v_or_b32_e32 v12, 7, v18
	v_or_b32_e32 v13, 6, v18
	;; [unrolled: 1-line block ×3, first 2 shown]
	v_cmp_ne_u32_e32 vcc_lo, v2, v32
	v_cmp_ne_u32_e64 s3, v1, v2
	v_cmp_gt_u32_e64 s2, s21, v12
	v_cmp_gt_u32_e64 s5, s21, v13
	v_cmp_ne_u32_e64 s4, v4, v1
	v_cmp_gt_u32_e64 s6, s21, v16
	v_or_b32_e32 v13, 3, v18
	s_and_b32 s2, s2, vcc_lo
	v_or_b32_e32 v17, 4, v18
	v_cndmask_b32_e64 v12, 0, 1, s2
	s_and_b32 s2, s5, s3
	v_cmp_gt_u32_e32 vcc_lo, s21, v13
	v_cndmask_b32_e64 v16, 0, 1, s2
	s_and_b32 s2, s6, s4
	v_or_b32_e32 v13, 2, v18
	v_cndmask_b32_e64 v19, 0, 1, s2
	v_cmp_ne_u32_e64 s2, v5, v6
	v_cmp_gt_u32_e64 s3, s21, v17
	v_or_b32_e32 v17, 1, v18
	v_cmp_ne_u32_e64 s4, v6, v4
	v_cmp_ne_u32_e64 s6, v7, v8
	s_and_b32 s2, vcc_lo, s2
	v_cmp_gt_u32_e32 vcc_lo, s21, v13
	v_cndmask_b32_e64 v20, 0, 1, s2
	v_cmp_ne_u32_e64 s2, v8, v5
	v_cmp_gt_u32_e64 s5, s21, v17
	s_and_b32 s3, s3, s4
	v_lshlrev_b16 v19, 8, v19
	v_cndmask_b32_e64 v13, 0, 1, s3
	s_and_b32 s2, vcc_lo, s2
	v_lshlrev_b16 v20, 8, v20
	v_cndmask_b32_e64 v17, 0, 1, s2
	s_and_b32 s2, s5, s6
	v_lshlrev_b16 v12, 8, v12
	v_cndmask_b32_e64 v21, 0, 1, s2
	v_or_b32_e32 v13, v13, v19
	v_or_b32_sdwa v17, v17, v20 dst_sel:WORD_1 dst_unused:UNUSED_PAD src0_sel:DWORD src1_sel:DWORD
	v_cmp_gt_u32_e32 vcc_lo, s21, v18
	v_or_b32_sdwa v12, v16, v12 dst_sel:WORD_1 dst_unused:UNUSED_PAD src0_sel:DWORD src1_sel:DWORD
	v_lshlrev_b16 v20, 8, v21
	s_waitcnt lgkmcnt(0)
	v_cmp_ne_u32_e64 s2, v11, v7
	v_or_b32_sdwa v16, v20, v17 dst_sel:DWORD dst_unused:UNUSED_PAD src0_sel:WORD_0 src1_sel:DWORD
	v_or_b32_sdwa v17, v13, v12 dst_sel:DWORD dst_unused:UNUSED_PAD src0_sel:WORD_0 src1_sel:DWORD
	s_and_b32 s2, vcc_lo, s2
.LBB220_35:
	s_mov_b32 s10, -1
	s_cbranch_execnz .LBB220_23
.LBB220_36:
	v_lshlrev_b32_e32 v19, 2, v0
	v_cmp_ne_u32_e64 s2, v2, v32
	v_cmp_ne_u32_e64 s3, v1, v2
	;; [unrolled: 1-line block ×4, first 2 shown]
	s_and_b32 vcc_lo, exec_lo, s14
	ds_write_b32 v19, v32
	s_cbranch_vccz .LBB220_40
; %bb.37:
	v_cmp_ne_u32_e32 vcc_lo, v5, v6
	v_cndmask_b32_e64 v35, 0, 1, s4
	v_cndmask_b32_e64 v12, 0, 1, s5
	v_cndmask_b32_e64 v33, 0, 1, s2
	v_cndmask_b32_e64 v34, 0, 1, s3
	v_cndmask_b32_e64 v13, 0, 1, vcc_lo
	v_cmp_ne_u32_e32 vcc_lo, v8, v5
	s_waitcnt vmcnt(0)
	v_mov_b32_e32 v11, 1
	s_waitcnt lgkmcnt(0)
	s_barrier
	buffer_gl0_inv
	v_cndmask_b32_e64 v36, 0, 1, vcc_lo
	v_cmp_ne_u32_e32 vcc_lo, v7, v8
                                        ; implicit-def: $sgpr2
                                        ; implicit-def: $vgpr17
	v_cndmask_b32_e64 v37, 0, 1, vcc_lo
	s_and_saveexec_b32 s3, s1
	s_xor_b32 s3, exec_lo, s3
	s_cbranch_execz .LBB220_39
; %bb.38:
	v_add_nc_u32_e32 v16, -4, v19
	v_lshlrev_b16 v17, 8, v33
	v_lshlrev_b16 v21, 8, v13
	;; [unrolled: 1-line block ×3, first 2 shown]
	s_or_b32 s10, s10, exec_lo
	ds_read_b32 v20, v16
	v_lshlrev_b16 v16, 8, v35
	v_or_b32_sdwa v17, v34, v17 dst_sel:WORD_1 dst_unused:UNUSED_PAD src0_sel:DWORD src1_sel:DWORD
	v_or_b32_sdwa v21, v36, v21 dst_sel:WORD_1 dst_unused:UNUSED_PAD src0_sel:DWORD src1_sel:DWORD
	v_or_b32_e32 v22, 1, v22
	v_or_b32_e32 v16, v12, v16
	v_or_b32_sdwa v17, v16, v17 dst_sel:DWORD dst_unused:UNUSED_PAD src0_sel:WORD_0 src1_sel:DWORD
	v_or_b32_sdwa v16, v22, v21 dst_sel:DWORD dst_unused:UNUSED_PAD src0_sel:WORD_0 src1_sel:DWORD
	s_waitcnt lgkmcnt(0)
	v_cmp_ne_u32_e64 s2, v20, v7
.LBB220_39:
	s_or_b32 exec_lo, exec_lo, s3
	s_branch .LBB220_44
.LBB220_40:
                                        ; implicit-def: $sgpr2
                                        ; implicit-def: $vgpr17
                                        ; implicit-def: $vgpr11
                                        ; implicit-def: $vgpr37
                                        ; implicit-def: $vgpr36
                                        ; implicit-def: $vgpr13
                                        ; implicit-def: $vgpr35
                                        ; implicit-def: $vgpr34
                                        ; implicit-def: $vgpr33
	s_cbranch_execz .LBB220_44
; %bb.41:
	s_waitcnt vmcnt(0)
	v_or_b32_e32 v11, 4, v18
	v_cmp_ne_u32_e64 s2, v6, v4
	v_or_b32_e32 v17, 2, v18
	v_cmp_ne_u32_e64 s4, v5, v3
	v_cmp_ne_u32_e64 s6, v8, v15
	v_cmp_gt_u32_e64 s3, s21, v11
	v_or_b32_e32 v11, 3, v18
	v_cmp_gt_u32_e64 s7, s21, v17
	v_or_b32_e32 v13, 6, v18
	v_or_b32_e32 v15, 5, v18
	s_and_b32 s2, s3, s2
	v_or_b32_e32 v12, 7, v18
	v_cndmask_b32_e64 v16, 0, 1, s2
	v_cmp_gt_u32_e64 s2, s21, v11
	v_or_b32_e32 v11, 1, v18
	v_cmp_gt_u32_e64 s3, s21, v13
	v_cmp_ne_u32_e64 s8, v4, v1
	v_lshlrev_b16 v3, 8, v16
	s_and_b32 s2, s2, s4
	s_and_b32 s4, s7, s6
	v_cndmask_b32_e64 v21, 0, 1, s2
	v_cndmask_b32_e64 v20, 0, 1, s4
	v_cmp_ne_u32_e64 s4, v7, v14
	v_cmp_gt_u32_e64 s6, s21, v11
	v_cmp_gt_u32_e64 s7, s21, v15
	v_or_b32_e32 v13, v21, v3
	v_cmp_ne_u32_e32 vcc_lo, v2, v32
	v_cmp_gt_u32_e64 s5, s21, v12
	v_cmp_ne_u32_e64 s2, v1, v2
	s_and_b32 s4, s6, s4
	v_lshlrev_b16 v3, 8, v20
	v_lshlrev_b32_e32 v12, 16, v13
	v_cndmask_b32_e64 v15, 0, 1, s4
	s_and_b32 s4, s7, s8
	s_and_b32 s2, s3, s2
	v_cndmask_b32_e64 v35, 0, 1, s4
	s_and_b32 s4, s5, vcc_lo
	v_or_b32_sdwa v14, v3, v12 dst_sel:DWORD dst_unused:UNUSED_PAD src0_sel:WORD_0 src1_sel:DWORD
	v_mov_b32_e32 v11, 1
	v_cndmask_b32_e64 v33, 0, 1, s4
	v_cndmask_b32_e64 v34, 0, 1, s2
	s_waitcnt lgkmcnt(0)
	s_barrier
	buffer_gl0_inv
                                        ; implicit-def: $sgpr2
                                        ; implicit-def: $vgpr17
	s_and_saveexec_b32 s3, s1
	s_cbranch_execz .LBB220_43
; %bb.42:
	v_add_nc_u32_e32 v17, -4, v19
	v_lshlrev_b16 v19, 8, v21
	v_lshlrev_b16 v21, 8, v15
	v_lshlrev_b16 v22, 8, v35
	v_lshlrev_b16 v23, 8, v33
	ds_read_b32 v17, v17
	v_or_b32_sdwa v19, v20, v19 dst_sel:WORD_1 dst_unused:UNUSED_PAD src0_sel:DWORD src1_sel:DWORD
	v_or_b32_e32 v20, 1, v21
	v_or_b32_e32 v21, v16, v22
	v_or_b32_sdwa v22, v34, v23 dst_sel:WORD_1 dst_unused:UNUSED_PAD src0_sel:DWORD src1_sel:DWORD
	v_cmp_gt_u32_e32 vcc_lo, s21, v18
	s_or_b32 s10, s10, exec_lo
	v_or_b32_sdwa v16, v20, v19 dst_sel:DWORD dst_unused:UNUSED_PAD src0_sel:WORD_0 src1_sel:DWORD
	s_waitcnt lgkmcnt(0)
	v_cmp_ne_u32_e64 s1, v17, v7
	v_or_b32_sdwa v17, v21, v22 dst_sel:DWORD dst_unused:UNUSED_PAD src0_sel:WORD_0 src1_sel:DWORD
	s_and_b32 s2, vcc_lo, s1
.LBB220_43:
	s_or_b32 exec_lo, exec_lo, s3
	v_or_b32_e32 v37, v15, v3
	v_lshrrev_b32_e32 v12, 24, v12
	v_lshrrev_b32_e32 v36, 8, v14
.LBB220_44:
	s_and_saveexec_b32 s1, s10
	s_cbranch_execz .LBB220_46
; %bb.45:
	v_lshrrev_b64 v[13:14], 24, v[16:17]
	v_lshrrev_b32_e32 v35, 8, v17
	v_lshrrev_b32_e32 v34, 16, v17
	;; [unrolled: 1-line block ×5, first 2 shown]
	s_waitcnt vmcnt(0)
	v_cndmask_b32_e64 v11, 0, 1, s2
	v_mov_b32_e32 v12, v17
.LBB220_46:
	s_or_b32 exec_lo, exec_lo, s1
	s_andn2_b32 vcc_lo, exec_lo, s20
	s_cbranch_vccnz .LBB220_50
; %bb.47:
	v_perm_b32 v3, v36, v13, 0xc0c0004
	s_waitcnt vmcnt(0)
	v_perm_b32 v11, v11, v37, 0xc0c0004
	v_cmp_gt_u32_e32 vcc_lo, s21, v18
	v_or_b32_e32 v13, 1, v18
	v_or_b32_e32 v14, 2, v18
	v_lshlrev_b32_e32 v3, 16, v3
	v_perm_b32 v12, v12, v35, 0xc0c0004
	v_or_b32_e32 v11, v11, v3
	v_cndmask_b32_e32 v3, v3, v11, vcc_lo
	v_cmp_gt_u32_e32 vcc_lo, s21, v13
	v_and_b32_e32 v3, 0xffff00ff, v3
	v_cndmask_b32_e32 v3, v3, v11, vcc_lo
	v_cmp_gt_u32_e32 vcc_lo, s21, v14
	v_or_b32_e32 v14, 4, v18
	v_lshrrev_b32_e32 v13, 24, v3
	v_perm_b32 v3, v13, v3, 0x40c0100
	v_perm_b32 v13, v34, v33, 0xc0c0004
	v_cndmask_b32_e32 v3, v3, v11, vcc_lo
	v_lshl_or_b32 v12, v13, 16, v12
	v_or_b32_e32 v13, 3, v18
	v_and_b32_e32 v3, 0xffffff, v3
	v_and_b32_e32 v15, 0xffffff00, v12
	v_cmp_gt_u32_e32 vcc_lo, s21, v13
	v_cndmask_b32_e32 v3, v3, v11, vcc_lo
	v_cmp_gt_u32_e32 vcc_lo, s21, v14
	v_or_b32_e32 v14, 5, v18
	v_cndmask_b32_e32 v13, v15, v12, vcc_lo
	v_cndmask_b32_e32 v3, v3, v11, vcc_lo
	v_cmp_gt_u32_e32 vcc_lo, s21, v14
	v_or_b32_e32 v15, 6, v18
	v_and_b32_e32 v13, 0xffff00ff, v13
	v_cmp_gt_u32_e64 s1, s21, v15
	v_cndmask_b32_e32 v13, v13, v12, vcc_lo
	s_or_b32 vcc_lo, s1, vcc_lo
	v_lshrrev_b32_e32 v14, 24, v13
	v_cndmask_b32_e32 v11, v3, v11, vcc_lo
	v_or_b32_e32 v3, 7, v18
	v_perm_b32 v13, v14, v13, 0x40c0100
	v_lshrrev_b32_e32 v36, 16, v11
	v_lshrrev_b32_e32 v37, 8, v11
	v_cndmask_b32_e64 v12, v13, v12, s1
	s_mov_b32 s1, exec_lo
	v_lshrrev_b64 v[13:14], 24, v[11:12]
	v_lshrrev_b32_e32 v33, 24, v12
	v_lshrrev_b32_e32 v34, 16, v12
	;; [unrolled: 1-line block ×3, first 2 shown]
	v_cmpx_le_u32_e64 s21, v3
; %bb.48:
	v_mov_b32_e32 v33, 0
; %bb.49:
	s_or_b32 exec_lo, exec_lo, s1
.LBB220_50:
	v_and_b32_e32 v3, 0xff, v36
	v_and_b32_e32 v23, 0xff, v13
	s_waitcnt vmcnt(0)
	v_add_nc_u32_sdwa v14, v37, v11 dst_sel:DWORD dst_unused:UNUSED_PAD src0_sel:BYTE_0 src1_sel:BYTE_0
	v_and_b32_e32 v25, 0xff, v12
	v_and_b32_e32 v27, 0xff, v35
	v_mbcnt_lo_u32_b32 v31, -1, 0
	v_and_b32_e32 v29, 0xff, v34
	v_add3_u32 v14, v14, v3, v23
	v_and_b32_e32 v15, 0xff, v33
	v_lshrrev_b32_e32 v38, 5, v0
	v_and_b32_e32 v16, 15, v31
	s_and_b32 vcc_lo, exec_lo, s22
	v_add3_u32 v14, v14, v25, v27
	s_mov_b32 s7, -1
	s_waitcnt lgkmcnt(0)
	v_cmp_eq_u32_e64 s1, 0, v16
	v_cmp_lt_u32_e64 s3, 1, v16
	v_add3_u32 v39, v14, v29, v15
	v_and_b32_e32 v14, 16, v31
	v_or_b32_e32 v15, 31, v0
	v_cmp_lt_u32_e64 s4, 3, v16
	v_cmp_lt_u32_e64 s2, 7, v16
	s_barrier
	v_cmp_eq_u32_e64 s6, 0, v14
	v_cmp_eq_u32_e64 s5, v0, v15
	buffer_gl0_inv
                                        ; implicit-def: $vgpr16
                                        ; implicit-def: $vgpr18
                                        ; implicit-def: $vgpr20
                                        ; implicit-def: $vgpr22
                                        ; implicit-def: $vgpr24
                                        ; implicit-def: $vgpr26
                                        ; implicit-def: $vgpr28
                                        ; implicit-def: $vgpr30
                                        ; implicit-def: $vgpr15
	s_cbranch_vccz .LBB220_77
; %bb.51:
	v_mov_b32_dpp v14, v39 row_shr:1 row_mask:0xf bank_mask:0xf
	v_cndmask_b32_e64 v14, v14, 0, s1
	v_add_nc_u32_e32 v14, v14, v39
	v_mov_b32_dpp v15, v14 row_shr:2 row_mask:0xf bank_mask:0xf
	v_cndmask_b32_e64 v15, 0, v15, s3
	v_add_nc_u32_e32 v14, v14, v15
	;; [unrolled: 3-line block ×4, first 2 shown]
	ds_swizzle_b32 v15, v14 offset:swizzle(BROADCAST,32,15)
	s_waitcnt lgkmcnt(0)
	v_cndmask_b32_e64 v15, v15, 0, s6
	v_add_nc_u32_e32 v14, v14, v15
	s_and_saveexec_b32 s7, s5
; %bb.52:
	v_lshlrev_b32_e32 v15, 2, v38
	ds_write_b32 v15, v14
; %bb.53:
	s_or_b32 exec_lo, exec_lo, s7
	s_mov_b32 s7, exec_lo
	s_waitcnt lgkmcnt(0)
	s_barrier
	buffer_gl0_inv
	v_cmpx_gt_u32_e32 16, v0
	s_cbranch_execz .LBB220_55
; %bb.54:
	v_lshlrev_b32_e32 v15, 2, v0
	ds_read_b32 v16, v15
	s_waitcnt lgkmcnt(0)
	v_mov_b32_dpp v17, v16 row_shr:1 row_mask:0xf bank_mask:0xf
	v_cndmask_b32_e64 v17, v17, 0, s1
	v_add_nc_u32_e32 v16, v17, v16
	v_mov_b32_dpp v17, v16 row_shr:2 row_mask:0xf bank_mask:0xf
	v_cndmask_b32_e64 v17, 0, v17, s3
	v_add_nc_u32_e32 v16, v16, v17
	;; [unrolled: 3-line block ×4, first 2 shown]
	ds_write_b32 v15, v16
.LBB220_55:
	s_or_b32 exec_lo, exec_lo, s7
	s_mov_b32 s8, exec_lo
	v_cmp_gt_u32_e32 vcc_lo, 32, v0
	s_waitcnt lgkmcnt(0)
	s_barrier
	buffer_gl0_inv
                                        ; implicit-def: $vgpr24
	v_cmpx_lt_u32_e32 31, v0
	s_cbranch_execz .LBB220_57
; %bb.56:
	v_lshl_add_u32 v15, v38, 2, -4
	ds_read_b32 v24, v15
	s_waitcnt lgkmcnt(0)
	v_add_nc_u32_e32 v14, v24, v14
.LBB220_57:
	s_or_b32 exec_lo, exec_lo, s8
	v_sub_co_u32 v15, s7, v31, 1
	v_cmp_gt_i32_e64 s8, 0, v15
	v_cndmask_b32_e64 v15, v15, v31, s8
	v_lshlrev_b32_e32 v15, 2, v15
	ds_bpermute_b32 v26, v15, v14
	s_and_saveexec_b32 s8, vcc_lo
	s_cbranch_execz .LBB220_76
; %bb.58:
	v_mov_b32_e32 v20, 0
	ds_read_b32 v14, v20 offset:60
	s_and_saveexec_b32 s10, s7
	s_cbranch_execz .LBB220_60
; %bb.59:
	s_add_i32 s20, s15, 32
	s_mov_b32 s21, 0
	v_mov_b32_e32 v15, 1
	s_lshl_b64 s[20:21], s[20:21], 3
	s_add_u32 s20, s18, s20
	s_addc_u32 s21, s19, s21
	s_waitcnt lgkmcnt(0)
	global_store_dwordx2 v20, v[14:15], s[20:21]
.LBB220_60:
	s_or_b32 exec_lo, exec_lo, s10
	v_xad_u32 v16, v31, -1, s15
	s_mov_b32 s11, 0
	v_add_nc_u32_e32 v19, 32, v16
	v_lshlrev_b64 v[17:18], 3, v[19:20]
	v_add_co_u32 v21, vcc_lo, s18, v17
	v_add_co_ci_u32_e64 v22, null, s19, v18, vcc_lo
	global_load_dwordx2 v[18:19], v[21:22], off glc dlc
	s_waitcnt vmcnt(0)
	v_cmp_eq_u16_sdwa s20, v19, v20 src0_sel:BYTE_0 src1_sel:DWORD
	s_and_saveexec_b32 s10, s20
	s_cbranch_execz .LBB220_64
; %bb.61:
	v_mov_b32_e32 v15, 0
.LBB220_62:                             ; =>This Inner Loop Header: Depth=1
	global_load_dwordx2 v[18:19], v[21:22], off glc dlc
	s_waitcnt vmcnt(0)
	v_cmp_ne_u16_sdwa s20, v19, v15 src0_sel:BYTE_0 src1_sel:DWORD
	s_or_b32 s11, s20, s11
	s_andn2_b32 exec_lo, exec_lo, s11
	s_cbranch_execnz .LBB220_62
; %bb.63:
	s_or_b32 exec_lo, exec_lo, s11
.LBB220_64:
	s_or_b32 exec_lo, exec_lo, s10
	v_cmp_ne_u32_e32 vcc_lo, 31, v31
	v_mov_b32_e32 v28, 2
	v_lshlrev_b32_e64 v30, v31, -1
	v_add_nc_u32_e32 v41, 2, v31
	v_add_nc_u32_e32 v43, 4, v31
	v_add_co_ci_u32_e64 v15, null, 0, v31, vcc_lo
	v_cmp_eq_u16_sdwa s10, v19, v28 src0_sel:BYTE_0 src1_sel:DWORD
	v_cmp_gt_u32_e32 vcc_lo, 30, v31
	v_add_nc_u32_e32 v45, 8, v31
	v_lshlrev_b32_e32 v22, 2, v15
	v_lshl_or_b32 v46, v31, 2, 64
	v_and_or_b32 v17, s10, v30, 0x80000000
	v_cndmask_b32_e64 v20, 0, 2, vcc_lo
	v_add_nc_u32_e32 v47, 16, v31
	ds_bpermute_b32 v15, v22, v18
	v_ffbl_b32_e32 v17, v17
	v_add_lshl_u32 v40, v20, v31, 2
	v_cmp_lt_u32_e32 vcc_lo, v31, v17
	s_waitcnt lgkmcnt(0)
	v_cndmask_b32_e32 v15, 0, v15, vcc_lo
	v_cmp_gt_u32_e32 vcc_lo, 28, v31
	v_add_nc_u32_e32 v15, v15, v18
	v_cndmask_b32_e64 v20, 0, 4, vcc_lo
	v_cmp_le_u32_e32 vcc_lo, v41, v17
	ds_bpermute_b32 v18, v40, v15
	v_add_lshl_u32 v42, v20, v31, 2
	s_waitcnt lgkmcnt(0)
	v_cndmask_b32_e32 v18, 0, v18, vcc_lo
	v_cmp_gt_u32_e32 vcc_lo, 24, v31
	v_add_nc_u32_e32 v15, v15, v18
	v_cndmask_b32_e64 v20, 0, 8, vcc_lo
	v_cmp_le_u32_e32 vcc_lo, v43, v17
	ds_bpermute_b32 v18, v42, v15
	v_add_lshl_u32 v44, v20, v31, 2
	s_waitcnt lgkmcnt(0)
	v_cndmask_b32_e32 v18, 0, v18, vcc_lo
	v_cmp_le_u32_e32 vcc_lo, v45, v17
	v_add_nc_u32_e32 v15, v15, v18
	ds_bpermute_b32 v18, v44, v15
	s_waitcnt lgkmcnt(0)
	v_cndmask_b32_e32 v18, 0, v18, vcc_lo
	v_cmp_le_u32_e32 vcc_lo, v47, v17
	v_add_nc_u32_e32 v15, v15, v18
	ds_bpermute_b32 v18, v46, v15
	s_waitcnt lgkmcnt(0)
	v_cndmask_b32_e32 v17, 0, v18, vcc_lo
	v_add_nc_u32_e32 v18, v15, v17
	v_mov_b32_e32 v17, 0
	s_branch .LBB220_67
.LBB220_65:                             ;   in Loop: Header=BB220_67 Depth=1
	s_or_b32 exec_lo, exec_lo, s10
	ds_bpermute_b32 v20, v22, v18
	v_cmp_eq_u16_sdwa s10, v19, v28 src0_sel:BYTE_0 src1_sel:DWORD
	v_subrev_nc_u32_e32 v16, 32, v16
	v_and_or_b32 v21, s10, v30, 0x80000000
	s_mov_b32 s10, 0
	v_ffbl_b32_e32 v21, v21
	v_cmp_lt_u32_e32 vcc_lo, v31, v21
	s_waitcnt lgkmcnt(0)
	v_cndmask_b32_e32 v20, 0, v20, vcc_lo
	v_cmp_le_u32_e32 vcc_lo, v41, v21
	v_add_nc_u32_e32 v18, v20, v18
	ds_bpermute_b32 v20, v40, v18
	s_waitcnt lgkmcnt(0)
	v_cndmask_b32_e32 v20, 0, v20, vcc_lo
	v_cmp_le_u32_e32 vcc_lo, v43, v21
	v_add_nc_u32_e32 v18, v18, v20
	ds_bpermute_b32 v20, v42, v18
	;; [unrolled: 5-line block ×4, first 2 shown]
	s_waitcnt lgkmcnt(0)
	v_cndmask_b32_e32 v20, 0, v20, vcc_lo
	v_add3_u32 v18, v20, v15, v18
.LBB220_66:                             ;   in Loop: Header=BB220_67 Depth=1
	s_and_b32 vcc_lo, exec_lo, s10
	s_cbranch_vccnz .LBB220_72
.LBB220_67:                             ; =>This Loop Header: Depth=1
                                        ;     Child Loop BB220_70 Depth 2
	v_cmp_ne_u16_sdwa s10, v19, v28 src0_sel:BYTE_0 src1_sel:DWORD
	v_mov_b32_e32 v15, v18
                                        ; implicit-def: $vgpr18
                                        ; implicit-def: $vgpr19
	s_cmp_lg_u32 s10, exec_lo
	s_mov_b32 s10, -1
	s_cbranch_scc1 .LBB220_66
; %bb.68:                               ;   in Loop: Header=BB220_67 Depth=1
	v_lshlrev_b64 v[18:19], 3, v[16:17]
	v_add_co_u32 v20, vcc_lo, s18, v18
	v_add_co_ci_u32_e64 v21, null, s19, v19, vcc_lo
	global_load_dwordx2 v[18:19], v[20:21], off glc dlc
	s_waitcnt vmcnt(0)
	v_cmp_eq_u16_sdwa s11, v19, v17 src0_sel:BYTE_0 src1_sel:DWORD
	s_and_saveexec_b32 s10, s11
	s_cbranch_execz .LBB220_65
; %bb.69:                               ;   in Loop: Header=BB220_67 Depth=1
	s_mov_b32 s11, 0
.LBB220_70:                             ;   Parent Loop BB220_67 Depth=1
                                        ; =>  This Inner Loop Header: Depth=2
	global_load_dwordx2 v[18:19], v[20:21], off glc dlc
	s_waitcnt vmcnt(0)
	v_cmp_ne_u16_sdwa s20, v19, v17 src0_sel:BYTE_0 src1_sel:DWORD
	s_or_b32 s11, s20, s11
	s_andn2_b32 exec_lo, exec_lo, s11
	s_cbranch_execnz .LBB220_70
; %bb.71:                               ;   in Loop: Header=BB220_67 Depth=1
	s_or_b32 exec_lo, exec_lo, s11
	s_branch .LBB220_65
.LBB220_72:
	s_and_saveexec_b32 s10, s7
	s_cbranch_execz .LBB220_74
; %bb.73:
	s_add_i32 s20, s15, 32
	s_mov_b32 s21, 0
	v_add_nc_u32_e32 v16, v15, v14
	v_mov_b32_e32 v17, 2
	s_lshl_b64 s[20:21], s[20:21], 3
	v_mov_b32_e32 v18, 0
	s_add_u32 s20, s18, s20
	s_addc_u32 s21, s19, s21
	global_store_dwordx2 v18, v[16:17], s[20:21]
	ds_write_b64 v18, v[14:15] offset:16896
.LBB220_74:
	s_or_b32 exec_lo, exec_lo, s10
	s_and_b32 exec_lo, exec_lo, s0
; %bb.75:
	v_mov_b32_e32 v14, 0
	ds_write_b32 v14, v15 offset:60
.LBB220_76:
	s_or_b32 exec_lo, exec_lo, s8
	v_mov_b32_e32 v14, 0
	s_waitcnt lgkmcnt(0)
	s_waitcnt_vscnt null, 0x0
	s_barrier
	buffer_gl0_inv
	v_cndmask_b32_e64 v16, v26, v24, s7
	ds_read_b32 v15, v14 offset:60
	s_waitcnt lgkmcnt(0)
	s_barrier
	buffer_gl0_inv
	v_cndmask_b32_e64 v16, v16, 0, s0
	s_mov_b32 s7, 0
	v_add_nc_u32_e32 v30, v15, v16
	ds_read_b64 v[14:15], v14 offset:16896
	v_add_nc_u32_sdwa v28, v30, v11 dst_sel:DWORD dst_unused:UNUSED_PAD src0_sel:DWORD src1_sel:BYTE_0
	v_add_nc_u32_sdwa v26, v28, v37 dst_sel:DWORD dst_unused:UNUSED_PAD src0_sel:DWORD src1_sel:BYTE_0
	v_add_nc_u32_e32 v24, v26, v3
	v_add_nc_u32_e32 v22, v24, v23
	;; [unrolled: 1-line block ×5, first 2 shown]
.LBB220_77:
	s_and_b32 vcc_lo, exec_lo, s7
	s_cbranch_vccz .LBB220_87
; %bb.78:
	s_waitcnt lgkmcnt(0)
	v_mov_b32_dpp v14, v39 row_shr:1 row_mask:0xf bank_mask:0xf
	v_cndmask_b32_e64 v14, v14, 0, s1
	v_add_nc_u32_e32 v14, v14, v39
	v_mov_b32_dpp v15, v14 row_shr:2 row_mask:0xf bank_mask:0xf
	v_cndmask_b32_e64 v15, 0, v15, s3
	v_add_nc_u32_e32 v14, v14, v15
	;; [unrolled: 3-line block ×4, first 2 shown]
	ds_swizzle_b32 v15, v14 offset:swizzle(BROADCAST,32,15)
	s_waitcnt lgkmcnt(0)
	v_cndmask_b32_e64 v15, v15, 0, s6
	v_add_nc_u32_e32 v14, v14, v15
	s_and_saveexec_b32 s6, s5
; %bb.79:
	v_lshlrev_b32_e32 v15, 2, v38
	ds_write_b32 v15, v14
; %bb.80:
	s_or_b32 exec_lo, exec_lo, s6
	s_mov_b32 s5, exec_lo
	s_waitcnt lgkmcnt(0)
	s_barrier
	buffer_gl0_inv
	v_cmpx_gt_u32_e32 16, v0
	s_cbranch_execz .LBB220_82
; %bb.81:
	v_lshlrev_b32_e32 v15, 2, v0
	ds_read_b32 v16, v15
	s_waitcnt lgkmcnt(0)
	v_mov_b32_dpp v17, v16 row_shr:1 row_mask:0xf bank_mask:0xf
	v_cndmask_b32_e64 v17, v17, 0, s1
	v_add_nc_u32_e32 v16, v17, v16
	v_mov_b32_dpp v17, v16 row_shr:2 row_mask:0xf bank_mask:0xf
	v_cndmask_b32_e64 v17, 0, v17, s3
	v_add_nc_u32_e32 v16, v16, v17
	;; [unrolled: 3-line block ×4, first 2 shown]
	ds_write_b32 v15, v16
.LBB220_82:
	s_or_b32 exec_lo, exec_lo, s5
	v_mov_b32_e32 v15, 0
	v_mov_b32_e32 v16, 0
	s_mov_b32 s1, exec_lo
	s_waitcnt lgkmcnt(0)
	s_barrier
	buffer_gl0_inv
	v_cmpx_lt_u32_e32 31, v0
; %bb.83:
	v_lshl_add_u32 v16, v38, 2, -4
	ds_read_b32 v16, v16
; %bb.84:
	s_or_b32 exec_lo, exec_lo, s1
	v_sub_co_u32 v17, vcc_lo, v31, 1
	s_waitcnt lgkmcnt(0)
	v_add_nc_u32_e32 v14, v16, v14
	v_cmp_gt_i32_e64 s1, 0, v17
	v_cndmask_b32_e64 v17, v17, v31, s1
	v_lshlrev_b32_e32 v17, 2, v17
	ds_bpermute_b32 v17, v17, v14
	ds_read_b32 v14, v15 offset:60
	s_and_saveexec_b32 s1, s0
	s_cbranch_execz .LBB220_86
; %bb.85:
	v_mov_b32_e32 v18, 0
	v_mov_b32_e32 v15, 2
	s_waitcnt lgkmcnt(0)
	global_store_dwordx2 v18, v[14:15], s[18:19] offset:256
.LBB220_86:
	s_or_b32 exec_lo, exec_lo, s1
	s_waitcnt lgkmcnt(1)
	v_cndmask_b32_e32 v15, v17, v16, vcc_lo
	s_waitcnt lgkmcnt(0)
	s_waitcnt_vscnt null, 0x0
	s_barrier
	buffer_gl0_inv
	v_cndmask_b32_e64 v30, v15, 0, s0
	v_mov_b32_e32 v15, 0
	v_add_nc_u32_sdwa v28, v30, v11 dst_sel:DWORD dst_unused:UNUSED_PAD src0_sel:DWORD src1_sel:BYTE_0
	v_add_nc_u32_sdwa v26, v28, v37 dst_sel:DWORD dst_unused:UNUSED_PAD src0_sel:DWORD src1_sel:BYTE_0
	v_add_nc_u32_e32 v24, v26, v3
	v_add_nc_u32_e32 v22, v24, v23
	;; [unrolled: 1-line block ×5, first 2 shown]
.LBB220_87:
	v_and_b32_e32 v3, 1, v11
	s_waitcnt lgkmcnt(0)
	v_cmp_gt_u32_e32 vcc_lo, 0x201, v14
	s_mov_b32 s2, -1
	v_cmp_eq_u32_e64 s1, 1, v3
	s_cbranch_vccnz .LBB220_91
; %bb.88:
	s_and_b32 vcc_lo, exec_lo, s2
	s_cbranch_vccnz .LBB220_108
.LBB220_89:
	s_and_b32 s0, s0, s9
	s_and_saveexec_b32 s1, s0
	s_cbranch_execnz .LBB220_128
.LBB220_90:
	s_endpgm
.LBB220_91:
	v_add_nc_u32_e32 v17, v15, v14
	v_lshlrev_b64 v[38:39], 2, v[9:10]
	v_cmp_lt_u32_e32 vcc_lo, v30, v17
	v_add_co_u32 v11, s2, s16, v38
	v_add_co_ci_u32_e64 v38, null, s17, v39, s2
	s_or_b32 s2, s14, vcc_lo
	s_and_b32 s2, s2, s1
	s_and_saveexec_b32 s1, s2
	s_cbranch_execz .LBB220_93
; %bb.92:
	v_mov_b32_e32 v31, 0
	v_lshlrev_b64 v[39:40], 2, v[30:31]
	v_add_co_u32 v39, vcc_lo, v11, v39
	v_add_co_ci_u32_e64 v40, null, v38, v40, vcc_lo
	global_store_dword v[39:40], v7, off
.LBB220_93:
	s_or_b32 exec_lo, exec_lo, s1
	v_and_b32_e32 v19, 1, v37
	v_cmp_lt_u32_e32 vcc_lo, v28, v17
	v_cmp_eq_u32_e64 s1, 1, v19
	s_or_b32 s2, s14, vcc_lo
	s_and_b32 s2, s2, s1
	s_and_saveexec_b32 s1, s2
	s_cbranch_execz .LBB220_95
; %bb.94:
	v_mov_b32_e32 v29, 0
	v_lshlrev_b64 v[39:40], 2, v[28:29]
	v_add_co_u32 v39, vcc_lo, v11, v39
	v_add_co_ci_u32_e64 v40, null, v38, v40, vcc_lo
	global_store_dword v[39:40], v8, off
.LBB220_95:
	s_or_b32 exec_lo, exec_lo, s1
	v_and_b32_e32 v19, 1, v36
	v_cmp_lt_u32_e32 vcc_lo, v26, v17
	v_cmp_eq_u32_e64 s1, 1, v19
	;; [unrolled: 15-line block ×7, first 2 shown]
	s_or_b32 s2, s14, vcc_lo
	s_and_b32 s2, s2, s1
	s_and_saveexec_b32 s1, s2
	s_cbranch_execz .LBB220_107
; %bb.106:
	v_mov_b32_e32 v17, 0
	v_lshlrev_b64 v[39:40], 2, v[16:17]
	v_add_co_u32 v39, vcc_lo, v11, v39
	v_add_co_ci_u32_e64 v40, null, v38, v40, vcc_lo
	global_store_dword v[39:40], v32, off
.LBB220_107:
	s_or_b32 exec_lo, exec_lo, s1
	s_branch .LBB220_89
.LBB220_108:
	s_mov_b32 s1, exec_lo
	v_cmpx_eq_u32_e32 1, v3
; %bb.109:
	v_sub_nc_u32_e32 v3, v30, v15
	v_lshlrev_b32_e32 v3, 2, v3
	ds_write_b32 v3, v7
; %bb.110:
	s_or_b32 exec_lo, exec_lo, s1
	v_and_b32_e32 v3, 1, v37
	s_mov_b32 s1, exec_lo
	v_cmpx_eq_u32_e32 1, v3
; %bb.111:
	v_sub_nc_u32_e32 v3, v28, v15
	v_lshlrev_b32_e32 v3, 2, v3
	ds_write_b32 v3, v8
; %bb.112:
	s_or_b32 exec_lo, exec_lo, s1
	v_and_b32_e32 v3, 1, v36
	;; [unrolled: 9-line block ×7, first 2 shown]
	s_mov_b32 s1, exec_lo
	v_cmpx_eq_u32_e32 1, v1
; %bb.123:
	v_sub_nc_u32_e32 v1, v16, v15
	v_lshlrev_b32_e32 v1, 2, v1
	ds_write_b32 v1, v32
; %bb.124:
	s_or_b32 exec_lo, exec_lo, s1
	s_mov_b32 s2, exec_lo
	s_waitcnt lgkmcnt(0)
	s_waitcnt_vscnt null, 0x0
	s_barrier
	buffer_gl0_inv
	v_cmpx_lt_u32_e64 v0, v14
	s_cbranch_execz .LBB220_127
; %bb.125:
	v_mov_b32_e32 v2, 0
	v_mov_b32_e32 v1, v15
	v_lshlrev_b64 v[3:4], 2, v[9:10]
	s_mov_b32 s3, 0
	v_lshlrev_b64 v[1:2], 2, v[1:2]
	v_add_co_u32 v1, vcc_lo, v3, v1
	v_add_co_ci_u32_e64 v2, null, v4, v2, vcc_lo
	v_lshlrev_b32_e32 v3, 2, v0
	v_add_co_u32 v1, vcc_lo, s16, v1
	v_add_co_ci_u32_e64 v2, null, s17, v2, vcc_lo
	v_add_co_u32 v1, vcc_lo, v1, v3
	v_add_co_ci_u32_e64 v2, null, 0, v2, vcc_lo
	.p2align	6
.LBB220_126:                            ; =>This Inner Loop Header: Depth=1
	ds_read_b32 v4, v3
	v_add_nc_u32_e32 v0, 0x200, v0
	v_add_nc_u32_e32 v3, 0x800, v3
	v_cmp_ge_u32_e32 vcc_lo, v0, v14
	s_or_b32 s3, vcc_lo, s3
	s_waitcnt lgkmcnt(0)
	global_store_dword v[1:2], v4, off
	v_add_co_u32 v1, s1, 0x800, v1
	v_add_co_ci_u32_e64 v2, null, 0, v2, s1
	s_andn2_b32 exec_lo, exec_lo, s3
	s_cbranch_execnz .LBB220_126
.LBB220_127:
	s_or_b32 exec_lo, exec_lo, s2
	s_and_b32 s0, s0, s9
	s_and_saveexec_b32 s1, s0
	s_cbranch_execz .LBB220_90
.LBB220_128:
	v_add_co_u32 v0, vcc_lo, v9, v14
	v_add_co_ci_u32_e64 v1, null, 0, v10, vcc_lo
	v_mov_b32_e32 v2, 0
	v_add_co_u32 v0, vcc_lo, v0, v15
	v_add_co_ci_u32_e64 v1, null, 0, v1, vcc_lo
	global_store_dwordx2 v2, v[0:1], s[12:13]
	s_endpgm
	.section	.rodata,"a",@progbits
	.p2align	6, 0x0
	.amdhsa_kernel _ZN7rocprim17ROCPRIM_400000_NS6detail17trampoline_kernelINS0_14default_configENS1_25partition_config_selectorILNS1_17partition_subalgoE8EiNS0_10empty_typeEbEEZZNS1_14partition_implILS5_8ELb0ES3_jPKiPS6_PKS6_NS0_5tupleIJPiS6_EEENSE_IJSB_SB_EEENS0_18inequality_wrapperIN6hipcub16HIPCUB_304000_NS8EqualityEEEPlJS6_EEE10hipError_tPvRmT3_T4_T5_T6_T7_T9_mT8_P12ihipStream_tbDpT10_ENKUlT_T0_E_clISt17integral_constantIbLb0EES16_IbLb1EEEEDaS12_S13_EUlS12_E_NS1_11comp_targetILNS1_3genE8ELNS1_11target_archE1030ELNS1_3gpuE2ELNS1_3repE0EEENS1_30default_config_static_selectorELNS0_4arch9wavefront6targetE0EEEvT1_
		.amdhsa_group_segment_fixed_size 16904
		.amdhsa_private_segment_fixed_size 0
		.amdhsa_kernarg_size 128
		.amdhsa_user_sgpr_count 6
		.amdhsa_user_sgpr_private_segment_buffer 1
		.amdhsa_user_sgpr_dispatch_ptr 0
		.amdhsa_user_sgpr_queue_ptr 0
		.amdhsa_user_sgpr_kernarg_segment_ptr 1
		.amdhsa_user_sgpr_dispatch_id 0
		.amdhsa_user_sgpr_flat_scratch_init 0
		.amdhsa_user_sgpr_private_segment_size 0
		.amdhsa_wavefront_size32 1
		.amdhsa_uses_dynamic_stack 0
		.amdhsa_system_sgpr_private_segment_wavefront_offset 0
		.amdhsa_system_sgpr_workgroup_id_x 1
		.amdhsa_system_sgpr_workgroup_id_y 0
		.amdhsa_system_sgpr_workgroup_id_z 0
		.amdhsa_system_sgpr_workgroup_info 0
		.amdhsa_system_vgpr_workitem_id 0
		.amdhsa_next_free_vgpr 48
		.amdhsa_next_free_sgpr 23
		.amdhsa_reserve_vcc 1
		.amdhsa_reserve_flat_scratch 0
		.amdhsa_float_round_mode_32 0
		.amdhsa_float_round_mode_16_64 0
		.amdhsa_float_denorm_mode_32 3
		.amdhsa_float_denorm_mode_16_64 3
		.amdhsa_dx10_clamp 1
		.amdhsa_ieee_mode 1
		.amdhsa_fp16_overflow 0
		.amdhsa_workgroup_processor_mode 1
		.amdhsa_memory_ordered 1
		.amdhsa_forward_progress 1
		.amdhsa_shared_vgpr_count 0
		.amdhsa_exception_fp_ieee_invalid_op 0
		.amdhsa_exception_fp_denorm_src 0
		.amdhsa_exception_fp_ieee_div_zero 0
		.amdhsa_exception_fp_ieee_overflow 0
		.amdhsa_exception_fp_ieee_underflow 0
		.amdhsa_exception_fp_ieee_inexact 0
		.amdhsa_exception_int_div_zero 0
	.end_amdhsa_kernel
	.section	.text._ZN7rocprim17ROCPRIM_400000_NS6detail17trampoline_kernelINS0_14default_configENS1_25partition_config_selectorILNS1_17partition_subalgoE8EiNS0_10empty_typeEbEEZZNS1_14partition_implILS5_8ELb0ES3_jPKiPS6_PKS6_NS0_5tupleIJPiS6_EEENSE_IJSB_SB_EEENS0_18inequality_wrapperIN6hipcub16HIPCUB_304000_NS8EqualityEEEPlJS6_EEE10hipError_tPvRmT3_T4_T5_T6_T7_T9_mT8_P12ihipStream_tbDpT10_ENKUlT_T0_E_clISt17integral_constantIbLb0EES16_IbLb1EEEEDaS12_S13_EUlS12_E_NS1_11comp_targetILNS1_3genE8ELNS1_11target_archE1030ELNS1_3gpuE2ELNS1_3repE0EEENS1_30default_config_static_selectorELNS0_4arch9wavefront6targetE0EEEvT1_,"axG",@progbits,_ZN7rocprim17ROCPRIM_400000_NS6detail17trampoline_kernelINS0_14default_configENS1_25partition_config_selectorILNS1_17partition_subalgoE8EiNS0_10empty_typeEbEEZZNS1_14partition_implILS5_8ELb0ES3_jPKiPS6_PKS6_NS0_5tupleIJPiS6_EEENSE_IJSB_SB_EEENS0_18inequality_wrapperIN6hipcub16HIPCUB_304000_NS8EqualityEEEPlJS6_EEE10hipError_tPvRmT3_T4_T5_T6_T7_T9_mT8_P12ihipStream_tbDpT10_ENKUlT_T0_E_clISt17integral_constantIbLb0EES16_IbLb1EEEEDaS12_S13_EUlS12_E_NS1_11comp_targetILNS1_3genE8ELNS1_11target_archE1030ELNS1_3gpuE2ELNS1_3repE0EEENS1_30default_config_static_selectorELNS0_4arch9wavefront6targetE0EEEvT1_,comdat
.Lfunc_end220:
	.size	_ZN7rocprim17ROCPRIM_400000_NS6detail17trampoline_kernelINS0_14default_configENS1_25partition_config_selectorILNS1_17partition_subalgoE8EiNS0_10empty_typeEbEEZZNS1_14partition_implILS5_8ELb0ES3_jPKiPS6_PKS6_NS0_5tupleIJPiS6_EEENSE_IJSB_SB_EEENS0_18inequality_wrapperIN6hipcub16HIPCUB_304000_NS8EqualityEEEPlJS6_EEE10hipError_tPvRmT3_T4_T5_T6_T7_T9_mT8_P12ihipStream_tbDpT10_ENKUlT_T0_E_clISt17integral_constantIbLb0EES16_IbLb1EEEEDaS12_S13_EUlS12_E_NS1_11comp_targetILNS1_3genE8ELNS1_11target_archE1030ELNS1_3gpuE2ELNS1_3repE0EEENS1_30default_config_static_selectorELNS0_4arch9wavefront6targetE0EEEvT1_, .Lfunc_end220-_ZN7rocprim17ROCPRIM_400000_NS6detail17trampoline_kernelINS0_14default_configENS1_25partition_config_selectorILNS1_17partition_subalgoE8EiNS0_10empty_typeEbEEZZNS1_14partition_implILS5_8ELb0ES3_jPKiPS6_PKS6_NS0_5tupleIJPiS6_EEENSE_IJSB_SB_EEENS0_18inequality_wrapperIN6hipcub16HIPCUB_304000_NS8EqualityEEEPlJS6_EEE10hipError_tPvRmT3_T4_T5_T6_T7_T9_mT8_P12ihipStream_tbDpT10_ENKUlT_T0_E_clISt17integral_constantIbLb0EES16_IbLb1EEEEDaS12_S13_EUlS12_E_NS1_11comp_targetILNS1_3genE8ELNS1_11target_archE1030ELNS1_3gpuE2ELNS1_3repE0EEENS1_30default_config_static_selectorELNS0_4arch9wavefront6targetE0EEEvT1_
                                        ; -- End function
	.set _ZN7rocprim17ROCPRIM_400000_NS6detail17trampoline_kernelINS0_14default_configENS1_25partition_config_selectorILNS1_17partition_subalgoE8EiNS0_10empty_typeEbEEZZNS1_14partition_implILS5_8ELb0ES3_jPKiPS6_PKS6_NS0_5tupleIJPiS6_EEENSE_IJSB_SB_EEENS0_18inequality_wrapperIN6hipcub16HIPCUB_304000_NS8EqualityEEEPlJS6_EEE10hipError_tPvRmT3_T4_T5_T6_T7_T9_mT8_P12ihipStream_tbDpT10_ENKUlT_T0_E_clISt17integral_constantIbLb0EES16_IbLb1EEEEDaS12_S13_EUlS12_E_NS1_11comp_targetILNS1_3genE8ELNS1_11target_archE1030ELNS1_3gpuE2ELNS1_3repE0EEENS1_30default_config_static_selectorELNS0_4arch9wavefront6targetE0EEEvT1_.num_vgpr, 48
	.set _ZN7rocprim17ROCPRIM_400000_NS6detail17trampoline_kernelINS0_14default_configENS1_25partition_config_selectorILNS1_17partition_subalgoE8EiNS0_10empty_typeEbEEZZNS1_14partition_implILS5_8ELb0ES3_jPKiPS6_PKS6_NS0_5tupleIJPiS6_EEENSE_IJSB_SB_EEENS0_18inequality_wrapperIN6hipcub16HIPCUB_304000_NS8EqualityEEEPlJS6_EEE10hipError_tPvRmT3_T4_T5_T6_T7_T9_mT8_P12ihipStream_tbDpT10_ENKUlT_T0_E_clISt17integral_constantIbLb0EES16_IbLb1EEEEDaS12_S13_EUlS12_E_NS1_11comp_targetILNS1_3genE8ELNS1_11target_archE1030ELNS1_3gpuE2ELNS1_3repE0EEENS1_30default_config_static_selectorELNS0_4arch9wavefront6targetE0EEEvT1_.num_agpr, 0
	.set _ZN7rocprim17ROCPRIM_400000_NS6detail17trampoline_kernelINS0_14default_configENS1_25partition_config_selectorILNS1_17partition_subalgoE8EiNS0_10empty_typeEbEEZZNS1_14partition_implILS5_8ELb0ES3_jPKiPS6_PKS6_NS0_5tupleIJPiS6_EEENSE_IJSB_SB_EEENS0_18inequality_wrapperIN6hipcub16HIPCUB_304000_NS8EqualityEEEPlJS6_EEE10hipError_tPvRmT3_T4_T5_T6_T7_T9_mT8_P12ihipStream_tbDpT10_ENKUlT_T0_E_clISt17integral_constantIbLb0EES16_IbLb1EEEEDaS12_S13_EUlS12_E_NS1_11comp_targetILNS1_3genE8ELNS1_11target_archE1030ELNS1_3gpuE2ELNS1_3repE0EEENS1_30default_config_static_selectorELNS0_4arch9wavefront6targetE0EEEvT1_.numbered_sgpr, 23
	.set _ZN7rocprim17ROCPRIM_400000_NS6detail17trampoline_kernelINS0_14default_configENS1_25partition_config_selectorILNS1_17partition_subalgoE8EiNS0_10empty_typeEbEEZZNS1_14partition_implILS5_8ELb0ES3_jPKiPS6_PKS6_NS0_5tupleIJPiS6_EEENSE_IJSB_SB_EEENS0_18inequality_wrapperIN6hipcub16HIPCUB_304000_NS8EqualityEEEPlJS6_EEE10hipError_tPvRmT3_T4_T5_T6_T7_T9_mT8_P12ihipStream_tbDpT10_ENKUlT_T0_E_clISt17integral_constantIbLb0EES16_IbLb1EEEEDaS12_S13_EUlS12_E_NS1_11comp_targetILNS1_3genE8ELNS1_11target_archE1030ELNS1_3gpuE2ELNS1_3repE0EEENS1_30default_config_static_selectorELNS0_4arch9wavefront6targetE0EEEvT1_.num_named_barrier, 0
	.set _ZN7rocprim17ROCPRIM_400000_NS6detail17trampoline_kernelINS0_14default_configENS1_25partition_config_selectorILNS1_17partition_subalgoE8EiNS0_10empty_typeEbEEZZNS1_14partition_implILS5_8ELb0ES3_jPKiPS6_PKS6_NS0_5tupleIJPiS6_EEENSE_IJSB_SB_EEENS0_18inequality_wrapperIN6hipcub16HIPCUB_304000_NS8EqualityEEEPlJS6_EEE10hipError_tPvRmT3_T4_T5_T6_T7_T9_mT8_P12ihipStream_tbDpT10_ENKUlT_T0_E_clISt17integral_constantIbLb0EES16_IbLb1EEEEDaS12_S13_EUlS12_E_NS1_11comp_targetILNS1_3genE8ELNS1_11target_archE1030ELNS1_3gpuE2ELNS1_3repE0EEENS1_30default_config_static_selectorELNS0_4arch9wavefront6targetE0EEEvT1_.private_seg_size, 0
	.set _ZN7rocprim17ROCPRIM_400000_NS6detail17trampoline_kernelINS0_14default_configENS1_25partition_config_selectorILNS1_17partition_subalgoE8EiNS0_10empty_typeEbEEZZNS1_14partition_implILS5_8ELb0ES3_jPKiPS6_PKS6_NS0_5tupleIJPiS6_EEENSE_IJSB_SB_EEENS0_18inequality_wrapperIN6hipcub16HIPCUB_304000_NS8EqualityEEEPlJS6_EEE10hipError_tPvRmT3_T4_T5_T6_T7_T9_mT8_P12ihipStream_tbDpT10_ENKUlT_T0_E_clISt17integral_constantIbLb0EES16_IbLb1EEEEDaS12_S13_EUlS12_E_NS1_11comp_targetILNS1_3genE8ELNS1_11target_archE1030ELNS1_3gpuE2ELNS1_3repE0EEENS1_30default_config_static_selectorELNS0_4arch9wavefront6targetE0EEEvT1_.uses_vcc, 1
	.set _ZN7rocprim17ROCPRIM_400000_NS6detail17trampoline_kernelINS0_14default_configENS1_25partition_config_selectorILNS1_17partition_subalgoE8EiNS0_10empty_typeEbEEZZNS1_14partition_implILS5_8ELb0ES3_jPKiPS6_PKS6_NS0_5tupleIJPiS6_EEENSE_IJSB_SB_EEENS0_18inequality_wrapperIN6hipcub16HIPCUB_304000_NS8EqualityEEEPlJS6_EEE10hipError_tPvRmT3_T4_T5_T6_T7_T9_mT8_P12ihipStream_tbDpT10_ENKUlT_T0_E_clISt17integral_constantIbLb0EES16_IbLb1EEEEDaS12_S13_EUlS12_E_NS1_11comp_targetILNS1_3genE8ELNS1_11target_archE1030ELNS1_3gpuE2ELNS1_3repE0EEENS1_30default_config_static_selectorELNS0_4arch9wavefront6targetE0EEEvT1_.uses_flat_scratch, 0
	.set _ZN7rocprim17ROCPRIM_400000_NS6detail17trampoline_kernelINS0_14default_configENS1_25partition_config_selectorILNS1_17partition_subalgoE8EiNS0_10empty_typeEbEEZZNS1_14partition_implILS5_8ELb0ES3_jPKiPS6_PKS6_NS0_5tupleIJPiS6_EEENSE_IJSB_SB_EEENS0_18inequality_wrapperIN6hipcub16HIPCUB_304000_NS8EqualityEEEPlJS6_EEE10hipError_tPvRmT3_T4_T5_T6_T7_T9_mT8_P12ihipStream_tbDpT10_ENKUlT_T0_E_clISt17integral_constantIbLb0EES16_IbLb1EEEEDaS12_S13_EUlS12_E_NS1_11comp_targetILNS1_3genE8ELNS1_11target_archE1030ELNS1_3gpuE2ELNS1_3repE0EEENS1_30default_config_static_selectorELNS0_4arch9wavefront6targetE0EEEvT1_.has_dyn_sized_stack, 0
	.set _ZN7rocprim17ROCPRIM_400000_NS6detail17trampoline_kernelINS0_14default_configENS1_25partition_config_selectorILNS1_17partition_subalgoE8EiNS0_10empty_typeEbEEZZNS1_14partition_implILS5_8ELb0ES3_jPKiPS6_PKS6_NS0_5tupleIJPiS6_EEENSE_IJSB_SB_EEENS0_18inequality_wrapperIN6hipcub16HIPCUB_304000_NS8EqualityEEEPlJS6_EEE10hipError_tPvRmT3_T4_T5_T6_T7_T9_mT8_P12ihipStream_tbDpT10_ENKUlT_T0_E_clISt17integral_constantIbLb0EES16_IbLb1EEEEDaS12_S13_EUlS12_E_NS1_11comp_targetILNS1_3genE8ELNS1_11target_archE1030ELNS1_3gpuE2ELNS1_3repE0EEENS1_30default_config_static_selectorELNS0_4arch9wavefront6targetE0EEEvT1_.has_recursion, 0
	.set _ZN7rocprim17ROCPRIM_400000_NS6detail17trampoline_kernelINS0_14default_configENS1_25partition_config_selectorILNS1_17partition_subalgoE8EiNS0_10empty_typeEbEEZZNS1_14partition_implILS5_8ELb0ES3_jPKiPS6_PKS6_NS0_5tupleIJPiS6_EEENSE_IJSB_SB_EEENS0_18inequality_wrapperIN6hipcub16HIPCUB_304000_NS8EqualityEEEPlJS6_EEE10hipError_tPvRmT3_T4_T5_T6_T7_T9_mT8_P12ihipStream_tbDpT10_ENKUlT_T0_E_clISt17integral_constantIbLb0EES16_IbLb1EEEEDaS12_S13_EUlS12_E_NS1_11comp_targetILNS1_3genE8ELNS1_11target_archE1030ELNS1_3gpuE2ELNS1_3repE0EEENS1_30default_config_static_selectorELNS0_4arch9wavefront6targetE0EEEvT1_.has_indirect_call, 0
	.section	.AMDGPU.csdata,"",@progbits
; Kernel info:
; codeLenInByte = 6472
; TotalNumSgprs: 25
; NumVgprs: 48
; ScratchSize: 0
; MemoryBound: 0
; FloatMode: 240
; IeeeMode: 1
; LDSByteSize: 16904 bytes/workgroup (compile time only)
; SGPRBlocks: 0
; VGPRBlocks: 5
; NumSGPRsForWavesPerEU: 25
; NumVGPRsForWavesPerEU: 48
; Occupancy: 16
; WaveLimiterHint : 1
; COMPUTE_PGM_RSRC2:SCRATCH_EN: 0
; COMPUTE_PGM_RSRC2:USER_SGPR: 6
; COMPUTE_PGM_RSRC2:TRAP_HANDLER: 0
; COMPUTE_PGM_RSRC2:TGID_X_EN: 1
; COMPUTE_PGM_RSRC2:TGID_Y_EN: 0
; COMPUTE_PGM_RSRC2:TGID_Z_EN: 0
; COMPUTE_PGM_RSRC2:TIDIG_COMP_CNT: 0
	.section	.text._ZN2at6native12_GLOBAL__N_113renorm_kernelIddKiEEvPT_PT1_T0_S8_llllPKl,"axG",@progbits,_ZN2at6native12_GLOBAL__N_113renorm_kernelIddKiEEvPT_PT1_T0_S8_llllPKl,comdat
	.globl	_ZN2at6native12_GLOBAL__N_113renorm_kernelIddKiEEvPT_PT1_T0_S8_llllPKl ; -- Begin function _ZN2at6native12_GLOBAL__N_113renorm_kernelIddKiEEvPT_PT1_T0_S8_llllPKl
	.p2align	8
	.type	_ZN2at6native12_GLOBAL__N_113renorm_kernelIddKiEEvPT_PT1_T0_S8_llllPKl,@function
_ZN2at6native12_GLOBAL__N_113renorm_kernelIddKiEEvPT_PT1_T0_S8_llllPKl: ; @_ZN2at6native12_GLOBAL__N_113renorm_kernelIddKiEEvPT_PT1_T0_S8_llllPKl
; %bb.0:
	s_load_dwordx2 s[0:1], s[4:5], 0x40
	s_mov_b32 s7, 0
	s_waitcnt lgkmcnt(0)
	s_load_dwordx2 s[0:1], s[0:1], 0x0
	s_waitcnt lgkmcnt(0)
	v_cmp_le_i64_e64 s0, s[0:1], s[6:7]
	s_and_b32 vcc_lo, exec_lo, s0
	s_cbranch_vccnz .LBB221_28
; %bb.1:
	s_load_dwordx16 s[8:23], s[4:5], 0x0
	s_lshl_b64 s[0:1], s[6:7], 2
	s_waitcnt lgkmcnt(0)
	s_add_u32 s0, s10, s0
	s_addc_u32 s1, s11, s1
	s_load_dword s2, s[0:1], 0x0
	s_waitcnt lgkmcnt(0)
	s_cmp_lt_i32 s2, 0
	s_cbranch_scc1 .LBB221_29
; %bb.2:
	s_getpc_b64 s[0:1]
	s_add_u32 s0, s0, .str.4@rel32@lo+4
	s_addc_u32 s1, s1, .str.4@rel32@hi+12
	s_ashr_i32 s3, s2, 31
	s_cmp_eq_u64 s[0:1], 0
	v_cmp_le_i64_e64 s6, s[18:19], s[2:3]
	s_cselect_b32 s0, -1, 0
	s_or_b32 s33, s6, s0
	s_andn2_b32 vcc_lo, exec_lo, s33
	s_cbranch_vccz .LBB221_27
; %bb.3:
	v_mov_b32_e32 v1, 0
	s_mul_i32 s0, s20, s3
	s_mul_hi_u32 s1, s20, s2
	v_mov_b32_e32 v2, 0
	s_add_i32 s1, s1, s0
	v_cmp_gt_i64_e64 s0, s[16:17], v[0:1]
	v_mov_b32_e32 v3, 0
	s_mul_i32 s3, s21, s2
	s_mul_i32 s10, s20, s2
	s_add_i32 s11, s1, s3
	s_and_saveexec_b32 s74, s0
	s_cbranch_execz .LBB221_13
; %bb.4:
	s_load_dword s1, s[4:5], 0x54
	v_cmp_neq_f64_e64 s75, s[14:15], 1.0
	v_cmp_neq_f64_e64 s76, s[14:15], 2.0
	s_lshl_b64 s[2:3], s[10:11], 3
	v_mov_b32_e32 v2, 0
	s_add_u32 s78, s8, s2
	s_addc_u32 s79, s9, s3
	v_mov_b32_e32 v6, v1
	v_mov_b32_e32 v3, 0
	;; [unrolled: 1-line block ×3, first 2 shown]
	s_mov_b32 s18, 0x55555555
	s_mov_b32 s20, 0x968915a9
	s_mov_b32 s24, 0x4222de17
	s_mov_b32 s26, 0x3abe935a
	s_mov_b32 s28, 0x47e6c9c2
	s_mov_b32 s30, 0xcfa74449
	s_mov_b32 s34, 0x71bf3c30
	s_mov_b32 s36, 0x1c7792ce
	s_mov_b32 s38, 0x924920da
	s_mov_b32 s40, 0x9999999c
	s_waitcnt lgkmcnt(0)
	s_and_b32 s80, s1, 0xffff
	s_mov_b32 s42, 0xfefa39ef
	v_add_nc_u32_e32 v4, s80, v0
	s_mov_b32 s44, 0x3b39803f
	s_mov_b32 s46, 0xd5df274d
	;; [unrolled: 1-line block ×41, first 2 shown]
	s_branch .LBB221_7
.LBB221_5:                              ;   in Loop: Header=BB221_7 Depth=1
	s_waitcnt vmcnt(0)
	v_and_b32_e32 v6, 0x7fffffff, v6
	v_mov_b32_e32 v8, v6
	v_mov_b32_e32 v7, v5
.LBB221_6:                              ;   in Loop: Header=BB221_7 Depth=1
	v_add_f64 v[2:3], v[2:3], v[7:8]
	s_waitcnt vmcnt(0)
	v_ashrrev_i32_e32 v5, 31, v4
	v_cmp_le_i64_e32 vcc_lo, s[16:17], v[4:5]
	v_mov_b32_e32 v6, v5
	v_mov_b32_e32 v5, v4
	v_add_nc_u32_e32 v4, s80, v4
	s_or_b32 s77, vcc_lo, s77
	s_andn2_b32 exec_lo, exec_lo, s77
	s_cbranch_execz .LBB221_12
.LBB221_7:                              ; =>This Inner Loop Header: Depth=1
	v_mul_lo_u32 v7, v6, s22
	v_mul_lo_u32 v8, v5, s23
	v_mad_u64_u32 v[5:6], null, v5, s22, 0
	v_add3_u32 v6, v6, v8, v7
	v_lshlrev_b64 v[5:6], 3, v[5:6]
	v_add_co_u32 v5, vcc_lo, s78, v5
	v_add_co_ci_u32_e64 v6, null, s79, v6, vcc_lo
	s_and_b32 vcc_lo, exec_lo, s75
	global_load_dwordx2 v[5:6], v[5:6], off
	s_cbranch_vccz .LBB221_5
; %bb.8:                                ;   in Loop: Header=BB221_7 Depth=1
	s_and_b32 vcc_lo, exec_lo, s76
	s_cbranch_vccz .LBB221_10
; %bb.9:                                ;   in Loop: Header=BB221_7 Depth=1
	s_waitcnt vmcnt(0)
	v_cmp_neq_f64_e32 vcc_lo, 1.0, v[5:6]
	v_mov_b32_e32 v7, s15
	s_mov_b32 s6, s18
	s_mov_b32 s50, s42
	;; [unrolled: 1-line block ×3, first 2 shown]
	v_cndmask_b32_e32 v8, 0x3ff00000, v7, vcc_lo
	v_cndmask_b32_e64 v7, 0, s14, vcc_lo
	v_cmp_neq_f64_e32 vcc_lo, 0, v[7:8]
	v_cndmask_b32_e32 v10, 0x3ff00000, v6, vcc_lo
	v_cndmask_b32_e32 v9, 0, v5, vcc_lo
	v_frexp_mant_f64_e64 v[11:12], |v[9:10]|
	v_cmp_eq_f64_e64 s3, 0, v[9:10]
	v_cmp_gt_f64_e32 vcc_lo, s[18:19], v[11:12]
	v_cndmask_b32_e64 v13, 0, 1, vcc_lo
	v_ldexp_f64 v[11:12], v[11:12], v13
	v_add_f64 v[13:14], v[11:12], 1.0
	v_add_f64 v[19:20], v[11:12], -1.0
	v_rcp_f64_e32 v[15:16], v[13:14]
	v_add_f64 v[21:22], v[13:14], -1.0
	v_add_f64 v[11:12], v[11:12], -v[21:22]
	v_fma_f64 v[17:18], -v[13:14], v[15:16], 1.0
	v_fma_f64 v[15:16], v[17:18], v[15:16], v[15:16]
	v_fma_f64 v[17:18], -v[13:14], v[15:16], 1.0
	v_fma_f64 v[15:16], v[17:18], v[15:16], v[15:16]
	v_mul_f64 v[17:18], v[19:20], v[15:16]
	v_mul_f64 v[23:24], v[13:14], v[17:18]
	v_fma_f64 v[13:14], v[17:18], v[13:14], -v[23:24]
	v_fma_f64 v[11:12], v[17:18], v[11:12], v[13:14]
	v_add_f64 v[13:14], v[23:24], v[11:12]
	v_add_f64 v[21:22], v[19:20], -v[13:14]
	v_add_f64 v[23:24], v[13:14], -v[23:24]
	;; [unrolled: 1-line block ×5, first 2 shown]
	v_add_f64 v[11:12], v[11:12], v[13:14]
	v_add_f64 v[11:12], v[21:22], v[11:12]
	v_mul_f64 v[11:12], v[15:16], v[11:12]
	v_add_f64 v[13:14], v[17:18], v[11:12]
	v_add_f64 v[15:16], v[13:14], -v[17:18]
	v_mul_f64 v[17:18], v[13:14], v[13:14]
	v_add_f64 v[11:12], v[11:12], -v[15:16]
	v_fma_f64 v[15:16], v[13:14], v[13:14], -v[17:18]
	v_add_f64 v[19:20], v[11:12], v[11:12]
	v_fma_f64 v[15:16], v[13:14], v[19:20], v[15:16]
	v_add_f64 v[19:20], v[17:18], v[15:16]
	v_fma_f64 v[21:22], v[19:20], s[24:25], s[20:21]
	v_add_f64 v[17:18], v[19:20], -v[17:18]
	v_mul_f64 v[27:28], v[13:14], v[19:20]
	v_fma_f64 v[21:22], v[19:20], v[21:22], s[26:27]
	v_add_f64 v[15:16], v[15:16], -v[17:18]
	v_fma_f64 v[21:22], v[19:20], v[21:22], s[28:29]
	v_fma_f64 v[21:22], v[19:20], v[21:22], s[30:31]
	;; [unrolled: 1-line block ×6, first 2 shown]
	v_mul_f64 v[23:24], v[19:20], v[21:22]
	v_fma_f64 v[17:18], v[19:20], v[21:22], -v[23:24]
	v_fma_f64 v[17:18], v[15:16], v[21:22], v[17:18]
	v_add_f64 v[21:22], v[23:24], v[17:18]
	v_add_f64 v[25:26], v[21:22], s[18:19]
	v_add_f64 v[23:24], v[21:22], -v[23:24]
	v_add_f64 v[29:30], v[25:26], s[6:7]
	v_add_f64 v[17:18], v[17:18], -v[23:24]
	v_fma_f64 v[23:24], v[19:20], v[13:14], -v[27:28]
	v_cmp_neq_f64_e64 s6, v[7:8], |v[7:8]|
	v_add_f64 v[21:22], v[21:22], -v[29:30]
	v_add_f64 v[17:18], v[17:18], s[46:47]
	v_fma_f64 v[19:20], v[19:20], v[11:12], v[23:24]
	v_ldexp_f64 v[11:12], v[11:12], 1
	v_add_f64 v[17:18], v[17:18], v[21:22]
	v_fma_f64 v[15:16], v[15:16], v[13:14], v[19:20]
	v_ldexp_f64 v[13:14], v[13:14], 1
	v_add_f64 v[19:20], v[25:26], v[17:18]
	v_add_f64 v[21:22], v[27:28], v[15:16]
	v_add_f64 v[23:24], v[25:26], -v[19:20]
	v_mul_f64 v[25:26], v[21:22], v[19:20]
	v_add_f64 v[27:28], v[21:22], -v[27:28]
	v_add_f64 v[17:18], v[17:18], v[23:24]
	v_fma_f64 v[23:24], v[21:22], v[19:20], -v[25:26]
	v_add_f64 v[15:16], v[15:16], -v[27:28]
	v_fma_f64 v[17:18], v[21:22], v[17:18], v[23:24]
	v_fma_f64 v[15:16], v[15:16], v[19:20], v[17:18]
	v_frexp_exp_i32_f64_e32 v19, v[9:10]
	v_add_f64 v[17:18], v[25:26], v[15:16]
	v_subrev_co_ci_u32_e64 v19, null, 0, v19, vcc_lo
	v_cvt_f64_i32_e32 v[19:20], v19
	v_add_f64 v[21:22], v[13:14], v[17:18]
	v_add_f64 v[23:24], v[17:18], -v[25:26]
	v_mul_f64 v[25:26], v[19:20], s[42:43]
	v_add_f64 v[13:14], v[21:22], -v[13:14]
	v_add_f64 v[15:16], v[15:16], -v[23:24]
	v_fma_f64 v[23:24], v[19:20], s[42:43], -v[25:26]
	v_add_f64 v[13:14], v[17:18], -v[13:14]
	v_add_f64 v[11:12], v[11:12], v[15:16]
	v_fma_f64 v[15:16], v[19:20], s[44:45], v[23:24]
	v_add_f64 v[11:12], v[11:12], v[13:14]
	v_add_f64 v[13:14], v[25:26], v[15:16]
	;; [unrolled: 1-line block ×3, first 2 shown]
	v_add_f64 v[25:26], v[13:14], -v[25:26]
	v_add_f64 v[19:20], v[13:14], v[17:18]
	v_add_f64 v[21:22], v[17:18], -v[21:22]
	v_add_f64 v[15:16], v[15:16], -v[25:26]
	v_add_f64 v[23:24], v[19:20], -v[13:14]
	v_add_f64 v[11:12], v[11:12], -v[21:22]
	v_add_f64 v[27:28], v[19:20], -v[23:24]
	v_add_f64 v[17:18], v[17:18], -v[23:24]
	v_add_f64 v[21:22], v[15:16], v[11:12]
	v_add_f64 v[13:14], v[13:14], -v[27:28]
	v_add_f64 v[13:14], v[17:18], v[13:14]
	v_add_f64 v[17:18], v[21:22], -v[15:16]
	v_add_f64 v[13:14], v[21:22], v[13:14]
	v_add_f64 v[21:22], v[21:22], -v[17:18]
	v_add_f64 v[11:12], v[11:12], -v[17:18]
	v_add_f64 v[23:24], v[19:20], v[13:14]
	v_add_f64 v[15:16], v[15:16], -v[21:22]
	v_add_f64 v[17:18], v[23:24], -v[19:20]
	v_add_f64 v[11:12], v[11:12], v[15:16]
	v_add_f64 v[13:14], v[13:14], -v[17:18]
	v_add_f64 v[11:12], v[11:12], v[13:14]
	v_add_f64 v[13:14], v[23:24], v[11:12]
	v_add_f64 v[15:16], v[13:14], -v[23:24]
	v_mul_f64 v[17:18], v[7:8], v[13:14]
	v_add_f64 v[11:12], v[11:12], -v[15:16]
	v_fma_f64 v[13:14], v[7:8], v[13:14], -v[17:18]
	v_cmp_class_f64_e64 vcc_lo, v[17:18], 0x204
	v_fma_f64 v[11:12], v[7:8], v[11:12], v[13:14]
	v_add_f64 v[13:14], v[17:18], v[11:12]
	v_cndmask_b32_e32 v16, v14, v18, vcc_lo
	v_cndmask_b32_e32 v15, v13, v17, vcc_lo
	v_add_f64 v[13:14], v[13:14], -v[17:18]
	v_mul_f64 v[19:20], v[15:16], s[48:49]
	v_cmp_nlt_f64_e64 s1, 0x40900000, v[15:16]
	v_cmp_neq_f64_e64 vcc_lo, 0x7ff00000, |v[15:16]|
	v_cmp_ngt_f64_e64 s2, 0xc090cc00, v[15:16]
	v_add_f64 v[11:12], v[11:12], -v[13:14]
	v_trunc_f64_e32 v[13:14], v[7:8]
	v_rndne_f64_e32 v[19:20], v[19:20]
	v_cndmask_b32_e32 v12, 0, v12, vcc_lo
	v_cndmask_b32_e32 v11, 0, v11, vcc_lo
	s_and_b32 vcc_lo, s2, s1
	v_fma_f64 v[21:22], v[19:20], s[50:51], v[15:16]
	v_cvt_i32_f64_e32 v25, v[19:20]
	v_cmp_lt_f64_e64 s50, |v[9:10]|, 1.0
	v_fma_f64 v[21:22], v[19:20], s[52:53], v[21:22]
	s_xor_b32 s6, s6, s50
	v_cmp_class_f64_e64 s50, v[9:10], 0x204
	v_fma_f64 v[23:24], v[21:22], s[56:57], s[54:55]
	v_fma_f64 v[23:24], v[21:22], v[23:24], s[58:59]
	;; [unrolled: 1-line block ×9, first 2 shown]
	v_fma_f64 v[23:24], v[21:22], v[23:24], 1.0
	v_fma_f64 v[19:20], v[21:22], v[23:24], 1.0
	v_ldexp_f64 v[17:18], v[19:20], v25
	v_mul_f64 v[19:20], v[7:8], 0.5
	v_cndmask_b32_e64 v18, 0x7ff00000, v18, s1
	v_trunc_f64_e32 v[15:16], v[19:20]
	v_cndmask_b32_e32 v17, 0, v17, vcc_lo
	v_cmp_eq_f64_e32 vcc_lo, v[13:14], v[7:8]
	v_cndmask_b32_e64 v18, 0, v18, s2
	v_fma_f64 v[11:12], v[17:18], v[11:12], v[17:18]
	v_cmp_class_f64_e64 s2, v[17:18], 0x204
	v_cmp_neq_f64_e64 s1, v[15:16], v[19:20]
	v_cndmask_b32_e64 v15, 0x7ff00000, 0, s6
	v_cmp_neq_f64_e64 s6, |v[9:10]|, 1.0
	v_cndmask_b32_e64 v12, v12, v18, s2
	v_cndmask_b32_e64 v11, v11, v17, s2
	v_cmp_gt_f64_e64 s2, 0, v[7:8]
	v_cndmask_b32_e32 v14, 0, v11, vcc_lo
	s_and_b32 s1, vcc_lo, s1
	v_cndmask_b32_e64 v13, 0x3ff00000, v10, s1
	v_cndmask_b32_e64 v15, 0x3ff00000, v15, s6
	v_bfi_b32 v12, 0x7fffffff, v12, v13
	v_cndmask_b32_e32 v13, 0x7ff80000, v12, vcc_lo
	v_cmp_gt_f64_e32 vcc_lo, 0, v[9:10]
	s_xor_b32 s2, s2, s3
	v_cndmask_b32_e32 v11, v11, v14, vcc_lo
	v_cndmask_b32_e32 v12, v12, v13, vcc_lo
	v_cmp_class_f64_e64 vcc_lo, v[7:8], 0x204
	v_cndmask_b32_e64 v13, 0x7ff00000, 0, s2
	v_cndmask_b32_e64 v14, 0, v10, s1
	s_or_b32 s1, s3, s50
	v_bfi_b32 v13, 0x7fffffff, v13, v14
	v_cndmask_b32_e32 v12, v12, v15, vcc_lo
	v_cndmask_b32_e64 v12, v12, v13, s1
	s_or_b32 s1, s1, vcc_lo
	v_cmp_o_f64_e32 vcc_lo, v[9:10], v[7:8]
	v_cndmask_b32_e64 v11, v11, 0, s1
	v_cndmask_b32_e32 v7, 0, v11, vcc_lo
	v_cndmask_b32_e32 v8, 0x7ff80000, v12, vcc_lo
	s_cbranch_execnz .LBB221_6
	s_branch .LBB221_11
.LBB221_10:                             ;   in Loop: Header=BB221_7 Depth=1
                                        ; implicit-def: $vgpr7_vgpr8
.LBB221_11:                             ;   in Loop: Header=BB221_7 Depth=1
	s_waitcnt vmcnt(0)
	v_mul_f64 v[7:8], v[5:6], v[5:6]
	s_branch .LBB221_6
.LBB221_12:
	s_or_b32 exec_lo, exec_lo, s77
.LBB221_13:
	s_or_b32 exec_lo, exec_lo, s74
; %bb.14:
	v_mbcnt_lo_u32_b32 v10, -1, 0
	v_and_b32_e32 v11, 31, v0
	s_mov_b32 s1, exec_lo
	s_barrier
	v_lshl_or_b32 v6, v10, 2, 64
	v_cmp_gt_u32_e32 vcc_lo, 24, v10
	buffer_gl0_inv
	ds_bpermute_b32 v4, v6, v2
	ds_bpermute_b32 v5, v6, v3
	s_waitcnt lgkmcnt(0)
	v_add_f64 v[2:3], v[2:3], v[4:5]
	v_cndmask_b32_e64 v4, 0, 8, vcc_lo
	v_cmp_gt_u32_e32 vcc_lo, 28, v10
	v_add_lshl_u32 v7, v4, v10, 2
	ds_bpermute_b32 v4, v7, v2
	ds_bpermute_b32 v5, v7, v3
	s_waitcnt lgkmcnt(0)
	v_add_f64 v[2:3], v[2:3], v[4:5]
	v_cndmask_b32_e64 v4, 0, 4, vcc_lo
	v_cmp_gt_u32_e32 vcc_lo, 30, v10
	v_add_lshl_u32 v8, v4, v10, 2
	ds_bpermute_b32 v4, v8, v2
	ds_bpermute_b32 v5, v8, v3
	s_waitcnt lgkmcnt(0)
	v_add_f64 v[2:3], v[2:3], v[4:5]
	v_cndmask_b32_e64 v4, 0, 2, vcc_lo
	v_cmp_ne_u32_e32 vcc_lo, 31, v10
	v_add_lshl_u32 v9, v4, v10, 2
	ds_bpermute_b32 v4, v9, v2
	ds_bpermute_b32 v5, v9, v3
	s_waitcnt lgkmcnt(0)
	v_add_f64 v[2:3], v[2:3], v[4:5]
	v_add_co_ci_u32_e64 v4, null, 0, v10, vcc_lo
	v_lshlrev_b32_e32 v10, 2, v4
	ds_bpermute_b32 v4, v10, v2
	ds_bpermute_b32 v5, v10, v3
	v_cmpx_eq_u32_e32 0, v11
	s_cbranch_execz .LBB221_16
; %bb.15:
	s_waitcnt lgkmcnt(0)
	v_add_f64 v[2:3], v[2:3], v[4:5]
	v_lshrrev_b32_e32 v4, 2, v0
	v_add_nc_u32_e32 v4, 0, v4
	ds_write_b64 v4, v[2:3]
.LBB221_16:
	s_or_b32 exec_lo, exec_lo, s1
	s_waitcnt lgkmcnt(0)
	s_barrier
	buffer_gl0_inv
	s_load_dword s5, s[4:5], 0x54
	v_mov_b32_e32 v4, 0
	v_mov_b32_e32 v5, 0
	s_waitcnt lgkmcnt(0)
	s_bfe_u32 s1, s5, 0xb0005
	v_cmp_gt_u32_e32 vcc_lo, s1, v0
	s_and_saveexec_b32 s1, vcc_lo
; %bb.17:
	v_lshl_add_u32 v2, v11, 3, 0
	ds_read_b64 v[4:5], v2
; %bb.18:
	s_or_b32 exec_lo, exec_lo, s1
	s_mov_b32 s1, exec_lo
	v_cmpx_gt_u32_e32 32, v0
	s_cbranch_execz .LBB221_20
; %bb.19:
	s_waitcnt lgkmcnt(0)
	ds_bpermute_b32 v2, v6, v4
	ds_bpermute_b32 v3, v6, v5
	s_waitcnt lgkmcnt(0)
	v_add_f64 v[2:3], v[4:5], v[2:3]
	ds_bpermute_b32 v4, v7, v2
	ds_bpermute_b32 v5, v7, v3
	s_waitcnt lgkmcnt(0)
	v_add_f64 v[2:3], v[2:3], v[4:5]
	;; [unrolled: 4-line block ×5, first 2 shown]
.LBB221_20:
	s_or_b32 exec_lo, exec_lo, s1
	s_mov_b32 s6, exec_lo
	v_cmpx_eq_u32_e32 0, v0
	s_cbranch_execz .LBB221_22
; %bb.21:
	v_div_scale_f64 v[2:3], null, s[14:15], s[14:15], 1.0
	v_div_scale_f64 v[10:11], vcc_lo, 1.0, s[14:15], 1.0
	s_mov_b32 s3, 0x3fe55555
	s_mov_b32 s2, 0x55555555
	;; [unrolled: 1-line block ×4, first 2 shown]
	v_rcp_f64_e32 v[6:7], v[2:3]
	v_fma_f64 v[8:9], -v[2:3], v[6:7], 1.0
	v_fma_f64 v[6:7], v[6:7], v[8:9], v[6:7]
	v_fma_f64 v[8:9], -v[2:3], v[6:7], 1.0
	v_fma_f64 v[6:7], v[6:7], v[8:9], v[6:7]
	v_mul_f64 v[8:9], v[10:11], v[6:7]
	v_fma_f64 v[2:3], -v[2:3], v[8:9], v[10:11]
	v_div_fmas_f64 v[2:3], v[2:3], v[6:7], v[8:9]
	s_waitcnt lgkmcnt(0)
	v_cmp_neq_f64_e32 vcc_lo, 1.0, v[4:5]
	v_div_fixup_f64 v[2:3], v[2:3], s[14:15], 1.0
	s_mov_b32 s14, 0x968915a9
	s_mov_b32 s15, 0x3fba6564
	v_cndmask_b32_e32 v3, 0x3ff00000, v3, vcc_lo
	v_cndmask_b32_e32 v2, 0, v2, vcc_lo
	v_cmp_neq_f64_e32 vcc_lo, 0, v[2:3]
	v_cmp_neq_f64_e64 s4, v[2:3], |v[2:3]|
	v_cndmask_b32_e32 v5, 0x3ff00000, v5, vcc_lo
	v_cndmask_b32_e32 v4, 0, v4, vcc_lo
	v_frexp_mant_f64_e64 v[6:7], |v[4:5]|
	v_cmp_lt_f64_e64 s7, |v[4:5]|, 1.0
	v_cmp_gt_f64_e32 vcc_lo, s[2:3], v[6:7]
	s_xor_b32 s4, s4, s7
	v_cmp_class_f64_e64 s7, v[4:5], 0x204
	v_cndmask_b32_e64 v8, 0, 1, vcc_lo
	v_ldexp_f64 v[6:7], v[6:7], v8
	v_add_f64 v[8:9], v[6:7], 1.0
	v_add_f64 v[14:15], v[6:7], -1.0
	v_rcp_f64_e32 v[10:11], v[8:9]
	v_add_f64 v[16:17], v[8:9], -1.0
	v_add_f64 v[6:7], v[6:7], -v[16:17]
	v_fma_f64 v[12:13], -v[8:9], v[10:11], 1.0
	v_fma_f64 v[10:11], v[12:13], v[10:11], v[10:11]
	v_fma_f64 v[12:13], -v[8:9], v[10:11], 1.0
	v_fma_f64 v[10:11], v[12:13], v[10:11], v[10:11]
	v_mul_f64 v[12:13], v[14:15], v[10:11]
	v_mul_f64 v[18:19], v[8:9], v[12:13]
	v_fma_f64 v[8:9], v[12:13], v[8:9], -v[18:19]
	v_fma_f64 v[6:7], v[12:13], v[6:7], v[8:9]
	v_add_f64 v[8:9], v[18:19], v[6:7]
	v_add_f64 v[16:17], v[14:15], -v[8:9]
	v_add_f64 v[18:19], v[8:9], -v[18:19]
	;; [unrolled: 1-line block ×5, first 2 shown]
	v_add_f64 v[6:7], v[6:7], v[8:9]
	v_add_f64 v[6:7], v[16:17], v[6:7]
	v_mul_f64 v[6:7], v[10:11], v[6:7]
	v_add_f64 v[8:9], v[12:13], v[6:7]
	v_add_f64 v[10:11], v[8:9], -v[12:13]
	v_mul_f64 v[12:13], v[8:9], v[8:9]
	v_add_f64 v[6:7], v[6:7], -v[10:11]
	v_fma_f64 v[10:11], v[8:9], v[8:9], -v[12:13]
	v_add_f64 v[14:15], v[6:7], v[6:7]
	v_fma_f64 v[10:11], v[8:9], v[14:15], v[10:11]
	v_add_f64 v[14:15], v[12:13], v[10:11]
	v_fma_f64 v[16:17], v[14:15], s[18:19], s[14:15]
	s_mov_b32 s14, 0x3abe935a
	s_mov_b32 s15, 0x3fbe25e4
	v_add_f64 v[12:13], v[14:15], -v[12:13]
	v_mul_f64 v[22:23], v[8:9], v[14:15]
	s_mov_b32 s18, 0x652b82fe
	s_mov_b32 s19, 0x3ff71547
	v_fma_f64 v[16:17], v[14:15], v[16:17], s[14:15]
	s_mov_b32 s14, 0x47e6c9c2
	s_mov_b32 s15, 0x3fc110ef
	v_add_f64 v[10:11], v[10:11], -v[12:13]
	v_fma_f64 v[16:17], v[14:15], v[16:17], s[14:15]
	s_mov_b32 s14, 0xcfa74449
	s_mov_b32 s15, 0x3fc3b13b
	v_fma_f64 v[16:17], v[14:15], v[16:17], s[14:15]
	s_mov_b32 s14, 0x71bf3c30
	s_mov_b32 s15, 0x3fc745d1
	;; [unrolled: 3-line block ×6, first 2 shown]
	v_mul_f64 v[18:19], v[14:15], v[16:17]
	v_fma_f64 v[12:13], v[14:15], v[16:17], -v[18:19]
	v_fma_f64 v[12:13], v[10:11], v[16:17], v[12:13]
	v_add_f64 v[16:17], v[18:19], v[12:13]
	v_add_f64 v[20:21], v[16:17], s[2:3]
	v_add_f64 v[18:19], v[16:17], -v[18:19]
	s_mov_b32 s3, 0xbfe55555
	v_add_f64 v[24:25], v[20:21], s[2:3]
	v_add_f64 v[12:13], v[12:13], -v[18:19]
	v_fma_f64 v[18:19], v[14:15], v[8:9], -v[22:23]
	s_mov_b32 s2, 0xd5df274d
	s_mov_b32 s3, 0x3c8543b0
	v_add_f64 v[16:17], v[16:17], -v[24:25]
	v_add_f64 v[12:13], v[12:13], s[2:3]
	v_fma_f64 v[14:15], v[14:15], v[6:7], v[18:19]
	s_mov_b32 s3, 0x3fe62e42
	s_mov_b32 s2, 0xfefa39ef
	v_ldexp_f64 v[6:7], v[6:7], 1
	v_add_f64 v[12:13], v[12:13], v[16:17]
	v_fma_f64 v[10:11], v[10:11], v[8:9], v[14:15]
	v_ldexp_f64 v[8:9], v[8:9], 1
	v_add_f64 v[14:15], v[20:21], v[12:13]
	v_add_f64 v[16:17], v[22:23], v[10:11]
	v_add_f64 v[18:19], v[20:21], -v[14:15]
	v_mul_f64 v[20:21], v[16:17], v[14:15]
	v_add_f64 v[22:23], v[16:17], -v[22:23]
	v_add_f64 v[12:13], v[12:13], v[18:19]
	v_fma_f64 v[18:19], v[16:17], v[14:15], -v[20:21]
	v_add_f64 v[10:11], v[10:11], -v[22:23]
	v_fma_f64 v[12:13], v[16:17], v[12:13], v[18:19]
	v_fma_f64 v[10:11], v[10:11], v[14:15], v[12:13]
	v_frexp_exp_i32_f64_e32 v14, v[4:5]
	v_add_f64 v[12:13], v[20:21], v[10:11]
	v_subrev_co_ci_u32_e64 v14, null, 0, v14, vcc_lo
	v_cvt_f64_i32_e32 v[14:15], v14
	v_add_f64 v[16:17], v[8:9], v[12:13]
	v_add_f64 v[18:19], v[12:13], -v[20:21]
	v_mul_f64 v[20:21], v[14:15], s[2:3]
	v_add_f64 v[8:9], v[16:17], -v[8:9]
	v_add_f64 v[10:11], v[10:11], -v[18:19]
	v_fma_f64 v[18:19], v[14:15], s[2:3], -v[20:21]
	s_mov_b32 s3, 0xbfe62e42
	v_add_f64 v[8:9], v[12:13], -v[8:9]
	v_add_f64 v[6:7], v[6:7], v[10:11]
	v_fma_f64 v[10:11], v[14:15], s[14:15], v[18:19]
	s_mov_b32 s15, 0xbc7abc9e
	v_add_f64 v[6:7], v[6:7], v[8:9]
	v_add_f64 v[8:9], v[20:21], v[10:11]
	;; [unrolled: 1-line block ×3, first 2 shown]
	v_add_f64 v[20:21], v[8:9], -v[20:21]
	v_add_f64 v[14:15], v[8:9], v[12:13]
	v_add_f64 v[16:17], v[12:13], -v[16:17]
	v_add_f64 v[10:11], v[10:11], -v[20:21]
	;; [unrolled: 1-line block ×6, first 2 shown]
	v_add_f64 v[16:17], v[10:11], v[6:7]
	v_add_f64 v[8:9], v[8:9], -v[22:23]
	v_add_f64 v[8:9], v[12:13], v[8:9]
	v_add_f64 v[12:13], v[16:17], -v[10:11]
	;; [unrolled: 2-line block ×3, first 2 shown]
	v_add_f64 v[6:7], v[6:7], -v[12:13]
	v_add_f64 v[18:19], v[14:15], v[8:9]
	v_add_f64 v[10:11], v[10:11], -v[16:17]
	v_add_f64 v[12:13], v[18:19], -v[14:15]
	v_add_f64 v[6:7], v[6:7], v[10:11]
	v_add_f64 v[8:9], v[8:9], -v[12:13]
	v_add_f64 v[6:7], v[6:7], v[8:9]
	v_add_f64 v[8:9], v[18:19], v[6:7]
	v_add_f64 v[10:11], v[8:9], -v[18:19]
	v_mul_f64 v[12:13], v[2:3], v[8:9]
	v_add_f64 v[6:7], v[6:7], -v[10:11]
	v_fma_f64 v[8:9], v[2:3], v[8:9], -v[12:13]
	v_cmp_class_f64_e64 vcc_lo, v[12:13], 0x204
	v_fma_f64 v[6:7], v[2:3], v[6:7], v[8:9]
	v_add_f64 v[8:9], v[12:13], v[6:7]
	v_cndmask_b32_e32 v11, v9, v13, vcc_lo
	v_cndmask_b32_e32 v10, v8, v12, vcc_lo
	v_add_f64 v[8:9], v[8:9], -v[12:13]
	v_mul_f64 v[14:15], v[10:11], s[18:19]
	v_cmp_nlt_f64_e64 s1, 0x40900000, v[10:11]
	v_cmp_neq_f64_e64 vcc_lo, 0x7ff00000, |v[10:11]|
	v_add_f64 v[6:7], v[6:7], -v[8:9]
	v_trunc_f64_e32 v[8:9], v[2:3]
	v_rndne_f64_e32 v[14:15], v[14:15]
	v_cndmask_b32_e32 v7, 0, v7, vcc_lo
	v_cndmask_b32_e32 v6, 0, v6, vcc_lo
	v_fma_f64 v[16:17], v[14:15], s[2:3], v[10:11]
	s_mov_b32 s2, 0xfca7ab0c
	s_mov_b32 s3, 0x3e928af3
	v_cvt_i32_f64_e32 v20, v[14:15]
	v_fma_f64 v[16:17], v[14:15], s[14:15], v[16:17]
	s_mov_b32 s14, 0x6a5dcb37
	s_mov_b32 s15, 0x3e5ade15
	v_fma_f64 v[18:19], v[16:17], s[14:15], s[2:3]
	s_mov_b32 s2, 0x623fde64
	s_mov_b32 s3, 0x3ec71dee
	;; [unrolled: 3-line block ×9, first 2 shown]
	v_fma_f64 v[18:19], v[16:17], v[18:19], s[2:3]
	v_cmp_ngt_f64_e64 s2, 0xc090cc00, v[10:11]
	v_cmp_eq_f64_e64 s3, 0, v[4:5]
	v_fma_f64 v[18:19], v[16:17], v[18:19], 1.0
	s_and_b32 vcc_lo, s2, s1
	v_fma_f64 v[14:15], v[16:17], v[18:19], 1.0
	v_ldexp_f64 v[12:13], v[14:15], v20
	v_mul_f64 v[14:15], v[2:3], 0.5
	v_cndmask_b32_e64 v13, 0x7ff00000, v13, s1
	v_trunc_f64_e32 v[10:11], v[14:15]
	v_cndmask_b32_e32 v12, 0, v12, vcc_lo
	v_cmp_eq_f64_e32 vcc_lo, v[8:9], v[2:3]
	v_cndmask_b32_e64 v13, 0, v13, s2
	v_fma_f64 v[6:7], v[12:13], v[6:7], v[12:13]
	v_cmp_class_f64_e64 s2, v[12:13], 0x204
	v_cmp_neq_f64_e64 s1, v[10:11], v[14:15]
	v_cndmask_b32_e64 v10, 0x7ff00000, 0, s4
	v_cmp_neq_f64_e64 s4, |v[4:5]|, 1.0
	v_cndmask_b32_e64 v7, v7, v13, s2
	v_cndmask_b32_e64 v6, v6, v12, s2
	v_cmp_gt_f64_e64 s2, 0, v[2:3]
	v_cndmask_b32_e32 v9, 0, v6, vcc_lo
	s_and_b32 s1, vcc_lo, s1
	v_cndmask_b32_e64 v8, 0x3ff00000, v5, s1
	v_cndmask_b32_e64 v10, 0x3ff00000, v10, s4
	v_bfi_b32 v7, 0x7fffffff, v7, v8
	v_cndmask_b32_e32 v8, 0x7ff80000, v7, vcc_lo
	v_cmp_gt_f64_e32 vcc_lo, 0, v[4:5]
	s_xor_b32 s2, s2, s3
	v_cndmask_b32_e32 v6, v6, v9, vcc_lo
	v_cndmask_b32_e32 v7, v7, v8, vcc_lo
	v_cmp_class_f64_e64 vcc_lo, v[2:3], 0x204
	v_cndmask_b32_e64 v8, 0x7ff00000, 0, s2
	v_cndmask_b32_e64 v9, 0, v5, s1
	s_or_b32 s1, s3, s7
	v_bfi_b32 v8, 0x7fffffff, v8, v9
	v_cndmask_b32_e32 v7, v7, v10, vcc_lo
	v_cndmask_b32_e64 v7, v7, v8, s1
	s_or_b32 s1, s1, vcc_lo
	v_cmp_o_f64_e32 vcc_lo, v[4:5], v[2:3]
	v_cndmask_b32_e64 v6, v6, 0, s1
	v_mov_b32_e32 v4, 0
	v_cndmask_b32_e32 v2, 0, v6, vcc_lo
	v_cndmask_b32_e32 v3, 0x7ff80000, v7, vcc_lo
	ds_write_b64 v4, v[2:3]
.LBB221_22:
	s_or_b32 exec_lo, exec_lo, s6
	v_mov_b32_e32 v2, 0
	s_waitcnt lgkmcnt(0)
	s_barrier
	buffer_gl0_inv
	ds_read_b64 v[2:3], v2
	s_waitcnt lgkmcnt(0)
	v_cmp_nlt_f64_e32 vcc_lo, s[12:13], v[2:3]
	s_cbranch_vccnz .LBB221_27
; %bb.23:
	s_and_saveexec_b32 s1, s0
	s_cbranch_execz .LBB221_26
; %bb.24:
	s_mov_b32 s2, 0x9abcaf48
	s_mov_b32 s3, 0x3e7ad7f2
	s_and_b32 s0, 0xffff, s5
	v_add_f64 v[2:3], v[2:3], s[2:3]
	s_lshl_b64 s[2:3], s[10:11], 3
	s_mov_b32 s4, 0
	s_add_u32 s2, s8, s2
	s_addc_u32 s3, s9, s3
	v_div_scale_f64 v[4:5], null, v[2:3], v[2:3], s[12:13]
	v_rcp_f64_e32 v[6:7], v[4:5]
	v_fma_f64 v[8:9], -v[4:5], v[6:7], 1.0
	v_fma_f64 v[6:7], v[6:7], v[8:9], v[6:7]
	v_fma_f64 v[8:9], -v[4:5], v[6:7], 1.0
	v_fma_f64 v[6:7], v[6:7], v[8:9], v[6:7]
	v_div_scale_f64 v[8:9], vcc_lo, s[12:13], v[2:3], s[12:13]
	v_mul_f64 v[10:11], v[8:9], v[6:7]
	v_fma_f64 v[4:5], -v[4:5], v[10:11], v[8:9]
	v_div_fmas_f64 v[4:5], v[4:5], v[6:7], v[10:11]
	v_div_fixup_f64 v[2:3], v[4:5], v[2:3], s[12:13]
	v_add_nc_u32_e32 v4, s0, v0
	.p2align	6
.LBB221_25:                             ; =>This Inner Loop Header: Depth=1
	v_mul_lo_u32 v5, v1, s22
	v_mul_lo_u32 v6, v0, s23
	v_mad_u64_u32 v[0:1], null, v0, s22, 0
	v_add3_u32 v1, v1, v6, v5
	v_ashrrev_i32_e32 v5, 31, v4
	v_lshlrev_b64 v[0:1], 3, v[0:1]
	v_add_co_u32 v6, vcc_lo, s2, v0
	v_add_co_ci_u32_e64 v7, null, s3, v1, vcc_lo
	v_cmp_le_i64_e32 vcc_lo, s[16:17], v[4:5]
	global_load_dwordx2 v[0:1], v[6:7], off
	s_or_b32 s4, vcc_lo, s4
	s_waitcnt vmcnt(0)
	v_mul_f64 v[8:9], v[2:3], v[0:1]
	v_mov_b32_e32 v0, v4
	v_mov_b32_e32 v1, v5
	v_add_nc_u32_e32 v4, s0, v4
	global_store_dwordx2 v[6:7], v[8:9], off
	s_andn2_b32 exec_lo, exec_lo, s4
	s_cbranch_execnz .LBB221_25
.LBB221_26:
	s_or_b32 exec_lo, exec_lo, s1
.LBB221_27:
	s_and_b32 vcc_lo, exec_lo, s33
	s_cbranch_vccnz .LBB221_30
.LBB221_28:
	s_endpgm
.LBB221_29:
	s_cbranch_execz .LBB221_28
.LBB221_30:
	s_trap 2
	; divergent unreachable
	s_endpgm
	.section	.rodata,"a",@progbits
	.p2align	6, 0x0
	.amdhsa_kernel _ZN2at6native12_GLOBAL__N_113renorm_kernelIddKiEEvPT_PT1_T0_S8_llllPKl
		.amdhsa_group_segment_fixed_size 0
		.amdhsa_private_segment_fixed_size 0
		.amdhsa_kernarg_size 328
		.amdhsa_user_sgpr_count 6
		.amdhsa_user_sgpr_private_segment_buffer 1
		.amdhsa_user_sgpr_dispatch_ptr 0
		.amdhsa_user_sgpr_queue_ptr 0
		.amdhsa_user_sgpr_kernarg_segment_ptr 1
		.amdhsa_user_sgpr_dispatch_id 0
		.amdhsa_user_sgpr_flat_scratch_init 0
		.amdhsa_user_sgpr_private_segment_size 0
		.amdhsa_wavefront_size32 1
		.amdhsa_uses_dynamic_stack 0
		.amdhsa_system_sgpr_private_segment_wavefront_offset 0
		.amdhsa_system_sgpr_workgroup_id_x 1
		.amdhsa_system_sgpr_workgroup_id_y 0
		.amdhsa_system_sgpr_workgroup_id_z 0
		.amdhsa_system_sgpr_workgroup_info 0
		.amdhsa_system_vgpr_workitem_id 0
		.amdhsa_next_free_vgpr 31
		.amdhsa_next_free_sgpr 81
		.amdhsa_reserve_vcc 1
		.amdhsa_reserve_flat_scratch 0
		.amdhsa_float_round_mode_32 0
		.amdhsa_float_round_mode_16_64 0
		.amdhsa_float_denorm_mode_32 3
		.amdhsa_float_denorm_mode_16_64 3
		.amdhsa_dx10_clamp 1
		.amdhsa_ieee_mode 1
		.amdhsa_fp16_overflow 0
		.amdhsa_workgroup_processor_mode 1
		.amdhsa_memory_ordered 1
		.amdhsa_forward_progress 1
		.amdhsa_shared_vgpr_count 0
		.amdhsa_exception_fp_ieee_invalid_op 0
		.amdhsa_exception_fp_denorm_src 0
		.amdhsa_exception_fp_ieee_div_zero 0
		.amdhsa_exception_fp_ieee_overflow 0
		.amdhsa_exception_fp_ieee_underflow 0
		.amdhsa_exception_fp_ieee_inexact 0
		.amdhsa_exception_int_div_zero 0
	.end_amdhsa_kernel
	.section	.text._ZN2at6native12_GLOBAL__N_113renorm_kernelIddKiEEvPT_PT1_T0_S8_llllPKl,"axG",@progbits,_ZN2at6native12_GLOBAL__N_113renorm_kernelIddKiEEvPT_PT1_T0_S8_llllPKl,comdat
.Lfunc_end221:
	.size	_ZN2at6native12_GLOBAL__N_113renorm_kernelIddKiEEvPT_PT1_T0_S8_llllPKl, .Lfunc_end221-_ZN2at6native12_GLOBAL__N_113renorm_kernelIddKiEEvPT_PT1_T0_S8_llllPKl
                                        ; -- End function
	.set _ZN2at6native12_GLOBAL__N_113renorm_kernelIddKiEEvPT_PT1_T0_S8_llllPKl.num_vgpr, 31
	.set _ZN2at6native12_GLOBAL__N_113renorm_kernelIddKiEEvPT_PT1_T0_S8_llllPKl.num_agpr, 0
	.set _ZN2at6native12_GLOBAL__N_113renorm_kernelIddKiEEvPT_PT1_T0_S8_llllPKl.numbered_sgpr, 81
	.set _ZN2at6native12_GLOBAL__N_113renorm_kernelIddKiEEvPT_PT1_T0_S8_llllPKl.num_named_barrier, 0
	.set _ZN2at6native12_GLOBAL__N_113renorm_kernelIddKiEEvPT_PT1_T0_S8_llllPKl.private_seg_size, 0
	.set _ZN2at6native12_GLOBAL__N_113renorm_kernelIddKiEEvPT_PT1_T0_S8_llllPKl.uses_vcc, 1
	.set _ZN2at6native12_GLOBAL__N_113renorm_kernelIddKiEEvPT_PT1_T0_S8_llllPKl.uses_flat_scratch, 0
	.set _ZN2at6native12_GLOBAL__N_113renorm_kernelIddKiEEvPT_PT1_T0_S8_llllPKl.has_dyn_sized_stack, 0
	.set _ZN2at6native12_GLOBAL__N_113renorm_kernelIddKiEEvPT_PT1_T0_S8_llllPKl.has_recursion, 0
	.set _ZN2at6native12_GLOBAL__N_113renorm_kernelIddKiEEvPT_PT1_T0_S8_llllPKl.has_indirect_call, 0
	.section	.AMDGPU.csdata,"",@progbits
; Kernel info:
; codeLenInByte = 5200
; TotalNumSgprs: 83
; NumVgprs: 31
; ScratchSize: 0
; MemoryBound: 0
; FloatMode: 240
; IeeeMode: 1
; LDSByteSize: 0 bytes/workgroup (compile time only)
; SGPRBlocks: 0
; VGPRBlocks: 3
; NumSGPRsForWavesPerEU: 83
; NumVGPRsForWavesPerEU: 31
; Occupancy: 16
; WaveLimiterHint : 1
; COMPUTE_PGM_RSRC2:SCRATCH_EN: 0
; COMPUTE_PGM_RSRC2:USER_SGPR: 6
; COMPUTE_PGM_RSRC2:TRAP_HANDLER: 0
; COMPUTE_PGM_RSRC2:TGID_X_EN: 1
; COMPUTE_PGM_RSRC2:TGID_Y_EN: 0
; COMPUTE_PGM_RSRC2:TGID_Z_EN: 0
; COMPUTE_PGM_RSRC2:TIDIG_COMP_CNT: 0
	.section	.text._ZN2at6native12_GLOBAL__N_113renorm_kernelIffKiEEvPT_PT1_T0_S8_llllPKl,"axG",@progbits,_ZN2at6native12_GLOBAL__N_113renorm_kernelIffKiEEvPT_PT1_T0_S8_llllPKl,comdat
	.globl	_ZN2at6native12_GLOBAL__N_113renorm_kernelIffKiEEvPT_PT1_T0_S8_llllPKl ; -- Begin function _ZN2at6native12_GLOBAL__N_113renorm_kernelIffKiEEvPT_PT1_T0_S8_llllPKl
	.p2align	8
	.type	_ZN2at6native12_GLOBAL__N_113renorm_kernelIffKiEEvPT_PT1_T0_S8_llllPKl,@function
_ZN2at6native12_GLOBAL__N_113renorm_kernelIffKiEEvPT_PT1_T0_S8_llllPKl: ; @_ZN2at6native12_GLOBAL__N_113renorm_kernelIffKiEEvPT_PT1_T0_S8_llllPKl
; %bb.0:
	s_load_dwordx2 s[0:1], s[4:5], 0x38
	s_mov_b32 s7, 0
	s_waitcnt lgkmcnt(0)
	s_load_dwordx2 s[0:1], s[0:1], 0x0
	s_waitcnt lgkmcnt(0)
	v_cmp_le_i64_e64 s0, s[0:1], s[6:7]
	s_and_b32 vcc_lo, exec_lo, s0
	s_cbranch_vccnz .LBB222_28
; %bb.1:
	s_load_dwordx4 s[16:19], s[4:5], 0x0
	s_lshl_b64 s[0:1], s[6:7], 2
	s_waitcnt lgkmcnt(0)
	s_add_u32 s0, s18, s0
	s_addc_u32 s1, s19, s1
	s_load_dword s2, s[0:1], 0x0
	s_waitcnt lgkmcnt(0)
	s_cmp_lt_i32 s2, 0
	s_cbranch_scc1 .LBB222_29
; %bb.2:
	s_load_dwordx8 s[8:15], s[4:5], 0x18
	s_getpc_b64 s[0:1]
	s_add_u32 s0, s0, .str.4@rel32@lo+4
	s_addc_u32 s1, s1, .str.4@rel32@hi+12
	s_ashr_i32 s3, s2, 31
	s_cmp_eq_u64 s[0:1], 0
	s_cselect_b32 s0, -1, 0
	s_waitcnt lgkmcnt(0)
	v_cmp_le_i64_e64 s6, s[10:11], s[2:3]
	s_or_b32 s18, s6, s0
	s_andn2_b32 vcc_lo, exec_lo, s18
	s_cbranch_vccz .LBB222_27
; %bb.3:
	s_load_dwordx2 s[6:7], s[4:5], 0x10
	v_mov_b32_e32 v1, 0
	s_mul_i32 s0, s12, s3
	s_mul_hi_u32 s1, s12, s2
	s_mul_i32 s3, s13, s2
	s_add_i32 s1, s1, s0
	v_cmp_gt_i64_e64 s0, s[8:9], v[0:1]
	v_mov_b32_e32 v5, v1
	s_add_i32 s11, s1, s3
	s_mul_i32 s10, s12, s2
	s_and_saveexec_b32 s12, s0
	s_cbranch_execz .LBB222_13
; %bb.4:
	s_load_dword s1, s[4:5], 0x4c
	s_lshl_b64 s[2:3], s[10:11], 2
	v_mov_b32_e32 v4, v1
	s_add_u32 s20, s16, s2
	s_addc_u32 s21, s17, s3
	s_waitcnt lgkmcnt(0)
	v_cmp_neq_f32_e64 s13, s7, 1.0
	v_cmp_neq_f32_e64 s19, s7, 2.0
	v_mov_b32_e32 v5, 0
	v_mov_b32_e32 v3, v0
	s_mov_b32 s23, 0
	s_mov_b32 s24, 0x3e76c4e1
	s_and_b32 s22, s1, 0xffff
	v_add_nc_u32_e32 v2, s22, v0
	s_branch .LBB222_7
.LBB222_5:                              ;   in Loop: Header=BB222_7 Depth=1
	s_waitcnt vmcnt(0)
	v_and_b32_e32 v4, 0x7fffffff, v3
.LBB222_6:                              ;   in Loop: Header=BB222_7 Depth=1
	s_waitcnt vmcnt(0)
	v_ashrrev_i32_e32 v3, 31, v2
	v_add_f32_e32 v5, v5, v4
	v_cmp_le_i64_e32 vcc_lo, s[8:9], v[2:3]
	v_mov_b32_e32 v4, v3
	v_mov_b32_e32 v3, v2
	v_add_nc_u32_e32 v2, s22, v2
	s_or_b32 s23, vcc_lo, s23
	s_andn2_b32 exec_lo, exec_lo, s23
	s_cbranch_execz .LBB222_12
.LBB222_7:                              ; =>This Inner Loop Header: Depth=1
	v_mul_lo_u32 v6, v4, s14
	v_mul_lo_u32 v7, v3, s15
	v_mad_u64_u32 v[3:4], null, v3, s14, 0
	v_add3_u32 v4, v4, v7, v6
	v_lshlrev_b64 v[3:4], 2, v[3:4]
	v_add_co_u32 v3, vcc_lo, s20, v3
	v_add_co_ci_u32_e64 v4, null, s21, v4, vcc_lo
	s_and_b32 vcc_lo, exec_lo, s13
	global_load_dword v3, v[3:4], off
	s_cbranch_vccz .LBB222_5
; %bb.8:                                ;   in Loop: Header=BB222_7 Depth=1
	s_and_b32 vcc_lo, exec_lo, s19
	s_cbranch_vccz .LBB222_10
; %bb.9:                                ;   in Loop: Header=BB222_7 Depth=1
	s_waitcnt vmcnt(0)
	v_cmp_neq_f32_e32 vcc_lo, 1.0, v3
	v_cndmask_b32_e64 v4, 1.0, s7, vcc_lo
	v_cmp_neq_f32_e32 vcc_lo, 0, v4
	v_cmp_neq_f32_e64 s25, v4, |v4|
	v_cndmask_b32_e32 v8, 1.0, v3, vcc_lo
	v_frexp_mant_f32_e64 v6, |v8|
	v_cmp_lt_f32_e64 s26, |v8|, 1.0
	v_cmp_eq_f32_e64 s3, 0, v8
	v_cmp_gt_f32_e32 vcc_lo, 0x3f2aaaab, v6
	s_xor_b32 s25, s25, s26
	v_cndmask_b32_e64 v7, 1.0, 2.0, vcc_lo
	v_mul_f32_e32 v6, v6, v7
	v_add_f32_e32 v7, 1.0, v6
	v_add_f32_e32 v10, -1.0, v6
	v_rcp_f32_e32 v9, v7
	v_add_f32_e32 v12, -1.0, v7
	v_sub_f32_e32 v6, v6, v12
	v_mul_f32_e32 v11, v10, v9
	v_mul_f32_e32 v13, v7, v11
	v_fma_f32 v7, v11, v7, -v13
	v_fmac_f32_e32 v7, v11, v6
	v_add_f32_e32 v6, v13, v7
	v_sub_f32_e32 v12, v10, v6
	v_sub_f32_e32 v13, v6, v13
	;; [unrolled: 1-line block ×5, first 2 shown]
	v_add_f32_e32 v6, v7, v6
	v_add_f32_e32 v6, v12, v6
	v_mul_f32_e32 v6, v9, v6
	v_add_f32_e32 v9, v11, v6
	v_sub_f32_e32 v7, v9, v11
	v_mul_f32_e32 v10, v9, v9
	v_sub_f32_e32 v11, v6, v7
	v_fma_f32 v6, v9, v9, -v10
	v_add_f32_e32 v7, v11, v11
	v_fmac_f32_e32 v6, v9, v7
	v_add_f32_e32 v12, v10, v6
	v_fmaak_f32 v7, s24, v12, 0x3e91f4c4
	v_sub_f32_e32 v10, v12, v10
	v_mul_f32_e32 v17, v9, v12
	v_fmaak_f32 v7, v12, v7, 0x3ecccdef
	v_sub_f32_e32 v10, v6, v10
	v_fma_f32 v18, v12, v9, -v17
	v_mul_f32_e32 v13, v12, v7
	v_fmac_f32_e32 v18, v12, v11
	v_ldexp_f32 v11, v11, 1
	v_fma_f32 v14, v12, v7, -v13
	v_fmac_f32_e32 v18, v10, v9
	v_fmac_f32_e32 v14, v10, v7
	v_cvt_f64_f32_e64 v[6:7], |v8|
	v_add_f32_e32 v15, v13, v14
	v_sub_f32_e32 v13, v15, v13
	v_add_f32_e32 v16, 0x3f2aaaaa, v15
	v_sub_f32_e32 v13, v14, v13
	v_add_f32_e32 v14, 0xbf2aaaaa, v16
	v_add_f32_e32 v13, 0x31739010, v13
	v_sub_f32_e32 v14, v15, v14
	v_frexp_exp_i32_f64_e32 v6, v[6:7]
	v_add_f32_e32 v12, v13, v14
	v_add_f32_e32 v13, v17, v18
	;; [unrolled: 1-line block ×3, first 2 shown]
	v_sub_f32_e32 v15, v13, v17
	v_sub_f32_e32 v7, v16, v10
	v_mul_f32_e32 v14, v13, v10
	v_sub_f32_e32 v15, v18, v15
	v_add_f32_e32 v7, v12, v7
	v_fma_f32 v12, v13, v10, -v14
	v_subrev_co_ci_u32_e64 v6, null, 0, v6, vcc_lo
	v_fmac_f32_e32 v12, v13, v7
	v_ldexp_f32 v7, v9, 1
	v_cvt_f32_i32_e32 v6, v6
	v_fmac_f32_e32 v12, v15, v10
	v_add_f32_e32 v9, v14, v12
	v_add_f32_e32 v10, v7, v9
	v_sub_f32_e32 v13, v9, v14
	v_mul_f32_e32 v14, 0x3f317218, v6
	v_sub_f32_e32 v7, v10, v7
	v_sub_f32_e32 v12, v12, v13
	v_fma_f32 v13, 0x3f317218, v6, -v14
	v_sub_f32_e32 v7, v9, v7
	v_add_f32_e32 v9, v11, v12
	v_fmac_f32_e32 v13, 0xb102e308, v6
	v_add_f32_e32 v6, v9, v7
	v_add_f32_e32 v7, v14, v13
	;; [unrolled: 1-line block ×3, first 2 shown]
	v_sub_f32_e32 v14, v7, v14
	v_add_f32_e32 v11, v7, v9
	v_sub_f32_e32 v10, v9, v10
	v_sub_f32_e32 v13, v13, v14
	;; [unrolled: 1-line block ×6, first 2 shown]
	v_add_f32_e32 v10, v13, v6
	v_sub_f32_e32 v7, v7, v15
	v_add_f32_e32 v7, v9, v7
	v_sub_f32_e32 v9, v10, v13
	;; [unrolled: 2-line block ×3, first 2 shown]
	v_sub_f32_e32 v6, v6, v9
	v_add_f32_e32 v12, v11, v7
	v_sub_f32_e32 v9, v13, v10
	v_sub_f32_e32 v10, v12, v11
	v_add_f32_e32 v6, v6, v9
	v_sub_f32_e32 v7, v7, v10
	v_add_f32_e32 v6, v6, v7
	v_add_f32_e32 v7, v12, v6
	v_sub_f32_e32 v9, v7, v12
	v_mul_f32_e32 v10, v4, v7
	v_sub_f32_e32 v6, v6, v9
	v_fma_f32 v7, v4, v7, -v10
	v_cmp_class_f32_e64 vcc_lo, v10, 0x204
	v_fmac_f32_e32 v7, v4, v6
	v_add_f32_e32 v6, v10, v7
	v_cndmask_b32_e32 v9, v6, v10, vcc_lo
	v_sub_f32_e32 v6, v6, v10
	v_cmp_eq_f32_e32 vcc_lo, 0x42b17218, v9
	v_sub_f32_e32 v6, v7, v6
	v_cndmask_b32_e64 v11, 0, 0x37000000, vcc_lo
	v_cmp_neq_f32_e64 vcc_lo, 0x7f800000, |v9|
	v_sub_f32_e32 v12, v9, v11
	v_cndmask_b32_e32 v6, 0, v6, vcc_lo
	v_trunc_f32_e32 v9, v4
	v_mul_f32_e32 v13, 0x3fb8aa3b, v12
	v_cmp_ngt_f32_e32 vcc_lo, 0xc2ce8ed0, v12
	v_add_f32_e32 v6, v11, v6
	v_fma_f32 v14, 0x3fb8aa3b, v12, -v13
	v_rndne_f32_e32 v15, v13
	v_fmac_f32_e32 v14, 0x32a5705f, v12
	v_sub_f32_e32 v13, v13, v15
	v_cvt_i32_f32_e32 v10, v15
	v_add_f32_e32 v13, v13, v14
	v_exp_f32_e32 v13, v13
	v_ldexp_f32 v7, v13, v10
	v_mul_f32_e32 v10, 0.5, v4
	v_cndmask_b32_e32 v7, 0, v7, vcc_lo
	v_cmp_nlt_f32_e32 vcc_lo, 0x42b17218, v12
	v_trunc_f32_e32 v13, v10
	v_cndmask_b32_e32 v7, 0x7f800000, v7, vcc_lo
	v_cmp_eq_f32_e32 vcc_lo, v9, v4
	v_cmp_neq_f32_e64 s1, v13, v10
	v_fma_f32 v6, v7, v6, v7
	v_cmp_class_f32_e64 s2, v7, 0x204
	s_and_b32 s1, vcc_lo, s1
	v_cndmask_b32_e64 v9, 1.0, v8, s1
	v_cndmask_b32_e64 v6, v6, v7, s2
	v_cndmask_b32_e64 v7, 0x7f800000, 0, s25
	v_cmp_gt_f32_e64 s2, 0, v4
	v_bfi_b32 v6, 0x7fffffff, v6, v9
	s_xor_b32 s2, s2, s3
	v_cndmask_b32_e64 v10, 0x7f800000, 0, s2
	v_cndmask_b32_e32 v9, 0x7fc00000, v6, vcc_lo
	v_cmp_neq_f32_e64 vcc_lo, |v8|, 1.0
	v_cndmask_b32_e32 v7, 1.0, v7, vcc_lo
	v_cmp_gt_f32_e32 vcc_lo, 0, v8
	v_cndmask_b32_e32 v6, v6, v9, vcc_lo
	v_cndmask_b32_e64 v9, 0, v8, s1
	v_cmp_class_f32_e64 vcc_lo, v4, 0x204
	v_cmp_class_f32_e64 s1, v8, 0x204
	v_cndmask_b32_e32 v6, v6, v7, vcc_lo
	v_bfi_b32 v7, 0x7fffffff, v10, v9
	s_or_b32 vcc_lo, s3, s1
	v_cndmask_b32_e32 v6, v6, v7, vcc_lo
	v_cmp_o_f32_e32 vcc_lo, v8, v4
	v_cndmask_b32_e32 v4, 0x7fc00000, v6, vcc_lo
	s_cbranch_execnz .LBB222_6
	s_branch .LBB222_11
.LBB222_10:                             ;   in Loop: Header=BB222_7 Depth=1
                                        ; implicit-def: $vgpr4
.LBB222_11:                             ;   in Loop: Header=BB222_7 Depth=1
	s_waitcnt vmcnt(0)
	v_mul_f32_e32 v4, v3, v3
	s_branch .LBB222_6
.LBB222_12:
	s_or_b32 exec_lo, exec_lo, s23
.LBB222_13:
	s_or_b32 exec_lo, exec_lo, s12
; %bb.14:
	v_mbcnt_lo_u32_b32 v6, -1, 0
	s_mov_b32 s1, exec_lo
	s_waitcnt lgkmcnt(0)
	s_barrier
	buffer_gl0_inv
	v_lshl_or_b32 v2, v6, 2, 64
	v_cmp_gt_u32_e32 vcc_lo, 24, v6
	ds_bpermute_b32 v4, v2, v5
	v_cndmask_b32_e64 v3, 0, 8, vcc_lo
	v_cmp_gt_u32_e32 vcc_lo, 28, v6
	v_add_lshl_u32 v3, v3, v6, 2
	s_waitcnt lgkmcnt(0)
	v_add_f32_e32 v5, v5, v4
	v_cndmask_b32_e64 v4, 0, 4, vcc_lo
	v_cmp_gt_u32_e32 vcc_lo, 30, v6
	ds_bpermute_b32 v7, v3, v5
	v_add_lshl_u32 v4, v4, v6, 2
	s_waitcnt lgkmcnt(0)
	v_add_f32_e32 v7, v5, v7
	v_cndmask_b32_e64 v5, 0, 2, vcc_lo
	v_cmp_ne_u32_e32 vcc_lo, 31, v6
	ds_bpermute_b32 v8, v4, v7
	v_add_lshl_u32 v5, v5, v6, 2
	v_add_co_ci_u32_e64 v6, null, 0, v6, vcc_lo
	v_lshlrev_b32_e32 v6, 2, v6
	s_waitcnt lgkmcnt(0)
	v_add_f32_e32 v7, v7, v8
	ds_bpermute_b32 v8, v5, v7
	s_waitcnt lgkmcnt(0)
	v_add_f32_e32 v7, v7, v8
	v_and_b32_e32 v8, 31, v0
	ds_bpermute_b32 v9, v6, v7
	v_cmpx_eq_u32_e32 0, v8
	s_cbranch_execz .LBB222_16
; %bb.15:
	v_lshrrev_b32_e32 v10, 3, v0
	s_waitcnt lgkmcnt(0)
	v_add_f32_e32 v7, v7, v9
	v_add_nc_u32_e32 v9, 0, v10
	ds_write_b32 v9, v7
.LBB222_16:
	s_or_b32 exec_lo, exec_lo, s1
	s_waitcnt lgkmcnt(0)
	s_barrier
	buffer_gl0_inv
	s_load_dword s4, s[4:5], 0x4c
	v_mov_b32_e32 v7, 0
	s_waitcnt lgkmcnt(0)
	s_bfe_u32 s1, s4, 0xb0005
	v_cmp_gt_u32_e32 vcc_lo, s1, v0
	s_and_saveexec_b32 s1, vcc_lo
; %bb.17:
	v_lshl_add_u32 v7, v8, 2, 0
	ds_read_b32 v7, v7
; %bb.18:
	s_or_b32 exec_lo, exec_lo, s1
	s_mov_b32 s1, exec_lo
	v_cmpx_gt_u32_e32 32, v0
	s_cbranch_execz .LBB222_20
; %bb.19:
	s_waitcnt lgkmcnt(0)
	ds_bpermute_b32 v2, v2, v7
	s_waitcnt lgkmcnt(0)
	v_add_f32_e32 v2, v7, v2
	ds_bpermute_b32 v3, v3, v2
	s_waitcnt lgkmcnt(0)
	v_add_f32_e32 v2, v2, v3
	;; [unrolled: 3-line block ×5, first 2 shown]
.LBB222_20:
	s_or_b32 exec_lo, exec_lo, s1
	s_mov_b32 s5, exec_lo
	v_cmpx_eq_u32_e32 0, v0
	s_cbranch_execz .LBB222_22
; %bb.21:
	v_div_scale_f32 v2, null, s7, s7, 1.0
	v_div_scale_f32 v5, vcc_lo, 1.0, s7, 1.0
	s_mov_b32 s1, 0x3e76c4e1
	v_rcp_f32_e32 v3, v2
	v_fma_f32 v4, -v2, v3, 1.0
	v_fmac_f32_e32 v3, v4, v3
	v_mul_f32_e32 v4, v5, v3
	v_fma_f32 v6, -v2, v4, v5
	v_fmac_f32_e32 v4, v6, v3
	v_fma_f32 v2, -v2, v4, v5
	v_div_fmas_f32 v2, v2, v3, v4
	s_waitcnt lgkmcnt(0)
	v_cmp_neq_f32_e32 vcc_lo, 1.0, v7
	v_div_fixup_f32 v2, v2, s7, 1.0
	v_cndmask_b32_e32 v4, 1.0, v2, vcc_lo
	v_cmp_neq_f32_e32 vcc_lo, 0, v4
	v_cmp_neq_f32_e64 s7, v4, |v4|
	v_cndmask_b32_e32 v5, 1.0, v7, vcc_lo
	v_frexp_mant_f32_e64 v2, |v5|
	v_cmp_lt_f32_e64 s12, |v5|, 1.0
	v_cmp_eq_f32_e64 s3, 0, v5
	v_cmp_gt_f32_e32 vcc_lo, 0x3f2aaaab, v2
	s_xor_b32 s7, s7, s12
	v_cndmask_b32_e64 v3, 1.0, 2.0, vcc_lo
	v_mul_f32_e32 v2, v2, v3
	v_add_f32_e32 v3, 1.0, v2
	v_add_f32_e32 v7, -1.0, v2
	v_rcp_f32_e32 v6, v3
	v_add_f32_e32 v9, -1.0, v3
	v_sub_f32_e32 v2, v2, v9
	v_mul_f32_e32 v8, v7, v6
	v_mul_f32_e32 v10, v3, v8
	v_fma_f32 v3, v8, v3, -v10
	v_fmac_f32_e32 v3, v8, v2
	v_add_f32_e32 v2, v10, v3
	v_sub_f32_e32 v9, v7, v2
	v_sub_f32_e32 v10, v2, v10
	;; [unrolled: 1-line block ×5, first 2 shown]
	v_add_f32_e32 v2, v3, v2
	v_add_f32_e32 v2, v9, v2
	v_mul_f32_e32 v2, v6, v2
	v_add_f32_e32 v6, v8, v2
	v_sub_f32_e32 v3, v6, v8
	v_mul_f32_e32 v7, v6, v6
	v_sub_f32_e32 v8, v2, v3
	v_fma_f32 v2, v6, v6, -v7
	v_add_f32_e32 v3, v8, v8
	v_fmac_f32_e32 v2, v6, v3
	v_add_f32_e32 v9, v7, v2
	v_fmaak_f32 v3, s1, v9, 0x3e91f4c4
	v_sub_f32_e32 v7, v9, v7
	v_mul_f32_e32 v14, v6, v9
	v_fmaak_f32 v3, v9, v3, 0x3ecccdef
	v_sub_f32_e32 v7, v2, v7
	v_fma_f32 v15, v9, v6, -v14
	v_mul_f32_e32 v10, v9, v3
	v_fmac_f32_e32 v15, v9, v8
	v_ldexp_f32 v8, v8, 1
	v_fma_f32 v11, v9, v3, -v10
	v_fmac_f32_e32 v15, v7, v6
	v_fmac_f32_e32 v11, v7, v3
	v_cvt_f64_f32_e64 v[2:3], |v5|
	v_add_f32_e32 v12, v10, v11
	v_sub_f32_e32 v10, v12, v10
	v_add_f32_e32 v13, 0x3f2aaaaa, v12
	v_sub_f32_e32 v10, v11, v10
	v_add_f32_e32 v11, 0xbf2aaaaa, v13
	v_add_f32_e32 v10, 0x31739010, v10
	v_sub_f32_e32 v11, v12, v11
	v_frexp_exp_i32_f64_e32 v2, v[2:3]
	v_add_f32_e32 v9, v10, v11
	v_add_f32_e32 v10, v14, v15
	;; [unrolled: 1-line block ×3, first 2 shown]
	v_sub_f32_e32 v12, v10, v14
	v_sub_f32_e32 v3, v13, v7
	v_mul_f32_e32 v11, v10, v7
	v_sub_f32_e32 v12, v15, v12
	v_add_f32_e32 v3, v9, v3
	v_fma_f32 v9, v10, v7, -v11
	v_subrev_co_ci_u32_e64 v2, null, 0, v2, vcc_lo
	v_fmac_f32_e32 v9, v10, v3
	v_ldexp_f32 v3, v6, 1
	v_cvt_f32_i32_e32 v2, v2
	v_fmac_f32_e32 v9, v12, v7
	v_add_f32_e32 v6, v11, v9
	v_add_f32_e32 v7, v3, v6
	v_sub_f32_e32 v10, v6, v11
	v_mul_f32_e32 v11, 0x3f317218, v2
	v_sub_f32_e32 v3, v7, v3
	v_sub_f32_e32 v9, v9, v10
	v_fma_f32 v10, 0x3f317218, v2, -v11
	v_sub_f32_e32 v3, v6, v3
	v_add_f32_e32 v6, v8, v9
	v_fmamk_f32 v2, v2, 0xb102e308, v10
	v_add_f32_e32 v3, v6, v3
	v_add_f32_e32 v6, v11, v2
	;; [unrolled: 1-line block ×3, first 2 shown]
	v_sub_f32_e32 v11, v6, v11
	v_add_f32_e32 v9, v6, v8
	v_sub_f32_e32 v7, v8, v7
	v_sub_f32_e32 v2, v2, v11
	;; [unrolled: 1-line block ×6, first 2 shown]
	v_add_f32_e32 v8, v2, v3
	v_sub_f32_e32 v6, v6, v12
	v_add_f32_e32 v6, v7, v6
	v_sub_f32_e32 v7, v8, v2
	;; [unrolled: 2-line block ×3, first 2 shown]
	v_sub_f32_e32 v3, v3, v7
	v_add_f32_e32 v10, v9, v6
	v_sub_f32_e32 v2, v2, v8
	v_sub_f32_e32 v7, v10, v9
	v_add_f32_e32 v2, v3, v2
	v_sub_f32_e32 v3, v6, v7
	v_add_f32_e32 v2, v2, v3
	v_add_f32_e32 v3, v10, v2
	v_sub_f32_e32 v6, v3, v10
	v_mul_f32_e32 v7, v4, v3
	v_sub_f32_e32 v2, v2, v6
	v_fma_f32 v3, v4, v3, -v7
	v_cmp_class_f32_e64 vcc_lo, v7, 0x204
	v_fmac_f32_e32 v3, v4, v2
	v_add_f32_e32 v2, v7, v3
	v_cndmask_b32_e32 v6, v2, v7, vcc_lo
	v_sub_f32_e32 v2, v2, v7
	v_cmp_eq_f32_e32 vcc_lo, 0x42b17218, v6
	v_sub_f32_e32 v2, v3, v2
	v_cndmask_b32_e64 v8, 0, 0x37000000, vcc_lo
	v_cmp_neq_f32_e64 vcc_lo, 0x7f800000, |v6|
	v_sub_f32_e32 v9, v6, v8
	v_cndmask_b32_e32 v2, 0, v2, vcc_lo
	v_trunc_f32_e32 v6, v4
	v_mul_f32_e32 v10, 0x3fb8aa3b, v9
	v_cmp_ngt_f32_e32 vcc_lo, 0xc2ce8ed0, v9
	v_add_f32_e32 v2, v8, v2
	v_fma_f32 v11, 0x3fb8aa3b, v9, -v10
	v_rndne_f32_e32 v12, v10
	v_fmamk_f32 v11, v9, 0x32a5705f, v11
	v_sub_f32_e32 v10, v10, v12
	v_cvt_i32_f32_e32 v7, v12
	v_add_f32_e32 v10, v10, v11
	v_exp_f32_e32 v10, v10
	v_ldexp_f32 v3, v10, v7
	v_mul_f32_e32 v7, 0.5, v4
	v_cndmask_b32_e32 v3, 0, v3, vcc_lo
	v_cmp_nlt_f32_e32 vcc_lo, 0x42b17218, v9
	v_trunc_f32_e32 v10, v7
	v_cndmask_b32_e32 v3, 0x7f800000, v3, vcc_lo
	v_cmp_eq_f32_e32 vcc_lo, v6, v4
	v_cmp_neq_f32_e64 s1, v10, v7
	v_fma_f32 v2, v3, v2, v3
	v_cmp_class_f32_e64 s2, v3, 0x204
	s_and_b32 s1, vcc_lo, s1
	v_cndmask_b32_e64 v6, 1.0, v5, s1
	v_cndmask_b32_e64 v8, 0, v5, s1
	v_cndmask_b32_e64 v2, v2, v3, s2
	;; [unrolled: 1-line block ×3, first 2 shown]
	v_cmp_gt_f32_e64 s2, 0, v4
	v_cmp_class_f32_e64 s1, v5, 0x204
	v_bfi_b32 v2, 0x7fffffff, v2, v6
	s_xor_b32 s2, s2, s3
	v_cndmask_b32_e64 v6, 0x7f800000, 0, s2
	v_cndmask_b32_e32 v7, 0x7fc00000, v2, vcc_lo
	v_cmp_neq_f32_e64 vcc_lo, |v5|, 1.0
	v_bfi_b32 v6, 0x7fffffff, v6, v8
	v_cndmask_b32_e32 v3, 1.0, v3, vcc_lo
	v_cmp_gt_f32_e32 vcc_lo, 0, v5
	v_cndmask_b32_e32 v2, v2, v7, vcc_lo
	v_cmp_class_f32_e64 vcc_lo, v4, 0x204
	v_cndmask_b32_e32 v2, v2, v3, vcc_lo
	s_or_b32 vcc_lo, s3, s1
	v_mov_b32_e32 v3, 0
	v_cndmask_b32_e32 v2, v2, v6, vcc_lo
	v_cmp_o_f32_e32 vcc_lo, v5, v4
	v_cndmask_b32_e32 v2, 0x7fc00000, v2, vcc_lo
	ds_write_b32 v3, v2
.LBB222_22:
	s_or_b32 exec_lo, exec_lo, s5
	v_mov_b32_e32 v2, 0
	s_waitcnt lgkmcnt(0)
	s_barrier
	buffer_gl0_inv
	ds_read_b32 v2, v2
	s_waitcnt lgkmcnt(0)
	v_cmp_nlt_f32_e32 vcc_lo, s6, v2
	s_cbranch_vccnz .LBB222_27
; %bb.23:
	s_and_saveexec_b32 s1, s0
	s_cbranch_execz .LBB222_26
; %bb.24:
	v_cvt_f64_f32_e32 v[2:3], v2
	s_mov_b32 s2, 0x9abcaf48
	s_mov_b32 s3, 0x3e7ad7f2
	v_cvt_f64_f32_e32 v[4:5], s6
	s_and_b32 s0, 0xffff, s4
	s_mov_b32 s4, 0
	v_add_f64 v[2:3], v[2:3], s[2:3]
	s_lshl_b64 s[2:3], s[10:11], 2
	s_add_u32 s2, s16, s2
	s_addc_u32 s3, s17, s3
	v_div_scale_f64 v[6:7], null, v[2:3], v[2:3], v[4:5]
	v_rcp_f64_e32 v[8:9], v[6:7]
	v_fma_f64 v[10:11], -v[6:7], v[8:9], 1.0
	v_fma_f64 v[8:9], v[8:9], v[10:11], v[8:9]
	v_fma_f64 v[10:11], -v[6:7], v[8:9], 1.0
	v_fma_f64 v[8:9], v[8:9], v[10:11], v[8:9]
	v_div_scale_f64 v[10:11], vcc_lo, v[4:5], v[2:3], v[4:5]
	v_mul_f64 v[12:13], v[10:11], v[8:9]
	v_fma_f64 v[6:7], -v[6:7], v[12:13], v[10:11]
	v_div_fmas_f64 v[6:7], v[6:7], v[8:9], v[12:13]
	v_div_fixup_f64 v[2:3], v[6:7], v[2:3], v[4:5]
	v_cvt_f32_f64_e32 v4, v[2:3]
	v_add_nc_u32_e32 v2, s0, v0
	.p2align	6
.LBB222_25:                             ; =>This Inner Loop Header: Depth=1
	v_mul_lo_u32 v3, v1, s14
	v_mul_lo_u32 v5, v0, s15
	v_mad_u64_u32 v[0:1], null, v0, s14, 0
	v_add3_u32 v1, v1, v5, v3
	v_ashrrev_i32_e32 v3, 31, v2
	v_lshlrev_b64 v[0:1], 2, v[0:1]
	v_add_co_u32 v5, vcc_lo, s2, v0
	v_add_co_ci_u32_e64 v6, null, s3, v1, vcc_lo
	v_cmp_le_i64_e32 vcc_lo, s[8:9], v[2:3]
	v_mov_b32_e32 v0, v2
	v_mov_b32_e32 v1, v3
	global_load_dword v7, v[5:6], off
	v_add_nc_u32_e32 v2, s0, v2
	s_or_b32 s4, vcc_lo, s4
	s_waitcnt vmcnt(0)
	v_mul_f32_e32 v3, v7, v4
	global_store_dword v[5:6], v3, off
	s_andn2_b32 exec_lo, exec_lo, s4
	s_cbranch_execnz .LBB222_25
.LBB222_26:
	s_or_b32 exec_lo, exec_lo, s1
.LBB222_27:
	s_and_b32 vcc_lo, exec_lo, s18
	s_cbranch_vccnz .LBB222_30
.LBB222_28:
	s_endpgm
.LBB222_29:
	s_cbranch_execz .LBB222_28
.LBB222_30:
	s_trap 2
	; divergent unreachable
	s_endpgm
	.section	.rodata,"a",@progbits
	.p2align	6, 0x0
	.amdhsa_kernel _ZN2at6native12_GLOBAL__N_113renorm_kernelIffKiEEvPT_PT1_T0_S8_llllPKl
		.amdhsa_group_segment_fixed_size 0
		.amdhsa_private_segment_fixed_size 0
		.amdhsa_kernarg_size 320
		.amdhsa_user_sgpr_count 6
		.amdhsa_user_sgpr_private_segment_buffer 1
		.amdhsa_user_sgpr_dispatch_ptr 0
		.amdhsa_user_sgpr_queue_ptr 0
		.amdhsa_user_sgpr_kernarg_segment_ptr 1
		.amdhsa_user_sgpr_dispatch_id 0
		.amdhsa_user_sgpr_flat_scratch_init 0
		.amdhsa_user_sgpr_private_segment_size 0
		.amdhsa_wavefront_size32 1
		.amdhsa_uses_dynamic_stack 0
		.amdhsa_system_sgpr_private_segment_wavefront_offset 0
		.amdhsa_system_sgpr_workgroup_id_x 1
		.amdhsa_system_sgpr_workgroup_id_y 0
		.amdhsa_system_sgpr_workgroup_id_z 0
		.amdhsa_system_sgpr_workgroup_info 0
		.amdhsa_system_vgpr_workitem_id 0
		.amdhsa_next_free_vgpr 19
		.amdhsa_next_free_sgpr 27
		.amdhsa_reserve_vcc 1
		.amdhsa_reserve_flat_scratch 0
		.amdhsa_float_round_mode_32 0
		.amdhsa_float_round_mode_16_64 0
		.amdhsa_float_denorm_mode_32 3
		.amdhsa_float_denorm_mode_16_64 3
		.amdhsa_dx10_clamp 1
		.amdhsa_ieee_mode 1
		.amdhsa_fp16_overflow 0
		.amdhsa_workgroup_processor_mode 1
		.amdhsa_memory_ordered 1
		.amdhsa_forward_progress 1
		.amdhsa_shared_vgpr_count 0
		.amdhsa_exception_fp_ieee_invalid_op 0
		.amdhsa_exception_fp_denorm_src 0
		.amdhsa_exception_fp_ieee_div_zero 0
		.amdhsa_exception_fp_ieee_overflow 0
		.amdhsa_exception_fp_ieee_underflow 0
		.amdhsa_exception_fp_ieee_inexact 0
		.amdhsa_exception_int_div_zero 0
	.end_amdhsa_kernel
	.section	.text._ZN2at6native12_GLOBAL__N_113renorm_kernelIffKiEEvPT_PT1_T0_S8_llllPKl,"axG",@progbits,_ZN2at6native12_GLOBAL__N_113renorm_kernelIffKiEEvPT_PT1_T0_S8_llllPKl,comdat
.Lfunc_end222:
	.size	_ZN2at6native12_GLOBAL__N_113renorm_kernelIffKiEEvPT_PT1_T0_S8_llllPKl, .Lfunc_end222-_ZN2at6native12_GLOBAL__N_113renorm_kernelIffKiEEvPT_PT1_T0_S8_llllPKl
                                        ; -- End function
	.set _ZN2at6native12_GLOBAL__N_113renorm_kernelIffKiEEvPT_PT1_T0_S8_llllPKl.num_vgpr, 19
	.set _ZN2at6native12_GLOBAL__N_113renorm_kernelIffKiEEvPT_PT1_T0_S8_llllPKl.num_agpr, 0
	.set _ZN2at6native12_GLOBAL__N_113renorm_kernelIffKiEEvPT_PT1_T0_S8_llllPKl.numbered_sgpr, 27
	.set _ZN2at6native12_GLOBAL__N_113renorm_kernelIffKiEEvPT_PT1_T0_S8_llllPKl.num_named_barrier, 0
	.set _ZN2at6native12_GLOBAL__N_113renorm_kernelIffKiEEvPT_PT1_T0_S8_llllPKl.private_seg_size, 0
	.set _ZN2at6native12_GLOBAL__N_113renorm_kernelIffKiEEvPT_PT1_T0_S8_llllPKl.uses_vcc, 1
	.set _ZN2at6native12_GLOBAL__N_113renorm_kernelIffKiEEvPT_PT1_T0_S8_llllPKl.uses_flat_scratch, 0
	.set _ZN2at6native12_GLOBAL__N_113renorm_kernelIffKiEEvPT_PT1_T0_S8_llllPKl.has_dyn_sized_stack, 0
	.set _ZN2at6native12_GLOBAL__N_113renorm_kernelIffKiEEvPT_PT1_T0_S8_llllPKl.has_recursion, 0
	.set _ZN2at6native12_GLOBAL__N_113renorm_kernelIffKiEEvPT_PT1_T0_S8_llllPKl.has_indirect_call, 0
	.section	.AMDGPU.csdata,"",@progbits
; Kernel info:
; codeLenInByte = 3148
; TotalNumSgprs: 29
; NumVgprs: 19
; ScratchSize: 0
; MemoryBound: 0
; FloatMode: 240
; IeeeMode: 1
; LDSByteSize: 0 bytes/workgroup (compile time only)
; SGPRBlocks: 0
; VGPRBlocks: 2
; NumSGPRsForWavesPerEU: 29
; NumVGPRsForWavesPerEU: 19
; Occupancy: 16
; WaveLimiterHint : 1
; COMPUTE_PGM_RSRC2:SCRATCH_EN: 0
; COMPUTE_PGM_RSRC2:USER_SGPR: 6
; COMPUTE_PGM_RSRC2:TRAP_HANDLER: 0
; COMPUTE_PGM_RSRC2:TGID_X_EN: 1
; COMPUTE_PGM_RSRC2:TGID_Y_EN: 0
; COMPUTE_PGM_RSRC2:TGID_Z_EN: 0
; COMPUTE_PGM_RSRC2:TIDIG_COMP_CNT: 0
	.section	.text._ZN2at6native12_GLOBAL__N_113renorm_kernelIN3c104HalfEfKiEEvPT_PT1_T0_SA_llllPKl,"axG",@progbits,_ZN2at6native12_GLOBAL__N_113renorm_kernelIN3c104HalfEfKiEEvPT_PT1_T0_SA_llllPKl,comdat
	.globl	_ZN2at6native12_GLOBAL__N_113renorm_kernelIN3c104HalfEfKiEEvPT_PT1_T0_SA_llllPKl ; -- Begin function _ZN2at6native12_GLOBAL__N_113renorm_kernelIN3c104HalfEfKiEEvPT_PT1_T0_SA_llllPKl
	.p2align	8
	.type	_ZN2at6native12_GLOBAL__N_113renorm_kernelIN3c104HalfEfKiEEvPT_PT1_T0_SA_llllPKl,@function
_ZN2at6native12_GLOBAL__N_113renorm_kernelIN3c104HalfEfKiEEvPT_PT1_T0_SA_llllPKl: ; @_ZN2at6native12_GLOBAL__N_113renorm_kernelIN3c104HalfEfKiEEvPT_PT1_T0_SA_llllPKl
; %bb.0:
	s_load_dwordx2 s[0:1], s[4:5], 0x38
	s_mov_b32 s7, 0
	s_waitcnt lgkmcnt(0)
	s_load_dwordx2 s[0:1], s[0:1], 0x0
	s_waitcnt lgkmcnt(0)
	v_cmp_le_i64_e64 s0, s[0:1], s[6:7]
	s_and_b32 vcc_lo, exec_lo, s0
	s_cbranch_vccnz .LBB223_28
; %bb.1:
	s_load_dwordx4 s[16:19], s[4:5], 0x0
	s_lshl_b64 s[0:1], s[6:7], 2
	s_waitcnt lgkmcnt(0)
	s_add_u32 s0, s18, s0
	s_addc_u32 s1, s19, s1
	s_load_dword s2, s[0:1], 0x0
	s_waitcnt lgkmcnt(0)
	s_cmp_lt_i32 s2, 0
	s_cbranch_scc1 .LBB223_29
; %bb.2:
	s_load_dwordx8 s[8:15], s[4:5], 0x18
	s_getpc_b64 s[0:1]
	s_add_u32 s0, s0, .str.4@rel32@lo+4
	s_addc_u32 s1, s1, .str.4@rel32@hi+12
	s_ashr_i32 s3, s2, 31
	s_cmp_eq_u64 s[0:1], 0
	s_cselect_b32 s0, -1, 0
	s_waitcnt lgkmcnt(0)
	v_cmp_le_i64_e64 s6, s[10:11], s[2:3]
	s_or_b32 s18, s6, s0
	s_andn2_b32 vcc_lo, exec_lo, s18
	s_cbranch_vccz .LBB223_27
; %bb.3:
	s_load_dwordx2 s[10:11], s[4:5], 0x10
	v_mov_b32_e32 v1, 0
	s_mul_i32 s0, s12, s3
	s_mul_hi_u32 s1, s12, s2
	s_mul_i32 s3, s13, s2
	s_add_i32 s1, s1, s0
	v_cmp_gt_i64_e64 s0, s[8:9], v[0:1]
	v_mov_b32_e32 v5, v1
	s_add_i32 s7, s1, s3
	s_mul_i32 s6, s12, s2
	s_and_saveexec_b32 s12, s0
	s_cbranch_execz .LBB223_13
; %bb.4:
	s_load_dword s1, s[4:5], 0x4c
	s_lshl_b64 s[2:3], s[6:7], 1
	v_mov_b32_e32 v4, v1
	s_add_u32 s20, s16, s2
	s_addc_u32 s21, s17, s3
	s_waitcnt lgkmcnt(0)
	v_cmp_neq_f32_e64 s13, s11, 1.0
	v_cmp_neq_f32_e64 s19, s11, 2.0
	v_mov_b32_e32 v5, 0
	v_mov_b32_e32 v3, v0
	s_mov_b32 s23, 0
	s_mov_b32 s24, 0x3e76c4e1
	s_and_b32 s22, s1, 0xffff
	v_add_nc_u32_e32 v2, s22, v0
	s_branch .LBB223_7
.LBB223_5:                              ;   in Loop: Header=BB223_7 Depth=1
	v_and_b32_e32 v4, 0x7fffffff, v3
.LBB223_6:                              ;   in Loop: Header=BB223_7 Depth=1
	v_ashrrev_i32_e32 v3, 31, v2
	v_add_f32_e32 v5, v5, v4
	v_cmp_le_i64_e32 vcc_lo, s[8:9], v[2:3]
	v_mov_b32_e32 v4, v3
	v_mov_b32_e32 v3, v2
	v_add_nc_u32_e32 v2, s22, v2
	s_or_b32 s23, vcc_lo, s23
	s_andn2_b32 exec_lo, exec_lo, s23
	s_cbranch_execz .LBB223_12
.LBB223_7:                              ; =>This Inner Loop Header: Depth=1
	v_mul_lo_u32 v6, v4, s14
	v_mul_lo_u32 v7, v3, s15
	v_mad_u64_u32 v[3:4], null, v3, s14, 0
	v_add3_u32 v4, v4, v7, v6
	v_lshlrev_b64 v[3:4], 1, v[3:4]
	v_add_co_u32 v3, vcc_lo, s20, v3
	v_add_co_ci_u32_e64 v4, null, s21, v4, vcc_lo
	s_and_b32 vcc_lo, exec_lo, s13
	global_load_ushort v4, v[3:4], off
	s_waitcnt vmcnt(0)
	v_cvt_f32_f16_e32 v3, v4
	s_cbranch_vccz .LBB223_5
; %bb.8:                                ;   in Loop: Header=BB223_7 Depth=1
	s_and_b32 vcc_lo, exec_lo, s19
	s_cbranch_vccz .LBB223_10
; %bb.9:                                ;   in Loop: Header=BB223_7 Depth=1
	v_cmp_neq_f16_e32 vcc_lo, 1.0, v4
	v_cndmask_b32_e64 v4, 1.0, s11, vcc_lo
	v_cmp_neq_f32_e32 vcc_lo, 0, v4
	v_cmp_neq_f32_e64 s25, v4, |v4|
	v_cndmask_b32_e32 v8, 1.0, v3, vcc_lo
	v_frexp_mant_f32_e64 v6, |v8|
	v_cmp_lt_f32_e64 s26, |v8|, 1.0
	v_cmp_eq_f32_e64 s3, 0, v8
	v_cmp_gt_f32_e32 vcc_lo, 0x3f2aaaab, v6
	s_xor_b32 s25, s25, s26
	v_cndmask_b32_e64 v7, 1.0, 2.0, vcc_lo
	v_mul_f32_e32 v6, v6, v7
	v_add_f32_e32 v7, 1.0, v6
	v_add_f32_e32 v10, -1.0, v6
	v_rcp_f32_e32 v9, v7
	v_add_f32_e32 v12, -1.0, v7
	v_sub_f32_e32 v6, v6, v12
	v_mul_f32_e32 v11, v10, v9
	v_mul_f32_e32 v13, v7, v11
	v_fma_f32 v7, v11, v7, -v13
	v_fmac_f32_e32 v7, v11, v6
	v_add_f32_e32 v6, v13, v7
	v_sub_f32_e32 v12, v10, v6
	v_sub_f32_e32 v13, v6, v13
	;; [unrolled: 1-line block ×5, first 2 shown]
	v_add_f32_e32 v6, v7, v6
	v_add_f32_e32 v6, v12, v6
	v_mul_f32_e32 v6, v9, v6
	v_add_f32_e32 v9, v11, v6
	v_sub_f32_e32 v7, v9, v11
	v_mul_f32_e32 v10, v9, v9
	v_sub_f32_e32 v11, v6, v7
	v_fma_f32 v6, v9, v9, -v10
	v_add_f32_e32 v7, v11, v11
	v_fmac_f32_e32 v6, v9, v7
	v_add_f32_e32 v12, v10, v6
	v_fmaak_f32 v7, s24, v12, 0x3e91f4c4
	v_sub_f32_e32 v10, v12, v10
	v_mul_f32_e32 v17, v9, v12
	v_fmaak_f32 v7, v12, v7, 0x3ecccdef
	v_sub_f32_e32 v10, v6, v10
	v_fma_f32 v18, v12, v9, -v17
	v_mul_f32_e32 v13, v12, v7
	v_fmac_f32_e32 v18, v12, v11
	v_ldexp_f32 v11, v11, 1
	v_fma_f32 v14, v12, v7, -v13
	v_fmac_f32_e32 v18, v10, v9
	v_fmac_f32_e32 v14, v10, v7
	v_cvt_f64_f32_e64 v[6:7], |v8|
	v_add_f32_e32 v15, v13, v14
	v_sub_f32_e32 v13, v15, v13
	v_add_f32_e32 v16, 0x3f2aaaaa, v15
	v_sub_f32_e32 v13, v14, v13
	v_add_f32_e32 v14, 0xbf2aaaaa, v16
	v_add_f32_e32 v13, 0x31739010, v13
	v_sub_f32_e32 v14, v15, v14
	v_frexp_exp_i32_f64_e32 v6, v[6:7]
	v_add_f32_e32 v12, v13, v14
	v_add_f32_e32 v13, v17, v18
	;; [unrolled: 1-line block ×3, first 2 shown]
	v_sub_f32_e32 v15, v13, v17
	v_sub_f32_e32 v7, v16, v10
	v_mul_f32_e32 v14, v13, v10
	v_sub_f32_e32 v15, v18, v15
	v_add_f32_e32 v7, v12, v7
	v_fma_f32 v12, v13, v10, -v14
	v_subrev_co_ci_u32_e64 v6, null, 0, v6, vcc_lo
	v_fmac_f32_e32 v12, v13, v7
	v_ldexp_f32 v7, v9, 1
	v_cvt_f32_i32_e32 v6, v6
	v_fmac_f32_e32 v12, v15, v10
	v_add_f32_e32 v9, v14, v12
	v_add_f32_e32 v10, v7, v9
	v_sub_f32_e32 v13, v9, v14
	v_mul_f32_e32 v14, 0x3f317218, v6
	v_sub_f32_e32 v7, v10, v7
	v_sub_f32_e32 v12, v12, v13
	v_fma_f32 v13, 0x3f317218, v6, -v14
	v_sub_f32_e32 v7, v9, v7
	v_add_f32_e32 v9, v11, v12
	v_fmac_f32_e32 v13, 0xb102e308, v6
	v_add_f32_e32 v6, v9, v7
	v_add_f32_e32 v7, v14, v13
	;; [unrolled: 1-line block ×3, first 2 shown]
	v_sub_f32_e32 v14, v7, v14
	v_add_f32_e32 v11, v7, v9
	v_sub_f32_e32 v10, v9, v10
	v_sub_f32_e32 v13, v13, v14
	;; [unrolled: 1-line block ×6, first 2 shown]
	v_add_f32_e32 v10, v13, v6
	v_sub_f32_e32 v7, v7, v15
	v_add_f32_e32 v7, v9, v7
	v_sub_f32_e32 v9, v10, v13
	;; [unrolled: 2-line block ×3, first 2 shown]
	v_sub_f32_e32 v6, v6, v9
	v_add_f32_e32 v12, v11, v7
	v_sub_f32_e32 v9, v13, v10
	v_sub_f32_e32 v10, v12, v11
	v_add_f32_e32 v6, v6, v9
	v_sub_f32_e32 v7, v7, v10
	v_add_f32_e32 v6, v6, v7
	v_add_f32_e32 v7, v12, v6
	v_sub_f32_e32 v9, v7, v12
	v_mul_f32_e32 v10, v4, v7
	v_sub_f32_e32 v6, v6, v9
	v_fma_f32 v7, v4, v7, -v10
	v_cmp_class_f32_e64 vcc_lo, v10, 0x204
	v_fmac_f32_e32 v7, v4, v6
	v_add_f32_e32 v6, v10, v7
	v_cndmask_b32_e32 v9, v6, v10, vcc_lo
	v_sub_f32_e32 v6, v6, v10
	v_cmp_eq_f32_e32 vcc_lo, 0x42b17218, v9
	v_sub_f32_e32 v6, v7, v6
	v_cndmask_b32_e64 v11, 0, 0x37000000, vcc_lo
	v_cmp_neq_f32_e64 vcc_lo, 0x7f800000, |v9|
	v_sub_f32_e32 v12, v9, v11
	v_cndmask_b32_e32 v6, 0, v6, vcc_lo
	v_trunc_f32_e32 v9, v4
	v_mul_f32_e32 v13, 0x3fb8aa3b, v12
	v_cmp_ngt_f32_e32 vcc_lo, 0xc2ce8ed0, v12
	v_add_f32_e32 v6, v11, v6
	v_fma_f32 v14, 0x3fb8aa3b, v12, -v13
	v_rndne_f32_e32 v15, v13
	v_fmac_f32_e32 v14, 0x32a5705f, v12
	v_sub_f32_e32 v13, v13, v15
	v_cvt_i32_f32_e32 v10, v15
	v_add_f32_e32 v13, v13, v14
	v_exp_f32_e32 v13, v13
	v_ldexp_f32 v7, v13, v10
	v_mul_f32_e32 v10, 0.5, v4
	v_cndmask_b32_e32 v7, 0, v7, vcc_lo
	v_cmp_nlt_f32_e32 vcc_lo, 0x42b17218, v12
	v_trunc_f32_e32 v13, v10
	v_cndmask_b32_e32 v7, 0x7f800000, v7, vcc_lo
	v_cmp_eq_f32_e32 vcc_lo, v9, v4
	v_cmp_neq_f32_e64 s1, v13, v10
	v_fma_f32 v6, v7, v6, v7
	v_cmp_class_f32_e64 s2, v7, 0x204
	s_and_b32 s1, vcc_lo, s1
	v_cndmask_b32_e64 v9, 1.0, v8, s1
	v_cndmask_b32_e64 v6, v6, v7, s2
	v_cndmask_b32_e64 v7, 0x7f800000, 0, s25
	v_cmp_gt_f32_e64 s2, 0, v4
	v_bfi_b32 v6, 0x7fffffff, v6, v9
	s_xor_b32 s2, s2, s3
	v_cndmask_b32_e64 v10, 0x7f800000, 0, s2
	v_cndmask_b32_e32 v9, 0x7fc00000, v6, vcc_lo
	v_cmp_neq_f32_e64 vcc_lo, |v8|, 1.0
	v_cndmask_b32_e32 v7, 1.0, v7, vcc_lo
	v_cmp_gt_f32_e32 vcc_lo, 0, v8
	v_cndmask_b32_e32 v6, v6, v9, vcc_lo
	v_cndmask_b32_e64 v9, 0, v8, s1
	v_cmp_class_f32_e64 vcc_lo, v4, 0x204
	v_cmp_class_f32_e64 s1, v8, 0x204
	v_cndmask_b32_e32 v6, v6, v7, vcc_lo
	v_bfi_b32 v7, 0x7fffffff, v10, v9
	s_or_b32 vcc_lo, s3, s1
	v_cndmask_b32_e32 v6, v6, v7, vcc_lo
	v_cmp_o_f32_e32 vcc_lo, v8, v4
	v_cndmask_b32_e32 v4, 0x7fc00000, v6, vcc_lo
	s_cbranch_execnz .LBB223_6
	s_branch .LBB223_11
.LBB223_10:                             ;   in Loop: Header=BB223_7 Depth=1
                                        ; implicit-def: $vgpr4
.LBB223_11:                             ;   in Loop: Header=BB223_7 Depth=1
	v_mul_f32_e32 v4, v3, v3
	s_branch .LBB223_6
.LBB223_12:
	s_or_b32 exec_lo, exec_lo, s23
.LBB223_13:
	s_or_b32 exec_lo, exec_lo, s12
; %bb.14:
	v_mbcnt_lo_u32_b32 v6, -1, 0
	s_mov_b32 s1, exec_lo
	s_waitcnt lgkmcnt(0)
	s_barrier
	buffer_gl0_inv
	v_lshl_or_b32 v2, v6, 2, 64
	v_cmp_gt_u32_e32 vcc_lo, 24, v6
	ds_bpermute_b32 v4, v2, v5
	v_cndmask_b32_e64 v3, 0, 8, vcc_lo
	v_cmp_gt_u32_e32 vcc_lo, 28, v6
	v_add_lshl_u32 v3, v3, v6, 2
	s_waitcnt lgkmcnt(0)
	v_add_f32_e32 v5, v5, v4
	v_cndmask_b32_e64 v4, 0, 4, vcc_lo
	v_cmp_gt_u32_e32 vcc_lo, 30, v6
	ds_bpermute_b32 v7, v3, v5
	v_add_lshl_u32 v4, v4, v6, 2
	s_waitcnt lgkmcnt(0)
	v_add_f32_e32 v7, v5, v7
	v_cndmask_b32_e64 v5, 0, 2, vcc_lo
	v_cmp_ne_u32_e32 vcc_lo, 31, v6
	ds_bpermute_b32 v8, v4, v7
	v_add_lshl_u32 v5, v5, v6, 2
	v_add_co_ci_u32_e64 v6, null, 0, v6, vcc_lo
	v_lshlrev_b32_e32 v6, 2, v6
	s_waitcnt lgkmcnt(0)
	v_add_f32_e32 v7, v7, v8
	ds_bpermute_b32 v8, v5, v7
	s_waitcnt lgkmcnt(0)
	v_add_f32_e32 v7, v7, v8
	v_and_b32_e32 v8, 31, v0
	ds_bpermute_b32 v9, v6, v7
	v_cmpx_eq_u32_e32 0, v8
	s_cbranch_execz .LBB223_16
; %bb.15:
	v_lshrrev_b32_e32 v10, 3, v0
	s_waitcnt lgkmcnt(0)
	v_add_f32_e32 v7, v7, v9
	v_add_nc_u32_e32 v9, 0, v10
	ds_write_b32 v9, v7
.LBB223_16:
	s_or_b32 exec_lo, exec_lo, s1
	s_waitcnt lgkmcnt(0)
	s_barrier
	buffer_gl0_inv
	s_load_dword s4, s[4:5], 0x4c
	v_mov_b32_e32 v7, 0
	s_waitcnt lgkmcnt(0)
	s_bfe_u32 s1, s4, 0xb0005
	v_cmp_gt_u32_e32 vcc_lo, s1, v0
	s_and_saveexec_b32 s1, vcc_lo
; %bb.17:
	v_lshl_add_u32 v7, v8, 2, 0
	ds_read_b32 v7, v7
; %bb.18:
	s_or_b32 exec_lo, exec_lo, s1
	s_mov_b32 s1, exec_lo
	v_cmpx_gt_u32_e32 32, v0
	s_cbranch_execz .LBB223_20
; %bb.19:
	s_waitcnt lgkmcnt(0)
	ds_bpermute_b32 v2, v2, v7
	s_waitcnt lgkmcnt(0)
	v_add_f32_e32 v2, v7, v2
	ds_bpermute_b32 v3, v3, v2
	s_waitcnt lgkmcnt(0)
	v_add_f32_e32 v2, v2, v3
	;; [unrolled: 3-line block ×5, first 2 shown]
.LBB223_20:
	s_or_b32 exec_lo, exec_lo, s1
	s_mov_b32 s5, exec_lo
	v_cmpx_eq_u32_e32 0, v0
	s_cbranch_execz .LBB223_22
; %bb.21:
	v_div_scale_f32 v2, null, s11, s11, 1.0
	v_div_scale_f32 v5, vcc_lo, 1.0, s11, 1.0
	s_mov_b32 s1, 0x3e76c4e1
	v_rcp_f32_e32 v3, v2
	v_fma_f32 v4, -v2, v3, 1.0
	v_fmac_f32_e32 v3, v4, v3
	v_mul_f32_e32 v4, v5, v3
	v_fma_f32 v6, -v2, v4, v5
	v_fmac_f32_e32 v4, v6, v3
	v_fma_f32 v2, -v2, v4, v5
	v_div_fmas_f32 v2, v2, v3, v4
	s_waitcnt lgkmcnt(0)
	v_cmp_neq_f32_e32 vcc_lo, 1.0, v7
	v_div_fixup_f32 v2, v2, s11, 1.0
	v_cndmask_b32_e32 v4, 1.0, v2, vcc_lo
	v_cmp_neq_f32_e32 vcc_lo, 0, v4
	v_cmp_neq_f32_e64 s11, v4, |v4|
	v_cndmask_b32_e32 v5, 1.0, v7, vcc_lo
	v_frexp_mant_f32_e64 v2, |v5|
	v_cmp_lt_f32_e64 s12, |v5|, 1.0
	v_cmp_eq_f32_e64 s3, 0, v5
	v_cmp_gt_f32_e32 vcc_lo, 0x3f2aaaab, v2
	s_xor_b32 s11, s11, s12
	v_cndmask_b32_e64 v3, 1.0, 2.0, vcc_lo
	v_mul_f32_e32 v2, v2, v3
	v_add_f32_e32 v3, 1.0, v2
	v_add_f32_e32 v7, -1.0, v2
	v_rcp_f32_e32 v6, v3
	v_add_f32_e32 v9, -1.0, v3
	v_sub_f32_e32 v2, v2, v9
	v_mul_f32_e32 v8, v7, v6
	v_mul_f32_e32 v10, v3, v8
	v_fma_f32 v3, v8, v3, -v10
	v_fmac_f32_e32 v3, v8, v2
	v_add_f32_e32 v2, v10, v3
	v_sub_f32_e32 v9, v7, v2
	v_sub_f32_e32 v10, v2, v10
	;; [unrolled: 1-line block ×5, first 2 shown]
	v_add_f32_e32 v2, v3, v2
	v_add_f32_e32 v2, v9, v2
	v_mul_f32_e32 v2, v6, v2
	v_add_f32_e32 v6, v8, v2
	v_sub_f32_e32 v3, v6, v8
	v_mul_f32_e32 v7, v6, v6
	v_sub_f32_e32 v8, v2, v3
	v_fma_f32 v2, v6, v6, -v7
	v_add_f32_e32 v3, v8, v8
	v_fmac_f32_e32 v2, v6, v3
	v_add_f32_e32 v9, v7, v2
	v_fmaak_f32 v3, s1, v9, 0x3e91f4c4
	v_sub_f32_e32 v7, v9, v7
	v_mul_f32_e32 v14, v6, v9
	v_fmaak_f32 v3, v9, v3, 0x3ecccdef
	v_sub_f32_e32 v7, v2, v7
	v_fma_f32 v15, v9, v6, -v14
	v_mul_f32_e32 v10, v9, v3
	v_fmac_f32_e32 v15, v9, v8
	v_ldexp_f32 v8, v8, 1
	v_fma_f32 v11, v9, v3, -v10
	v_fmac_f32_e32 v15, v7, v6
	v_fmac_f32_e32 v11, v7, v3
	v_cvt_f64_f32_e64 v[2:3], |v5|
	v_add_f32_e32 v12, v10, v11
	v_sub_f32_e32 v10, v12, v10
	v_add_f32_e32 v13, 0x3f2aaaaa, v12
	v_sub_f32_e32 v10, v11, v10
	v_add_f32_e32 v11, 0xbf2aaaaa, v13
	v_add_f32_e32 v10, 0x31739010, v10
	v_sub_f32_e32 v11, v12, v11
	v_frexp_exp_i32_f64_e32 v2, v[2:3]
	v_add_f32_e32 v9, v10, v11
	v_add_f32_e32 v10, v14, v15
	;; [unrolled: 1-line block ×3, first 2 shown]
	v_sub_f32_e32 v12, v10, v14
	v_sub_f32_e32 v3, v13, v7
	v_mul_f32_e32 v11, v10, v7
	v_sub_f32_e32 v12, v15, v12
	v_add_f32_e32 v3, v9, v3
	v_fma_f32 v9, v10, v7, -v11
	v_subrev_co_ci_u32_e64 v2, null, 0, v2, vcc_lo
	v_fmac_f32_e32 v9, v10, v3
	v_ldexp_f32 v3, v6, 1
	v_cvt_f32_i32_e32 v2, v2
	v_fmac_f32_e32 v9, v12, v7
	v_add_f32_e32 v6, v11, v9
	v_add_f32_e32 v7, v3, v6
	v_sub_f32_e32 v10, v6, v11
	v_mul_f32_e32 v11, 0x3f317218, v2
	v_sub_f32_e32 v3, v7, v3
	v_sub_f32_e32 v9, v9, v10
	v_fma_f32 v10, 0x3f317218, v2, -v11
	v_sub_f32_e32 v3, v6, v3
	v_add_f32_e32 v6, v8, v9
	v_fmamk_f32 v2, v2, 0xb102e308, v10
	v_add_f32_e32 v3, v6, v3
	v_add_f32_e32 v6, v11, v2
	;; [unrolled: 1-line block ×3, first 2 shown]
	v_sub_f32_e32 v11, v6, v11
	v_add_f32_e32 v9, v6, v8
	v_sub_f32_e32 v7, v8, v7
	v_sub_f32_e32 v2, v2, v11
	;; [unrolled: 1-line block ×6, first 2 shown]
	v_add_f32_e32 v8, v2, v3
	v_sub_f32_e32 v6, v6, v12
	v_add_f32_e32 v6, v7, v6
	v_sub_f32_e32 v7, v8, v2
	;; [unrolled: 2-line block ×3, first 2 shown]
	v_sub_f32_e32 v3, v3, v7
	v_add_f32_e32 v10, v9, v6
	v_sub_f32_e32 v2, v2, v8
	v_sub_f32_e32 v7, v10, v9
	v_add_f32_e32 v2, v3, v2
	v_sub_f32_e32 v3, v6, v7
	v_add_f32_e32 v2, v2, v3
	v_add_f32_e32 v3, v10, v2
	v_sub_f32_e32 v6, v3, v10
	v_mul_f32_e32 v7, v4, v3
	v_sub_f32_e32 v2, v2, v6
	v_fma_f32 v3, v4, v3, -v7
	v_cmp_class_f32_e64 vcc_lo, v7, 0x204
	v_fmac_f32_e32 v3, v4, v2
	v_add_f32_e32 v2, v7, v3
	v_cndmask_b32_e32 v6, v2, v7, vcc_lo
	v_sub_f32_e32 v2, v2, v7
	v_cmp_eq_f32_e32 vcc_lo, 0x42b17218, v6
	v_sub_f32_e32 v2, v3, v2
	v_cndmask_b32_e64 v8, 0, 0x37000000, vcc_lo
	v_cmp_neq_f32_e64 vcc_lo, 0x7f800000, |v6|
	v_sub_f32_e32 v9, v6, v8
	v_cndmask_b32_e32 v2, 0, v2, vcc_lo
	v_trunc_f32_e32 v6, v4
	v_mul_f32_e32 v10, 0x3fb8aa3b, v9
	v_cmp_ngt_f32_e32 vcc_lo, 0xc2ce8ed0, v9
	v_add_f32_e32 v2, v8, v2
	v_fma_f32 v11, 0x3fb8aa3b, v9, -v10
	v_rndne_f32_e32 v12, v10
	v_fmamk_f32 v11, v9, 0x32a5705f, v11
	v_sub_f32_e32 v10, v10, v12
	v_cvt_i32_f32_e32 v7, v12
	v_add_f32_e32 v10, v10, v11
	v_exp_f32_e32 v10, v10
	v_ldexp_f32 v3, v10, v7
	v_mul_f32_e32 v7, 0.5, v4
	v_cndmask_b32_e32 v3, 0, v3, vcc_lo
	v_cmp_nlt_f32_e32 vcc_lo, 0x42b17218, v9
	v_trunc_f32_e32 v10, v7
	v_cndmask_b32_e32 v3, 0x7f800000, v3, vcc_lo
	v_cmp_eq_f32_e32 vcc_lo, v6, v4
	v_cmp_neq_f32_e64 s1, v10, v7
	v_fma_f32 v2, v3, v2, v3
	v_cmp_class_f32_e64 s2, v3, 0x204
	s_and_b32 s1, vcc_lo, s1
	v_cndmask_b32_e64 v6, 1.0, v5, s1
	v_cndmask_b32_e64 v8, 0, v5, s1
	v_cndmask_b32_e64 v2, v2, v3, s2
	;; [unrolled: 1-line block ×3, first 2 shown]
	v_cmp_gt_f32_e64 s2, 0, v4
	v_cmp_class_f32_e64 s1, v5, 0x204
	v_bfi_b32 v2, 0x7fffffff, v2, v6
	s_xor_b32 s2, s2, s3
	v_cndmask_b32_e64 v6, 0x7f800000, 0, s2
	v_cndmask_b32_e32 v7, 0x7fc00000, v2, vcc_lo
	v_cmp_neq_f32_e64 vcc_lo, |v5|, 1.0
	v_bfi_b32 v6, 0x7fffffff, v6, v8
	v_cndmask_b32_e32 v3, 1.0, v3, vcc_lo
	v_cmp_gt_f32_e32 vcc_lo, 0, v5
	v_cndmask_b32_e32 v2, v2, v7, vcc_lo
	v_cmp_class_f32_e64 vcc_lo, v4, 0x204
	v_cndmask_b32_e32 v2, v2, v3, vcc_lo
	s_or_b32 vcc_lo, s3, s1
	v_mov_b32_e32 v3, 0
	v_cndmask_b32_e32 v2, v2, v6, vcc_lo
	v_cmp_o_f32_e32 vcc_lo, v5, v4
	v_cndmask_b32_e32 v2, 0x7fc00000, v2, vcc_lo
	ds_write_b32 v3, v2
.LBB223_22:
	s_or_b32 exec_lo, exec_lo, s5
	v_mov_b32_e32 v2, 0
	s_waitcnt lgkmcnt(0)
	s_barrier
	buffer_gl0_inv
	ds_read_b32 v2, v2
	s_waitcnt lgkmcnt(0)
	v_cmp_nlt_f32_e32 vcc_lo, s10, v2
	s_cbranch_vccnz .LBB223_27
; %bb.23:
	s_and_saveexec_b32 s1, s0
	s_cbranch_execz .LBB223_26
; %bb.24:
	v_cvt_f64_f32_e32 v[2:3], v2
	s_mov_b32 s2, 0x9abcaf48
	s_mov_b32 s3, 0x3e7ad7f2
	v_cvt_f64_f32_e32 v[4:5], s10
	v_add_f64 v[2:3], v[2:3], s[2:3]
	v_div_scale_f64 v[6:7], null, v[2:3], v[2:3], v[4:5]
	v_div_scale_f64 v[12:13], vcc_lo, v[4:5], v[2:3], v[4:5]
	v_rcp_f64_e32 v[8:9], v[6:7]
	v_fma_f64 v[10:11], -v[6:7], v[8:9], 1.0
	v_fma_f64 v[8:9], v[8:9], v[10:11], v[8:9]
	v_fma_f64 v[10:11], -v[6:7], v[8:9], 1.0
	v_fma_f64 v[8:9], v[8:9], v[10:11], v[8:9]
	v_mul_f64 v[10:11], v[12:13], v[8:9]
	v_fma_f64 v[6:7], -v[6:7], v[10:11], v[12:13]
	v_div_fmas_f64 v[6:7], v[6:7], v[8:9], v[10:11]
	v_div_fixup_f64 v[2:3], v[6:7], v[2:3], v[4:5]
	v_readfirstlane_b32 s2, v3
	s_and_b32 s0, s2, 0x1ff
	s_lshr_b32 s5, s2, 8
	v_or_b32_e32 v2, s0, v2
	s_bfe_u32 s0, s2, 0xb0014
	s_and_b32 s5, s5, 0xffe
	s_sub_i32 s3, 0x3f1, s0
	v_med3_i32 v3, s3, 0, 13
	v_cmp_ne_u32_e32 vcc_lo, 0, v2
	v_readfirstlane_b32 s10, v3
	v_cndmask_b32_e64 v2, 0, 1, vcc_lo
	v_readfirstlane_b32 s3, v2
	s_or_b32 s3, s5, s3
	s_or_b32 s5, s3, 0x1000
	s_lshr_b32 s11, s5, s10
	s_lshl_b32 s10, s11, s10
	s_cmp_lg_u32 s10, s5
	s_cselect_b32 s5, 1, 0
	s_addk_i32 s0, 0xfc10
	s_or_b32 s5, s11, s5
	s_lshl_b32 s10, s0, 12
	s_or_b32 s10, s3, s10
	s_cmp_lt_i32 s0, 1
	s_cselect_b32 s5, s5, s10
	s_and_b32 s10, s5, 7
	s_cmp_gt_i32 s10, 5
	s_cselect_b32 s11, 1, 0
	s_cmp_eq_u32 s10, 3
	s_cselect_b32 s10, 1, 0
	s_lshr_b32 s5, s5, 2
	s_or_b32 s10, s10, s11
	s_add_i32 s5, s5, s10
	s_cmp_lt_i32 s0, 31
	s_movk_i32 s10, 0x7e00
	s_cselect_b32 s5, s5, 0x7c00
	s_cmp_lg_u32 s3, 0
	s_cselect_b32 s3, s10, 0x7c00
	s_cmpk_eq_i32 s0, 0x40f
	s_mov_b32 s0, 0
	s_cselect_b32 s3, s3, s5
	s_lshr_b32 s5, s2, 16
	s_and_b32 s2, 0xffff, s4
	s_and_b32 s10, s5, 0x8000
	s_lshl_b64 s[4:5], s[6:7], 1
	v_add_nc_u32_e32 v2, s2, v0
	s_or_b32 s3, s10, s3
	s_add_u32 s4, s16, s4
	s_addc_u32 s5, s17, s5
	.p2align	6
.LBB223_25:                             ; =>This Inner Loop Header: Depth=1
	v_mul_lo_u32 v3, v1, s14
	v_mul_lo_u32 v4, v0, s15
	v_mad_u64_u32 v[0:1], null, v0, s14, 0
	v_add3_u32 v1, v1, v4, v3
	v_ashrrev_i32_e32 v3, 31, v2
	v_lshlrev_b64 v[0:1], 1, v[0:1]
	v_add_co_u32 v4, vcc_lo, s4, v0
	v_add_co_ci_u32_e64 v5, null, s5, v1, vcc_lo
	v_cmp_le_i64_e32 vcc_lo, s[8:9], v[2:3]
	v_mov_b32_e32 v0, v2
	v_mov_b32_e32 v1, v3
	global_load_ushort v6, v[4:5], off
	v_add_nc_u32_e32 v2, s2, v2
	s_or_b32 s0, vcc_lo, s0
	s_waitcnt vmcnt(0)
	v_mul_f16_e32 v3, s3, v6
	global_store_short v[4:5], v3, off
	s_andn2_b32 exec_lo, exec_lo, s0
	s_cbranch_execnz .LBB223_25
.LBB223_26:
	s_or_b32 exec_lo, exec_lo, s1
.LBB223_27:
	s_and_b32 vcc_lo, exec_lo, s18
	s_cbranch_vccnz .LBB223_30
.LBB223_28:
	s_endpgm
.LBB223_29:
	s_cbranch_execz .LBB223_28
.LBB223_30:
	s_trap 2
	; divergent unreachable
	s_endpgm
	.section	.rodata,"a",@progbits
	.p2align	6, 0x0
	.amdhsa_kernel _ZN2at6native12_GLOBAL__N_113renorm_kernelIN3c104HalfEfKiEEvPT_PT1_T0_SA_llllPKl
		.amdhsa_group_segment_fixed_size 0
		.amdhsa_private_segment_fixed_size 0
		.amdhsa_kernarg_size 320
		.amdhsa_user_sgpr_count 6
		.amdhsa_user_sgpr_private_segment_buffer 1
		.amdhsa_user_sgpr_dispatch_ptr 0
		.amdhsa_user_sgpr_queue_ptr 0
		.amdhsa_user_sgpr_kernarg_segment_ptr 1
		.amdhsa_user_sgpr_dispatch_id 0
		.amdhsa_user_sgpr_flat_scratch_init 0
		.amdhsa_user_sgpr_private_segment_size 0
		.amdhsa_wavefront_size32 1
		.amdhsa_uses_dynamic_stack 0
		.amdhsa_system_sgpr_private_segment_wavefront_offset 0
		.amdhsa_system_sgpr_workgroup_id_x 1
		.amdhsa_system_sgpr_workgroup_id_y 0
		.amdhsa_system_sgpr_workgroup_id_z 0
		.amdhsa_system_sgpr_workgroup_info 0
		.amdhsa_system_vgpr_workitem_id 0
		.amdhsa_next_free_vgpr 19
		.amdhsa_next_free_sgpr 27
		.amdhsa_reserve_vcc 1
		.amdhsa_reserve_flat_scratch 0
		.amdhsa_float_round_mode_32 0
		.amdhsa_float_round_mode_16_64 0
		.amdhsa_float_denorm_mode_32 3
		.amdhsa_float_denorm_mode_16_64 3
		.amdhsa_dx10_clamp 1
		.amdhsa_ieee_mode 1
		.amdhsa_fp16_overflow 0
		.amdhsa_workgroup_processor_mode 1
		.amdhsa_memory_ordered 1
		.amdhsa_forward_progress 1
		.amdhsa_shared_vgpr_count 0
		.amdhsa_exception_fp_ieee_invalid_op 0
		.amdhsa_exception_fp_denorm_src 0
		.amdhsa_exception_fp_ieee_div_zero 0
		.amdhsa_exception_fp_ieee_overflow 0
		.amdhsa_exception_fp_ieee_underflow 0
		.amdhsa_exception_fp_ieee_inexact 0
		.amdhsa_exception_int_div_zero 0
	.end_amdhsa_kernel
	.section	.text._ZN2at6native12_GLOBAL__N_113renorm_kernelIN3c104HalfEfKiEEvPT_PT1_T0_SA_llllPKl,"axG",@progbits,_ZN2at6native12_GLOBAL__N_113renorm_kernelIN3c104HalfEfKiEEvPT_PT1_T0_SA_llllPKl,comdat
.Lfunc_end223:
	.size	_ZN2at6native12_GLOBAL__N_113renorm_kernelIN3c104HalfEfKiEEvPT_PT1_T0_SA_llllPKl, .Lfunc_end223-_ZN2at6native12_GLOBAL__N_113renorm_kernelIN3c104HalfEfKiEEvPT_PT1_T0_SA_llllPKl
                                        ; -- End function
	.set _ZN2at6native12_GLOBAL__N_113renorm_kernelIN3c104HalfEfKiEEvPT_PT1_T0_SA_llllPKl.num_vgpr, 19
	.set _ZN2at6native12_GLOBAL__N_113renorm_kernelIN3c104HalfEfKiEEvPT_PT1_T0_SA_llllPKl.num_agpr, 0
	.set _ZN2at6native12_GLOBAL__N_113renorm_kernelIN3c104HalfEfKiEEvPT_PT1_T0_SA_llllPKl.numbered_sgpr, 27
	.set _ZN2at6native12_GLOBAL__N_113renorm_kernelIN3c104HalfEfKiEEvPT_PT1_T0_SA_llllPKl.num_named_barrier, 0
	.set _ZN2at6native12_GLOBAL__N_113renorm_kernelIN3c104HalfEfKiEEvPT_PT1_T0_SA_llllPKl.private_seg_size, 0
	.set _ZN2at6native12_GLOBAL__N_113renorm_kernelIN3c104HalfEfKiEEvPT_PT1_T0_SA_llllPKl.uses_vcc, 1
	.set _ZN2at6native12_GLOBAL__N_113renorm_kernelIN3c104HalfEfKiEEvPT_PT1_T0_SA_llllPKl.uses_flat_scratch, 0
	.set _ZN2at6native12_GLOBAL__N_113renorm_kernelIN3c104HalfEfKiEEvPT_PT1_T0_SA_llllPKl.has_dyn_sized_stack, 0
	.set _ZN2at6native12_GLOBAL__N_113renorm_kernelIN3c104HalfEfKiEEvPT_PT1_T0_SA_llllPKl.has_recursion, 0
	.set _ZN2at6native12_GLOBAL__N_113renorm_kernelIN3c104HalfEfKiEEvPT_PT1_T0_SA_llllPKl.has_indirect_call, 0
	.section	.AMDGPU.csdata,"",@progbits
; Kernel info:
; codeLenInByte = 3340
; TotalNumSgprs: 29
; NumVgprs: 19
; ScratchSize: 0
; MemoryBound: 0
; FloatMode: 240
; IeeeMode: 1
; LDSByteSize: 0 bytes/workgroup (compile time only)
; SGPRBlocks: 0
; VGPRBlocks: 2
; NumSGPRsForWavesPerEU: 29
; NumVGPRsForWavesPerEU: 19
; Occupancy: 16
; WaveLimiterHint : 1
; COMPUTE_PGM_RSRC2:SCRATCH_EN: 0
; COMPUTE_PGM_RSRC2:USER_SGPR: 6
; COMPUTE_PGM_RSRC2:TRAP_HANDLER: 0
; COMPUTE_PGM_RSRC2:TGID_X_EN: 1
; COMPUTE_PGM_RSRC2:TGID_Y_EN: 0
; COMPUTE_PGM_RSRC2:TGID_Z_EN: 0
; COMPUTE_PGM_RSRC2:TIDIG_COMP_CNT: 0
	.section	.text._ZN2at6native12_GLOBAL__N_113renorm_kernelIN3c108BFloat16EfKiEEvPT_PT1_T0_SA_llllPKl,"axG",@progbits,_ZN2at6native12_GLOBAL__N_113renorm_kernelIN3c108BFloat16EfKiEEvPT_PT1_T0_SA_llllPKl,comdat
	.globl	_ZN2at6native12_GLOBAL__N_113renorm_kernelIN3c108BFloat16EfKiEEvPT_PT1_T0_SA_llllPKl ; -- Begin function _ZN2at6native12_GLOBAL__N_113renorm_kernelIN3c108BFloat16EfKiEEvPT_PT1_T0_SA_llllPKl
	.p2align	8
	.type	_ZN2at6native12_GLOBAL__N_113renorm_kernelIN3c108BFloat16EfKiEEvPT_PT1_T0_SA_llllPKl,@function
_ZN2at6native12_GLOBAL__N_113renorm_kernelIN3c108BFloat16EfKiEEvPT_PT1_T0_SA_llllPKl: ; @_ZN2at6native12_GLOBAL__N_113renorm_kernelIN3c108BFloat16EfKiEEvPT_PT1_T0_SA_llllPKl
; %bb.0:
	s_load_dwordx2 s[0:1], s[4:5], 0x38
	s_mov_b32 s7, 0
	s_waitcnt lgkmcnt(0)
	s_load_dwordx2 s[0:1], s[0:1], 0x0
	s_waitcnt lgkmcnt(0)
	v_cmp_le_i64_e64 s0, s[0:1], s[6:7]
	s_and_b32 vcc_lo, exec_lo, s0
	s_cbranch_vccnz .LBB224_27
; %bb.1:
	s_load_dwordx4 s[16:19], s[4:5], 0x0
	s_lshl_b64 s[0:1], s[6:7], 2
	s_waitcnt lgkmcnt(0)
	s_add_u32 s0, s18, s0
	s_addc_u32 s1, s19, s1
	s_load_dword s2, s[0:1], 0x0
	s_waitcnt lgkmcnt(0)
	s_cmp_lt_i32 s2, 0
	s_cbranch_scc1 .LBB224_28
; %bb.2:
	s_load_dwordx8 s[8:15], s[4:5], 0x18
	s_getpc_b64 s[0:1]
	s_add_u32 s0, s0, .str.4@rel32@lo+4
	s_addc_u32 s1, s1, .str.4@rel32@hi+12
	s_ashr_i32 s3, s2, 31
	s_cmp_eq_u64 s[0:1], 0
	s_cselect_b32 s0, -1, 0
	s_waitcnt lgkmcnt(0)
	v_cmp_le_i64_e64 s6, s[10:11], s[2:3]
	s_or_b32 s18, s6, s0
	s_andn2_b32 vcc_lo, exec_lo, s18
	s_cbranch_vccz .LBB224_26
; %bb.3:
	s_load_dwordx2 s[10:11], s[4:5], 0x10
	v_mov_b32_e32 v1, 0
	s_mul_i32 s0, s12, s3
	s_mul_hi_u32 s1, s12, s2
	s_mul_i32 s3, s13, s2
	s_add_i32 s1, s1, s0
	v_cmp_le_i64_e64 s0, s[8:9], v[0:1]
	v_mov_b32_e32 v5, v1
	s_add_i32 s7, s1, s3
	s_mul_i32 s6, s12, s2
	s_mov_b32 s12, exec_lo
	v_cmpx_gt_i64_e64 s[8:9], v[0:1]
	s_cbranch_execz .LBB224_13
; %bb.4:
	s_load_dword s1, s[4:5], 0x4c
	s_lshl_b64 s[2:3], s[6:7], 1
	v_mov_b32_e32 v4, v1
	s_add_u32 s20, s16, s2
	s_addc_u32 s21, s17, s3
	s_waitcnt lgkmcnt(0)
	v_cmp_neq_f32_e64 s13, s11, 1.0
	v_cmp_neq_f32_e64 s19, s11, 2.0
	v_mov_b32_e32 v5, 0
	v_mov_b32_e32 v3, v0
	s_mov_b32 s23, 0
	s_mov_b32 s24, 0x3e76c4e1
	s_and_b32 s22, s1, 0xffff
	v_add_nc_u32_e32 v2, s22, v0
	s_branch .LBB224_7
.LBB224_5:                              ;   in Loop: Header=BB224_7 Depth=1
	v_and_b32_e32 v4, 0x7fffffff, v3
.LBB224_6:                              ;   in Loop: Header=BB224_7 Depth=1
	v_ashrrev_i32_e32 v3, 31, v2
	v_add_f32_e32 v5, v5, v4
	v_cmp_le_i64_e32 vcc_lo, s[8:9], v[2:3]
	v_mov_b32_e32 v4, v3
	v_mov_b32_e32 v3, v2
	v_add_nc_u32_e32 v2, s22, v2
	s_or_b32 s23, vcc_lo, s23
	s_andn2_b32 exec_lo, exec_lo, s23
	s_cbranch_execz .LBB224_12
.LBB224_7:                              ; =>This Inner Loop Header: Depth=1
	v_mul_lo_u32 v6, v4, s14
	v_mul_lo_u32 v7, v3, s15
	v_mad_u64_u32 v[3:4], null, v3, s14, 0
	v_add3_u32 v4, v4, v7, v6
	v_lshlrev_b64 v[3:4], 1, v[3:4]
	v_add_co_u32 v3, vcc_lo, s20, v3
	v_add_co_ci_u32_e64 v4, null, s21, v4, vcc_lo
	s_and_b32 vcc_lo, exec_lo, s13
	global_load_ushort v3, v[3:4], off
	s_waitcnt vmcnt(0)
	v_lshlrev_b32_e32 v3, 16, v3
	s_cbranch_vccz .LBB224_5
; %bb.8:                                ;   in Loop: Header=BB224_7 Depth=1
	s_and_b32 vcc_lo, exec_lo, s19
	s_cbranch_vccz .LBB224_10
; %bb.9:                                ;   in Loop: Header=BB224_7 Depth=1
	v_cmp_neq_f32_e32 vcc_lo, 1.0, v3
	v_cndmask_b32_e64 v4, 1.0, s11, vcc_lo
	v_cmp_neq_f32_e32 vcc_lo, 0, v4
	v_cmp_neq_f32_e64 s25, v4, |v4|
	v_cndmask_b32_e32 v8, 1.0, v3, vcc_lo
	v_frexp_mant_f32_e64 v6, |v8|
	v_cmp_lt_f32_e64 s26, |v8|, 1.0
	v_cmp_eq_f32_e64 s3, 0, v8
	v_cmp_gt_f32_e32 vcc_lo, 0x3f2aaaab, v6
	s_xor_b32 s25, s25, s26
	v_cndmask_b32_e64 v7, 1.0, 2.0, vcc_lo
	v_mul_f32_e32 v6, v6, v7
	v_add_f32_e32 v7, 1.0, v6
	v_add_f32_e32 v10, -1.0, v6
	v_rcp_f32_e32 v9, v7
	v_add_f32_e32 v12, -1.0, v7
	v_sub_f32_e32 v6, v6, v12
	v_mul_f32_e32 v11, v10, v9
	v_mul_f32_e32 v13, v7, v11
	v_fma_f32 v7, v11, v7, -v13
	v_fmac_f32_e32 v7, v11, v6
	v_add_f32_e32 v6, v13, v7
	v_sub_f32_e32 v12, v10, v6
	v_sub_f32_e32 v13, v6, v13
	;; [unrolled: 1-line block ×5, first 2 shown]
	v_add_f32_e32 v6, v7, v6
	v_add_f32_e32 v6, v12, v6
	v_mul_f32_e32 v6, v9, v6
	v_add_f32_e32 v9, v11, v6
	v_sub_f32_e32 v7, v9, v11
	v_mul_f32_e32 v10, v9, v9
	v_sub_f32_e32 v11, v6, v7
	v_fma_f32 v6, v9, v9, -v10
	v_add_f32_e32 v7, v11, v11
	v_fmac_f32_e32 v6, v9, v7
	v_add_f32_e32 v12, v10, v6
	v_fmaak_f32 v7, s24, v12, 0x3e91f4c4
	v_sub_f32_e32 v10, v12, v10
	v_mul_f32_e32 v17, v9, v12
	v_fmaak_f32 v7, v12, v7, 0x3ecccdef
	v_sub_f32_e32 v10, v6, v10
	v_fma_f32 v18, v12, v9, -v17
	v_mul_f32_e32 v13, v12, v7
	v_fmac_f32_e32 v18, v12, v11
	v_ldexp_f32 v11, v11, 1
	v_fma_f32 v14, v12, v7, -v13
	v_fmac_f32_e32 v18, v10, v9
	v_fmac_f32_e32 v14, v10, v7
	v_cvt_f64_f32_e64 v[6:7], |v8|
	v_add_f32_e32 v15, v13, v14
	v_sub_f32_e32 v13, v15, v13
	v_add_f32_e32 v16, 0x3f2aaaaa, v15
	v_sub_f32_e32 v13, v14, v13
	v_add_f32_e32 v14, 0xbf2aaaaa, v16
	v_add_f32_e32 v13, 0x31739010, v13
	v_sub_f32_e32 v14, v15, v14
	v_frexp_exp_i32_f64_e32 v6, v[6:7]
	v_add_f32_e32 v12, v13, v14
	v_add_f32_e32 v13, v17, v18
	;; [unrolled: 1-line block ×3, first 2 shown]
	v_sub_f32_e32 v15, v13, v17
	v_sub_f32_e32 v7, v16, v10
	v_mul_f32_e32 v14, v13, v10
	v_sub_f32_e32 v15, v18, v15
	v_add_f32_e32 v7, v12, v7
	v_fma_f32 v12, v13, v10, -v14
	v_subrev_co_ci_u32_e64 v6, null, 0, v6, vcc_lo
	v_fmac_f32_e32 v12, v13, v7
	v_ldexp_f32 v7, v9, 1
	v_cvt_f32_i32_e32 v6, v6
	v_fmac_f32_e32 v12, v15, v10
	v_add_f32_e32 v9, v14, v12
	v_add_f32_e32 v10, v7, v9
	v_sub_f32_e32 v13, v9, v14
	v_mul_f32_e32 v14, 0x3f317218, v6
	v_sub_f32_e32 v7, v10, v7
	v_sub_f32_e32 v12, v12, v13
	v_fma_f32 v13, 0x3f317218, v6, -v14
	v_sub_f32_e32 v7, v9, v7
	v_add_f32_e32 v9, v11, v12
	v_fmac_f32_e32 v13, 0xb102e308, v6
	v_add_f32_e32 v6, v9, v7
	v_add_f32_e32 v7, v14, v13
	;; [unrolled: 1-line block ×3, first 2 shown]
	v_sub_f32_e32 v14, v7, v14
	v_add_f32_e32 v11, v7, v9
	v_sub_f32_e32 v10, v9, v10
	v_sub_f32_e32 v13, v13, v14
	;; [unrolled: 1-line block ×6, first 2 shown]
	v_add_f32_e32 v10, v13, v6
	v_sub_f32_e32 v7, v7, v15
	v_add_f32_e32 v7, v9, v7
	v_sub_f32_e32 v9, v10, v13
	v_add_f32_e32 v7, v10, v7
	v_sub_f32_e32 v10, v10, v9
	v_sub_f32_e32 v6, v6, v9
	v_add_f32_e32 v12, v11, v7
	v_sub_f32_e32 v9, v13, v10
	v_sub_f32_e32 v10, v12, v11
	v_add_f32_e32 v6, v6, v9
	v_sub_f32_e32 v7, v7, v10
	v_add_f32_e32 v6, v6, v7
	v_add_f32_e32 v7, v12, v6
	v_sub_f32_e32 v9, v7, v12
	v_mul_f32_e32 v10, v4, v7
	v_sub_f32_e32 v6, v6, v9
	v_fma_f32 v7, v4, v7, -v10
	v_cmp_class_f32_e64 vcc_lo, v10, 0x204
	v_fmac_f32_e32 v7, v4, v6
	v_add_f32_e32 v6, v10, v7
	v_cndmask_b32_e32 v9, v6, v10, vcc_lo
	v_sub_f32_e32 v6, v6, v10
	v_cmp_eq_f32_e32 vcc_lo, 0x42b17218, v9
	v_sub_f32_e32 v6, v7, v6
	v_cndmask_b32_e64 v11, 0, 0x37000000, vcc_lo
	v_cmp_neq_f32_e64 vcc_lo, 0x7f800000, |v9|
	v_sub_f32_e32 v12, v9, v11
	v_cndmask_b32_e32 v6, 0, v6, vcc_lo
	v_trunc_f32_e32 v9, v4
	v_mul_f32_e32 v13, 0x3fb8aa3b, v12
	v_cmp_ngt_f32_e32 vcc_lo, 0xc2ce8ed0, v12
	v_add_f32_e32 v6, v11, v6
	v_fma_f32 v14, 0x3fb8aa3b, v12, -v13
	v_rndne_f32_e32 v15, v13
	v_fmac_f32_e32 v14, 0x32a5705f, v12
	v_sub_f32_e32 v13, v13, v15
	v_cvt_i32_f32_e32 v10, v15
	v_add_f32_e32 v13, v13, v14
	v_exp_f32_e32 v13, v13
	v_ldexp_f32 v7, v13, v10
	v_mul_f32_e32 v10, 0.5, v4
	v_cndmask_b32_e32 v7, 0, v7, vcc_lo
	v_cmp_nlt_f32_e32 vcc_lo, 0x42b17218, v12
	v_trunc_f32_e32 v13, v10
	v_cndmask_b32_e32 v7, 0x7f800000, v7, vcc_lo
	v_cmp_eq_f32_e32 vcc_lo, v9, v4
	v_cmp_neq_f32_e64 s1, v13, v10
	v_fma_f32 v6, v7, v6, v7
	v_cmp_class_f32_e64 s2, v7, 0x204
	s_and_b32 s1, vcc_lo, s1
	v_cndmask_b32_e64 v9, 1.0, v8, s1
	v_cndmask_b32_e64 v6, v6, v7, s2
	v_cndmask_b32_e64 v7, 0x7f800000, 0, s25
	v_cmp_gt_f32_e64 s2, 0, v4
	v_bfi_b32 v6, 0x7fffffff, v6, v9
	s_xor_b32 s2, s2, s3
	v_cndmask_b32_e64 v10, 0x7f800000, 0, s2
	v_cndmask_b32_e32 v9, 0x7fc00000, v6, vcc_lo
	v_cmp_neq_f32_e64 vcc_lo, |v8|, 1.0
	v_cndmask_b32_e32 v7, 1.0, v7, vcc_lo
	v_cmp_gt_f32_e32 vcc_lo, 0, v8
	v_cndmask_b32_e32 v6, v6, v9, vcc_lo
	v_cndmask_b32_e64 v9, 0, v8, s1
	v_cmp_class_f32_e64 vcc_lo, v4, 0x204
	v_cmp_class_f32_e64 s1, v8, 0x204
	v_cndmask_b32_e32 v6, v6, v7, vcc_lo
	v_bfi_b32 v7, 0x7fffffff, v10, v9
	s_or_b32 vcc_lo, s3, s1
	v_cndmask_b32_e32 v6, v6, v7, vcc_lo
	v_cmp_o_f32_e32 vcc_lo, v8, v4
	v_cndmask_b32_e32 v4, 0x7fc00000, v6, vcc_lo
	s_cbranch_execnz .LBB224_6
	s_branch .LBB224_11
.LBB224_10:                             ;   in Loop: Header=BB224_7 Depth=1
                                        ; implicit-def: $vgpr4
.LBB224_11:                             ;   in Loop: Header=BB224_7 Depth=1
	v_mul_f32_e32 v4, v3, v3
	s_branch .LBB224_6
.LBB224_12:
	s_or_b32 exec_lo, exec_lo, s23
.LBB224_13:
	s_or_b32 exec_lo, exec_lo, s12
; %bb.14:
	v_mbcnt_lo_u32_b32 v6, -1, 0
	s_mov_b32 s1, exec_lo
	s_waitcnt lgkmcnt(0)
	s_barrier
	buffer_gl0_inv
	v_lshl_or_b32 v2, v6, 2, 64
	v_cmp_gt_u32_e32 vcc_lo, 24, v6
	ds_bpermute_b32 v4, v2, v5
	v_cndmask_b32_e64 v3, 0, 8, vcc_lo
	v_cmp_gt_u32_e32 vcc_lo, 28, v6
	v_add_lshl_u32 v3, v3, v6, 2
	s_waitcnt lgkmcnt(0)
	v_add_f32_e32 v5, v5, v4
	v_cndmask_b32_e64 v4, 0, 4, vcc_lo
	v_cmp_gt_u32_e32 vcc_lo, 30, v6
	ds_bpermute_b32 v7, v3, v5
	v_add_lshl_u32 v4, v4, v6, 2
	s_waitcnt lgkmcnt(0)
	v_add_f32_e32 v7, v5, v7
	v_cndmask_b32_e64 v5, 0, 2, vcc_lo
	v_cmp_ne_u32_e32 vcc_lo, 31, v6
	ds_bpermute_b32 v8, v4, v7
	v_add_lshl_u32 v5, v5, v6, 2
	v_add_co_ci_u32_e64 v6, null, 0, v6, vcc_lo
	v_lshlrev_b32_e32 v6, 2, v6
	s_waitcnt lgkmcnt(0)
	v_add_f32_e32 v7, v7, v8
	ds_bpermute_b32 v8, v5, v7
	s_waitcnt lgkmcnt(0)
	v_add_f32_e32 v7, v7, v8
	v_and_b32_e32 v8, 31, v0
	ds_bpermute_b32 v9, v6, v7
	v_cmpx_eq_u32_e32 0, v8
	s_cbranch_execz .LBB224_16
; %bb.15:
	v_lshrrev_b32_e32 v10, 3, v0
	s_waitcnt lgkmcnt(0)
	v_add_f32_e32 v7, v7, v9
	v_add_nc_u32_e32 v9, 0, v10
	ds_write_b32 v9, v7
.LBB224_16:
	s_or_b32 exec_lo, exec_lo, s1
	s_waitcnt lgkmcnt(0)
	s_barrier
	buffer_gl0_inv
	s_load_dword s4, s[4:5], 0x4c
	v_mov_b32_e32 v7, 0
	s_waitcnt lgkmcnt(0)
	s_bfe_u32 s1, s4, 0xb0005
	v_cmp_gt_u32_e32 vcc_lo, s1, v0
	s_and_saveexec_b32 s1, vcc_lo
; %bb.17:
	v_lshl_add_u32 v7, v8, 2, 0
	ds_read_b32 v7, v7
; %bb.18:
	s_or_b32 exec_lo, exec_lo, s1
	s_mov_b32 s1, exec_lo
	v_cmpx_gt_u32_e32 32, v0
	s_cbranch_execz .LBB224_20
; %bb.19:
	s_waitcnt lgkmcnt(0)
	ds_bpermute_b32 v2, v2, v7
	s_waitcnt lgkmcnt(0)
	v_add_f32_e32 v2, v7, v2
	ds_bpermute_b32 v3, v3, v2
	s_waitcnt lgkmcnt(0)
	v_add_f32_e32 v2, v2, v3
	ds_bpermute_b32 v3, v4, v2
	s_waitcnt lgkmcnt(0)
	v_add_f32_e32 v2, v2, v3
	ds_bpermute_b32 v3, v5, v2
	s_waitcnt lgkmcnt(0)
	v_add_f32_e32 v2, v2, v3
	ds_bpermute_b32 v3, v6, v2
	s_waitcnt lgkmcnt(0)
	v_add_f32_e32 v7, v2, v3
.LBB224_20:
	s_or_b32 exec_lo, exec_lo, s1
	s_mov_b32 s5, exec_lo
	v_cmpx_eq_u32_e32 0, v0
	s_cbranch_execz .LBB224_22
; %bb.21:
	v_div_scale_f32 v2, null, s11, s11, 1.0
	v_div_scale_f32 v5, vcc_lo, 1.0, s11, 1.0
	s_mov_b32 s1, 0x3e76c4e1
	v_rcp_f32_e32 v3, v2
	v_fma_f32 v4, -v2, v3, 1.0
	v_fmac_f32_e32 v3, v4, v3
	v_mul_f32_e32 v4, v5, v3
	v_fma_f32 v6, -v2, v4, v5
	v_fmac_f32_e32 v4, v6, v3
	v_fma_f32 v2, -v2, v4, v5
	v_div_fmas_f32 v2, v2, v3, v4
	s_waitcnt lgkmcnt(0)
	v_cmp_neq_f32_e32 vcc_lo, 1.0, v7
	v_div_fixup_f32 v2, v2, s11, 1.0
	v_cndmask_b32_e32 v4, 1.0, v2, vcc_lo
	v_cmp_neq_f32_e32 vcc_lo, 0, v4
	v_cmp_neq_f32_e64 s11, v4, |v4|
	v_cndmask_b32_e32 v5, 1.0, v7, vcc_lo
	v_frexp_mant_f32_e64 v2, |v5|
	v_cmp_lt_f32_e64 s12, |v5|, 1.0
	v_cmp_eq_f32_e64 s3, 0, v5
	v_cmp_gt_f32_e32 vcc_lo, 0x3f2aaaab, v2
	s_xor_b32 s11, s11, s12
	v_cndmask_b32_e64 v3, 1.0, 2.0, vcc_lo
	v_mul_f32_e32 v2, v2, v3
	v_add_f32_e32 v3, 1.0, v2
	v_add_f32_e32 v7, -1.0, v2
	v_rcp_f32_e32 v6, v3
	v_add_f32_e32 v9, -1.0, v3
	v_sub_f32_e32 v2, v2, v9
	v_mul_f32_e32 v8, v7, v6
	v_mul_f32_e32 v10, v3, v8
	v_fma_f32 v3, v8, v3, -v10
	v_fmac_f32_e32 v3, v8, v2
	v_add_f32_e32 v2, v10, v3
	v_sub_f32_e32 v9, v7, v2
	v_sub_f32_e32 v10, v2, v10
	v_sub_f32_e32 v7, v7, v9
	v_sub_f32_e32 v3, v10, v3
	v_sub_f32_e32 v2, v7, v2
	v_add_f32_e32 v2, v3, v2
	v_add_f32_e32 v2, v9, v2
	v_mul_f32_e32 v2, v6, v2
	v_add_f32_e32 v6, v8, v2
	v_sub_f32_e32 v3, v6, v8
	v_mul_f32_e32 v7, v6, v6
	v_sub_f32_e32 v8, v2, v3
	v_fma_f32 v2, v6, v6, -v7
	v_add_f32_e32 v3, v8, v8
	v_fmac_f32_e32 v2, v6, v3
	v_add_f32_e32 v9, v7, v2
	v_fmaak_f32 v3, s1, v9, 0x3e91f4c4
	v_sub_f32_e32 v7, v9, v7
	v_mul_f32_e32 v14, v6, v9
	v_fmaak_f32 v3, v9, v3, 0x3ecccdef
	v_sub_f32_e32 v7, v2, v7
	v_fma_f32 v15, v9, v6, -v14
	v_mul_f32_e32 v10, v9, v3
	v_fmac_f32_e32 v15, v9, v8
	v_ldexp_f32 v8, v8, 1
	v_fma_f32 v11, v9, v3, -v10
	v_fmac_f32_e32 v15, v7, v6
	v_fmac_f32_e32 v11, v7, v3
	v_cvt_f64_f32_e64 v[2:3], |v5|
	v_add_f32_e32 v12, v10, v11
	v_sub_f32_e32 v10, v12, v10
	v_add_f32_e32 v13, 0x3f2aaaaa, v12
	v_sub_f32_e32 v10, v11, v10
	v_add_f32_e32 v11, 0xbf2aaaaa, v13
	v_add_f32_e32 v10, 0x31739010, v10
	v_sub_f32_e32 v11, v12, v11
	v_frexp_exp_i32_f64_e32 v2, v[2:3]
	v_add_f32_e32 v9, v10, v11
	v_add_f32_e32 v10, v14, v15
	;; [unrolled: 1-line block ×3, first 2 shown]
	v_sub_f32_e32 v12, v10, v14
	v_sub_f32_e32 v3, v13, v7
	v_mul_f32_e32 v11, v10, v7
	v_sub_f32_e32 v12, v15, v12
	v_add_f32_e32 v3, v9, v3
	v_fma_f32 v9, v10, v7, -v11
	v_subrev_co_ci_u32_e64 v2, null, 0, v2, vcc_lo
	v_fmac_f32_e32 v9, v10, v3
	v_ldexp_f32 v3, v6, 1
	v_cvt_f32_i32_e32 v2, v2
	v_fmac_f32_e32 v9, v12, v7
	v_add_f32_e32 v6, v11, v9
	v_add_f32_e32 v7, v3, v6
	v_sub_f32_e32 v10, v6, v11
	v_mul_f32_e32 v11, 0x3f317218, v2
	v_sub_f32_e32 v3, v7, v3
	v_sub_f32_e32 v9, v9, v10
	v_fma_f32 v10, 0x3f317218, v2, -v11
	v_sub_f32_e32 v3, v6, v3
	v_add_f32_e32 v6, v8, v9
	v_fmamk_f32 v2, v2, 0xb102e308, v10
	v_add_f32_e32 v3, v6, v3
	v_add_f32_e32 v6, v11, v2
	;; [unrolled: 1-line block ×3, first 2 shown]
	v_sub_f32_e32 v11, v6, v11
	v_add_f32_e32 v9, v6, v8
	v_sub_f32_e32 v7, v8, v7
	v_sub_f32_e32 v2, v2, v11
	;; [unrolled: 1-line block ×6, first 2 shown]
	v_add_f32_e32 v8, v2, v3
	v_sub_f32_e32 v6, v6, v12
	v_add_f32_e32 v6, v7, v6
	v_sub_f32_e32 v7, v8, v2
	;; [unrolled: 2-line block ×3, first 2 shown]
	v_sub_f32_e32 v3, v3, v7
	v_add_f32_e32 v10, v9, v6
	v_sub_f32_e32 v2, v2, v8
	v_sub_f32_e32 v7, v10, v9
	v_add_f32_e32 v2, v3, v2
	v_sub_f32_e32 v3, v6, v7
	v_add_f32_e32 v2, v2, v3
	v_add_f32_e32 v3, v10, v2
	v_sub_f32_e32 v6, v3, v10
	v_mul_f32_e32 v7, v4, v3
	v_sub_f32_e32 v2, v2, v6
	v_fma_f32 v3, v4, v3, -v7
	v_cmp_class_f32_e64 vcc_lo, v7, 0x204
	v_fmac_f32_e32 v3, v4, v2
	v_add_f32_e32 v2, v7, v3
	v_cndmask_b32_e32 v6, v2, v7, vcc_lo
	v_sub_f32_e32 v2, v2, v7
	v_cmp_eq_f32_e32 vcc_lo, 0x42b17218, v6
	v_sub_f32_e32 v2, v3, v2
	v_cndmask_b32_e64 v8, 0, 0x37000000, vcc_lo
	v_cmp_neq_f32_e64 vcc_lo, 0x7f800000, |v6|
	v_sub_f32_e32 v9, v6, v8
	v_cndmask_b32_e32 v2, 0, v2, vcc_lo
	v_trunc_f32_e32 v6, v4
	v_mul_f32_e32 v10, 0x3fb8aa3b, v9
	v_cmp_ngt_f32_e32 vcc_lo, 0xc2ce8ed0, v9
	v_add_f32_e32 v2, v8, v2
	v_fma_f32 v11, 0x3fb8aa3b, v9, -v10
	v_rndne_f32_e32 v12, v10
	v_fmamk_f32 v11, v9, 0x32a5705f, v11
	v_sub_f32_e32 v10, v10, v12
	v_cvt_i32_f32_e32 v7, v12
	v_add_f32_e32 v10, v10, v11
	v_exp_f32_e32 v10, v10
	v_ldexp_f32 v3, v10, v7
	v_mul_f32_e32 v7, 0.5, v4
	v_cndmask_b32_e32 v3, 0, v3, vcc_lo
	v_cmp_nlt_f32_e32 vcc_lo, 0x42b17218, v9
	v_trunc_f32_e32 v10, v7
	v_cndmask_b32_e32 v3, 0x7f800000, v3, vcc_lo
	v_cmp_eq_f32_e32 vcc_lo, v6, v4
	v_cmp_neq_f32_e64 s1, v10, v7
	v_fma_f32 v2, v3, v2, v3
	v_cmp_class_f32_e64 s2, v3, 0x204
	s_and_b32 s1, vcc_lo, s1
	v_cndmask_b32_e64 v6, 1.0, v5, s1
	v_cndmask_b32_e64 v8, 0, v5, s1
	v_cndmask_b32_e64 v2, v2, v3, s2
	v_cndmask_b32_e64 v3, 0x7f800000, 0, s11
	v_cmp_gt_f32_e64 s2, 0, v4
	v_cmp_class_f32_e64 s1, v5, 0x204
	v_bfi_b32 v2, 0x7fffffff, v2, v6
	s_xor_b32 s2, s2, s3
	v_cndmask_b32_e64 v6, 0x7f800000, 0, s2
	v_cndmask_b32_e32 v7, 0x7fc00000, v2, vcc_lo
	v_cmp_neq_f32_e64 vcc_lo, |v5|, 1.0
	v_bfi_b32 v6, 0x7fffffff, v6, v8
	v_cndmask_b32_e32 v3, 1.0, v3, vcc_lo
	v_cmp_gt_f32_e32 vcc_lo, 0, v5
	v_cndmask_b32_e32 v2, v2, v7, vcc_lo
	v_cmp_class_f32_e64 vcc_lo, v4, 0x204
	v_cndmask_b32_e32 v2, v2, v3, vcc_lo
	s_or_b32 vcc_lo, s3, s1
	v_mov_b32_e32 v3, 0
	v_cndmask_b32_e32 v2, v2, v6, vcc_lo
	v_cmp_o_f32_e32 vcc_lo, v5, v4
	v_cndmask_b32_e32 v2, 0x7fc00000, v2, vcc_lo
	ds_write_b32 v3, v2
.LBB224_22:
	s_or_b32 exec_lo, exec_lo, s5
	v_mov_b32_e32 v2, 0
	s_waitcnt lgkmcnt(0)
	s_barrier
	buffer_gl0_inv
	s_xor_b32 s0, s0, -1
	ds_read_b32 v2, v2
	s_mov_b32 s1, 0
	s_waitcnt lgkmcnt(0)
	v_cmp_lt_f32_e32 vcc_lo, s10, v2
	s_and_b32 s0, vcc_lo, s0
	s_and_saveexec_b32 s2, s0
	s_cbranch_execz .LBB224_25
; %bb.23:
	v_cvt_f64_f32_e32 v[2:3], v2
	s_mov_b32 s12, 0x9abcaf48
	s_mov_b32 s13, 0x3e7ad7f2
	v_cvt_f64_f32_e32 v[4:5], s10
	s_and_b32 s3, 0xffff, s4
	s_lshl_b64 s[4:5], s[6:7], 1
	s_add_u32 s4, s16, s4
	s_addc_u32 s5, s17, s5
	v_add_f64 v[2:3], v[2:3], s[12:13]
	v_div_scale_f64 v[6:7], null, v[2:3], v[2:3], v[4:5]
	v_div_scale_f64 v[12:13], vcc_lo, v[4:5], v[2:3], v[4:5]
	v_rcp_f64_e32 v[8:9], v[6:7]
	v_fma_f64 v[10:11], -v[6:7], v[8:9], 1.0
	v_fma_f64 v[8:9], v[8:9], v[10:11], v[8:9]
	v_fma_f64 v[10:11], -v[6:7], v[8:9], 1.0
	v_fma_f64 v[8:9], v[8:9], v[10:11], v[8:9]
	v_mul_f64 v[10:11], v[12:13], v[8:9]
	v_fma_f64 v[6:7], -v[6:7], v[10:11], v[12:13]
	v_div_fmas_f64 v[6:7], v[6:7], v[8:9], v[10:11]
	v_div_fixup_f64 v[2:3], v[6:7], v[2:3], v[4:5]
	v_mov_b32_e32 v5, 0x7fc0
	v_cvt_f32_f64_e32 v3, v[2:3]
	v_bfe_u32 v2, v3, 16, 1
	v_cmp_o_f32_e32 vcc_lo, v3, v3
	v_add_nc_u32_e32 v2, v3, v2
	v_add_nc_u32_e32 v2, 0x7fff, v2
	v_and_b32_e32 v4, 0xffff0000, v2
	v_add_nc_u32_e32 v2, s3, v0
	v_cndmask_b32_e32 v4, 0x7fc00000, v4, vcc_lo
	s_inst_prefetch 0x1
	.p2align	6
.LBB224_24:                             ; =>This Inner Loop Header: Depth=1
	v_mul_lo_u32 v3, v1, s14
	v_mul_lo_u32 v6, v0, s15
	v_mad_u64_u32 v[0:1], null, v0, s14, 0
	v_add3_u32 v1, v1, v6, v3
	v_ashrrev_i32_e32 v3, 31, v2
	v_lshlrev_b64 v[0:1], 1, v[0:1]
	v_cmp_le_i64_e64 s0, s[8:9], v[2:3]
	v_add_co_u32 v6, vcc_lo, s4, v0
	v_add_co_ci_u32_e64 v7, null, s5, v1, vcc_lo
	s_or_b32 s1, s0, s1
	global_load_ushort v0, v[6:7], off
	s_waitcnt vmcnt(0)
	v_lshlrev_b32_e32 v0, 16, v0
	v_mul_f32_e32 v0, v4, v0
	v_bfe_u32 v1, v0, 16, 1
	v_cmp_o_f32_e32 vcc_lo, v0, v0
	v_add3_u32 v8, v0, v1, 0x7fff
	v_mov_b32_e32 v0, v2
	v_mov_b32_e32 v1, v3
	v_add_nc_u32_e32 v2, s3, v2
	v_cndmask_b32_sdwa v3, v5, v8, vcc_lo dst_sel:DWORD dst_unused:UNUSED_PAD src0_sel:DWORD src1_sel:WORD_1
	global_store_short v[6:7], v3, off
	s_andn2_b32 exec_lo, exec_lo, s1
	s_cbranch_execnz .LBB224_24
.LBB224_25:
	s_inst_prefetch 0x2
	s_or_b32 exec_lo, exec_lo, s2
.LBB224_26:
	s_and_b32 vcc_lo, exec_lo, s18
	s_cbranch_vccnz .LBB224_29
.LBB224_27:
	s_endpgm
.LBB224_28:
	s_cbranch_execz .LBB224_27
.LBB224_29:
	s_trap 2
	; divergent unreachable
	s_endpgm
	.section	.rodata,"a",@progbits
	.p2align	6, 0x0
	.amdhsa_kernel _ZN2at6native12_GLOBAL__N_113renorm_kernelIN3c108BFloat16EfKiEEvPT_PT1_T0_SA_llllPKl
		.amdhsa_group_segment_fixed_size 0
		.amdhsa_private_segment_fixed_size 0
		.amdhsa_kernarg_size 320
		.amdhsa_user_sgpr_count 6
		.amdhsa_user_sgpr_private_segment_buffer 1
		.amdhsa_user_sgpr_dispatch_ptr 0
		.amdhsa_user_sgpr_queue_ptr 0
		.amdhsa_user_sgpr_kernarg_segment_ptr 1
		.amdhsa_user_sgpr_dispatch_id 0
		.amdhsa_user_sgpr_flat_scratch_init 0
		.amdhsa_user_sgpr_private_segment_size 0
		.amdhsa_wavefront_size32 1
		.amdhsa_uses_dynamic_stack 0
		.amdhsa_system_sgpr_private_segment_wavefront_offset 0
		.amdhsa_system_sgpr_workgroup_id_x 1
		.amdhsa_system_sgpr_workgroup_id_y 0
		.amdhsa_system_sgpr_workgroup_id_z 0
		.amdhsa_system_sgpr_workgroup_info 0
		.amdhsa_system_vgpr_workitem_id 0
		.amdhsa_next_free_vgpr 19
		.amdhsa_next_free_sgpr 27
		.amdhsa_reserve_vcc 1
		.amdhsa_reserve_flat_scratch 0
		.amdhsa_float_round_mode_32 0
		.amdhsa_float_round_mode_16_64 0
		.amdhsa_float_denorm_mode_32 3
		.amdhsa_float_denorm_mode_16_64 3
		.amdhsa_dx10_clamp 1
		.amdhsa_ieee_mode 1
		.amdhsa_fp16_overflow 0
		.amdhsa_workgroup_processor_mode 1
		.amdhsa_memory_ordered 1
		.amdhsa_forward_progress 1
		.amdhsa_shared_vgpr_count 0
		.amdhsa_exception_fp_ieee_invalid_op 0
		.amdhsa_exception_fp_denorm_src 0
		.amdhsa_exception_fp_ieee_div_zero 0
		.amdhsa_exception_fp_ieee_overflow 0
		.amdhsa_exception_fp_ieee_underflow 0
		.amdhsa_exception_fp_ieee_inexact 0
		.amdhsa_exception_int_div_zero 0
	.end_amdhsa_kernel
	.section	.text._ZN2at6native12_GLOBAL__N_113renorm_kernelIN3c108BFloat16EfKiEEvPT_PT1_T0_SA_llllPKl,"axG",@progbits,_ZN2at6native12_GLOBAL__N_113renorm_kernelIN3c108BFloat16EfKiEEvPT_PT1_T0_SA_llllPKl,comdat
.Lfunc_end224:
	.size	_ZN2at6native12_GLOBAL__N_113renorm_kernelIN3c108BFloat16EfKiEEvPT_PT1_T0_SA_llllPKl, .Lfunc_end224-_ZN2at6native12_GLOBAL__N_113renorm_kernelIN3c108BFloat16EfKiEEvPT_PT1_T0_SA_llllPKl
                                        ; -- End function
	.set _ZN2at6native12_GLOBAL__N_113renorm_kernelIN3c108BFloat16EfKiEEvPT_PT1_T0_SA_llllPKl.num_vgpr, 19
	.set _ZN2at6native12_GLOBAL__N_113renorm_kernelIN3c108BFloat16EfKiEEvPT_PT1_T0_SA_llllPKl.num_agpr, 0
	.set _ZN2at6native12_GLOBAL__N_113renorm_kernelIN3c108BFloat16EfKiEEvPT_PT1_T0_SA_llllPKl.numbered_sgpr, 27
	.set _ZN2at6native12_GLOBAL__N_113renorm_kernelIN3c108BFloat16EfKiEEvPT_PT1_T0_SA_llllPKl.num_named_barrier, 0
	.set _ZN2at6native12_GLOBAL__N_113renorm_kernelIN3c108BFloat16EfKiEEvPT_PT1_T0_SA_llllPKl.private_seg_size, 0
	.set _ZN2at6native12_GLOBAL__N_113renorm_kernelIN3c108BFloat16EfKiEEvPT_PT1_T0_SA_llllPKl.uses_vcc, 1
	.set _ZN2at6native12_GLOBAL__N_113renorm_kernelIN3c108BFloat16EfKiEEvPT_PT1_T0_SA_llllPKl.uses_flat_scratch, 0
	.set _ZN2at6native12_GLOBAL__N_113renorm_kernelIN3c108BFloat16EfKiEEvPT_PT1_T0_SA_llllPKl.has_dyn_sized_stack, 0
	.set _ZN2at6native12_GLOBAL__N_113renorm_kernelIN3c108BFloat16EfKiEEvPT_PT1_T0_SA_llllPKl.has_recursion, 0
	.set _ZN2at6native12_GLOBAL__N_113renorm_kernelIN3c108BFloat16EfKiEEvPT_PT1_T0_SA_llllPKl.has_indirect_call, 0
	.section	.AMDGPU.csdata,"",@progbits
; Kernel info:
; codeLenInByte = 3256
; TotalNumSgprs: 29
; NumVgprs: 19
; ScratchSize: 0
; MemoryBound: 0
; FloatMode: 240
; IeeeMode: 1
; LDSByteSize: 0 bytes/workgroup (compile time only)
; SGPRBlocks: 0
; VGPRBlocks: 2
; NumSGPRsForWavesPerEU: 29
; NumVGPRsForWavesPerEU: 19
; Occupancy: 16
; WaveLimiterHint : 1
; COMPUTE_PGM_RSRC2:SCRATCH_EN: 0
; COMPUTE_PGM_RSRC2:USER_SGPR: 6
; COMPUTE_PGM_RSRC2:TRAP_HANDLER: 0
; COMPUTE_PGM_RSRC2:TGID_X_EN: 1
; COMPUTE_PGM_RSRC2:TGID_Y_EN: 0
; COMPUTE_PGM_RSRC2:TGID_Z_EN: 0
; COMPUTE_PGM_RSRC2:TIDIG_COMP_CNT: 0
	.section	.text._ZN2at6native12_GLOBAL__N_136embedding_renorm_wrap_indices_kernelIlEEvPKT_PS3_ll,"axG",@progbits,_ZN2at6native12_GLOBAL__N_136embedding_renorm_wrap_indices_kernelIlEEvPKT_PS3_ll,comdat
	.globl	_ZN2at6native12_GLOBAL__N_136embedding_renorm_wrap_indices_kernelIlEEvPKT_PS3_ll ; -- Begin function _ZN2at6native12_GLOBAL__N_136embedding_renorm_wrap_indices_kernelIlEEvPKT_PS3_ll
	.p2align	8
	.type	_ZN2at6native12_GLOBAL__N_136embedding_renorm_wrap_indices_kernelIlEEvPKT_PS3_ll,@function
_ZN2at6native12_GLOBAL__N_136embedding_renorm_wrap_indices_kernelIlEEvPKT_PS3_ll: ; @_ZN2at6native12_GLOBAL__N_136embedding_renorm_wrap_indices_kernelIlEEvPKT_PS3_ll
; %bb.0:
	s_clause 0x1
	s_load_dword s0, s[4:5], 0x2c
	s_load_dwordx8 s[8:15], s[4:5], 0x0
	v_mov_b32_e32 v1, 0
	s_waitcnt lgkmcnt(0)
	s_and_b32 s0, s0, 0xffff
	v_mad_u64_u32 v[0:1], null, s0, s6, v[0:1]
	s_mov_b32 s0, exec_lo
	v_cmpx_gt_i64_e64 s[12:13], v[0:1]
	s_cbranch_execz .LBB225_6
; %bb.1:
	v_lshlrev_b64 v[0:1], 3, v[0:1]
	s_sub_u32 s0, 0, s14
	s_subb_u32 s1, 0, s15
	v_add_co_u32 v2, vcc_lo, s8, v0
	v_add_co_ci_u32_e64 v3, null, s9, v1, vcc_lo
	global_load_dwordx2 v[2:3], v[2:3], off
	s_waitcnt vmcnt(0)
	v_cmp_le_i64_e32 vcc_lo, s[0:1], v[2:3]
	s_mov_b32 s1, -1
	s_and_saveexec_b32 s0, vcc_lo
	s_cbranch_execz .LBB225_5
; %bb.2:
	s_getpc_b64 s[2:3]
	s_add_u32 s2, s2, .str.4@rel32@lo+4
	s_addc_u32 s3, s3, .str.4@rel32@hi+12
	v_cmp_le_i64_e32 vcc_lo, s[14:15], v[2:3]
	s_cmp_eq_u64 s[2:3], 0
	s_cselect_b32 s1, -1, 0
	s_or_b32 s1, vcc_lo, s1
	s_xor_b32 s3, s1, -1
	s_and_saveexec_b32 s2, s3
; %bb.3:
	v_ashrrev_i32_e32 v4, 31, v3
	v_and_b32_e32 v5, s14, v4
	v_and_b32_e32 v4, s15, v4
	v_add_co_u32 v2, vcc_lo, v5, v2
	v_add_co_ci_u32_e64 v3, null, v4, v3, vcc_lo
	v_add_co_u32 v0, vcc_lo, s10, v0
	v_add_co_ci_u32_e64 v1, null, s11, v1, vcc_lo
	global_store_dwordx2 v[0:1], v[2:3], off
; %bb.4:
	s_or_b32 exec_lo, exec_lo, s2
	s_orn2_b32 s1, s1, exec_lo
.LBB225_5:
	s_or_b32 exec_lo, exec_lo, s0
	s_and_b32 exec_lo, exec_lo, s1
	s_cbranch_execnz .LBB225_7
.LBB225_6:
	s_endpgm
.LBB225_7:
	s_trap 2
	; divergent unreachable
	s_endpgm
	.section	.rodata,"a",@progbits
	.p2align	6, 0x0
	.amdhsa_kernel _ZN2at6native12_GLOBAL__N_136embedding_renorm_wrap_indices_kernelIlEEvPKT_PS3_ll
		.amdhsa_group_segment_fixed_size 0
		.amdhsa_private_segment_fixed_size 0
		.amdhsa_kernarg_size 288
		.amdhsa_user_sgpr_count 6
		.amdhsa_user_sgpr_private_segment_buffer 1
		.amdhsa_user_sgpr_dispatch_ptr 0
		.amdhsa_user_sgpr_queue_ptr 0
		.amdhsa_user_sgpr_kernarg_segment_ptr 1
		.amdhsa_user_sgpr_dispatch_id 0
		.amdhsa_user_sgpr_flat_scratch_init 0
		.amdhsa_user_sgpr_private_segment_size 0
		.amdhsa_wavefront_size32 1
		.amdhsa_uses_dynamic_stack 0
		.amdhsa_system_sgpr_private_segment_wavefront_offset 0
		.amdhsa_system_sgpr_workgroup_id_x 1
		.amdhsa_system_sgpr_workgroup_id_y 0
		.amdhsa_system_sgpr_workgroup_id_z 0
		.amdhsa_system_sgpr_workgroup_info 0
		.amdhsa_system_vgpr_workitem_id 0
		.amdhsa_next_free_vgpr 6
		.amdhsa_next_free_sgpr 16
		.amdhsa_reserve_vcc 1
		.amdhsa_reserve_flat_scratch 0
		.amdhsa_float_round_mode_32 0
		.amdhsa_float_round_mode_16_64 0
		.amdhsa_float_denorm_mode_32 3
		.amdhsa_float_denorm_mode_16_64 3
		.amdhsa_dx10_clamp 1
		.amdhsa_ieee_mode 1
		.amdhsa_fp16_overflow 0
		.amdhsa_workgroup_processor_mode 1
		.amdhsa_memory_ordered 1
		.amdhsa_forward_progress 1
		.amdhsa_shared_vgpr_count 0
		.amdhsa_exception_fp_ieee_invalid_op 0
		.amdhsa_exception_fp_denorm_src 0
		.amdhsa_exception_fp_ieee_div_zero 0
		.amdhsa_exception_fp_ieee_overflow 0
		.amdhsa_exception_fp_ieee_underflow 0
		.amdhsa_exception_fp_ieee_inexact 0
		.amdhsa_exception_int_div_zero 0
	.end_amdhsa_kernel
	.section	.text._ZN2at6native12_GLOBAL__N_136embedding_renorm_wrap_indices_kernelIlEEvPKT_PS3_ll,"axG",@progbits,_ZN2at6native12_GLOBAL__N_136embedding_renorm_wrap_indices_kernelIlEEvPKT_PS3_ll,comdat
.Lfunc_end225:
	.size	_ZN2at6native12_GLOBAL__N_136embedding_renorm_wrap_indices_kernelIlEEvPKT_PS3_ll, .Lfunc_end225-_ZN2at6native12_GLOBAL__N_136embedding_renorm_wrap_indices_kernelIlEEvPKT_PS3_ll
                                        ; -- End function
	.set _ZN2at6native12_GLOBAL__N_136embedding_renorm_wrap_indices_kernelIlEEvPKT_PS3_ll.num_vgpr, 6
	.set _ZN2at6native12_GLOBAL__N_136embedding_renorm_wrap_indices_kernelIlEEvPKT_PS3_ll.num_agpr, 0
	.set _ZN2at6native12_GLOBAL__N_136embedding_renorm_wrap_indices_kernelIlEEvPKT_PS3_ll.numbered_sgpr, 16
	.set _ZN2at6native12_GLOBAL__N_136embedding_renorm_wrap_indices_kernelIlEEvPKT_PS3_ll.num_named_barrier, 0
	.set _ZN2at6native12_GLOBAL__N_136embedding_renorm_wrap_indices_kernelIlEEvPKT_PS3_ll.private_seg_size, 0
	.set _ZN2at6native12_GLOBAL__N_136embedding_renorm_wrap_indices_kernelIlEEvPKT_PS3_ll.uses_vcc, 1
	.set _ZN2at6native12_GLOBAL__N_136embedding_renorm_wrap_indices_kernelIlEEvPKT_PS3_ll.uses_flat_scratch, 0
	.set _ZN2at6native12_GLOBAL__N_136embedding_renorm_wrap_indices_kernelIlEEvPKT_PS3_ll.has_dyn_sized_stack, 0
	.set _ZN2at6native12_GLOBAL__N_136embedding_renorm_wrap_indices_kernelIlEEvPKT_PS3_ll.has_recursion, 0
	.set _ZN2at6native12_GLOBAL__N_136embedding_renorm_wrap_indices_kernelIlEEvPKT_PS3_ll.has_indirect_call, 0
	.section	.AMDGPU.csdata,"",@progbits
; Kernel info:
; codeLenInByte = 248
; TotalNumSgprs: 18
; NumVgprs: 6
; ScratchSize: 0
; MemoryBound: 0
; FloatMode: 240
; IeeeMode: 1
; LDSByteSize: 0 bytes/workgroup (compile time only)
; SGPRBlocks: 0
; VGPRBlocks: 0
; NumSGPRsForWavesPerEU: 18
; NumVGPRsForWavesPerEU: 6
; Occupancy: 16
; WaveLimiterHint : 0
; COMPUTE_PGM_RSRC2:SCRATCH_EN: 0
; COMPUTE_PGM_RSRC2:USER_SGPR: 6
; COMPUTE_PGM_RSRC2:TRAP_HANDLER: 0
; COMPUTE_PGM_RSRC2:TGID_X_EN: 1
; COMPUTE_PGM_RSRC2:TGID_Y_EN: 0
; COMPUTE_PGM_RSRC2:TGID_Z_EN: 0
; COMPUTE_PGM_RSRC2:TIDIG_COMP_CNT: 0
	.section	.text._ZN7rocprim17ROCPRIM_400000_NS6detail17trampoline_kernelINS0_14default_configENS1_25partition_config_selectorILNS1_17partition_subalgoE8ElNS0_10empty_typeEbEEZZNS1_14partition_implILS5_8ELb0ES3_jPKlPS6_PKS6_NS0_5tupleIJPlS6_EEENSE_IJSB_SB_EEENS0_18inequality_wrapperIN6hipcub16HIPCUB_304000_NS8EqualityEEESF_JS6_EEE10hipError_tPvRmT3_T4_T5_T6_T7_T9_mT8_P12ihipStream_tbDpT10_ENKUlT_T0_E_clISt17integral_constantIbLb0EES16_EEDaS11_S12_EUlS11_E_NS1_11comp_targetILNS1_3genE0ELNS1_11target_archE4294967295ELNS1_3gpuE0ELNS1_3repE0EEENS1_30default_config_static_selectorELNS0_4arch9wavefront6targetE0EEEvT1_,"axG",@progbits,_ZN7rocprim17ROCPRIM_400000_NS6detail17trampoline_kernelINS0_14default_configENS1_25partition_config_selectorILNS1_17partition_subalgoE8ElNS0_10empty_typeEbEEZZNS1_14partition_implILS5_8ELb0ES3_jPKlPS6_PKS6_NS0_5tupleIJPlS6_EEENSE_IJSB_SB_EEENS0_18inequality_wrapperIN6hipcub16HIPCUB_304000_NS8EqualityEEESF_JS6_EEE10hipError_tPvRmT3_T4_T5_T6_T7_T9_mT8_P12ihipStream_tbDpT10_ENKUlT_T0_E_clISt17integral_constantIbLb0EES16_EEDaS11_S12_EUlS11_E_NS1_11comp_targetILNS1_3genE0ELNS1_11target_archE4294967295ELNS1_3gpuE0ELNS1_3repE0EEENS1_30default_config_static_selectorELNS0_4arch9wavefront6targetE0EEEvT1_,comdat
	.protected	_ZN7rocprim17ROCPRIM_400000_NS6detail17trampoline_kernelINS0_14default_configENS1_25partition_config_selectorILNS1_17partition_subalgoE8ElNS0_10empty_typeEbEEZZNS1_14partition_implILS5_8ELb0ES3_jPKlPS6_PKS6_NS0_5tupleIJPlS6_EEENSE_IJSB_SB_EEENS0_18inequality_wrapperIN6hipcub16HIPCUB_304000_NS8EqualityEEESF_JS6_EEE10hipError_tPvRmT3_T4_T5_T6_T7_T9_mT8_P12ihipStream_tbDpT10_ENKUlT_T0_E_clISt17integral_constantIbLb0EES16_EEDaS11_S12_EUlS11_E_NS1_11comp_targetILNS1_3genE0ELNS1_11target_archE4294967295ELNS1_3gpuE0ELNS1_3repE0EEENS1_30default_config_static_selectorELNS0_4arch9wavefront6targetE0EEEvT1_ ; -- Begin function _ZN7rocprim17ROCPRIM_400000_NS6detail17trampoline_kernelINS0_14default_configENS1_25partition_config_selectorILNS1_17partition_subalgoE8ElNS0_10empty_typeEbEEZZNS1_14partition_implILS5_8ELb0ES3_jPKlPS6_PKS6_NS0_5tupleIJPlS6_EEENSE_IJSB_SB_EEENS0_18inequality_wrapperIN6hipcub16HIPCUB_304000_NS8EqualityEEESF_JS6_EEE10hipError_tPvRmT3_T4_T5_T6_T7_T9_mT8_P12ihipStream_tbDpT10_ENKUlT_T0_E_clISt17integral_constantIbLb0EES16_EEDaS11_S12_EUlS11_E_NS1_11comp_targetILNS1_3genE0ELNS1_11target_archE4294967295ELNS1_3gpuE0ELNS1_3repE0EEENS1_30default_config_static_selectorELNS0_4arch9wavefront6targetE0EEEvT1_
	.globl	_ZN7rocprim17ROCPRIM_400000_NS6detail17trampoline_kernelINS0_14default_configENS1_25partition_config_selectorILNS1_17partition_subalgoE8ElNS0_10empty_typeEbEEZZNS1_14partition_implILS5_8ELb0ES3_jPKlPS6_PKS6_NS0_5tupleIJPlS6_EEENSE_IJSB_SB_EEENS0_18inequality_wrapperIN6hipcub16HIPCUB_304000_NS8EqualityEEESF_JS6_EEE10hipError_tPvRmT3_T4_T5_T6_T7_T9_mT8_P12ihipStream_tbDpT10_ENKUlT_T0_E_clISt17integral_constantIbLb0EES16_EEDaS11_S12_EUlS11_E_NS1_11comp_targetILNS1_3genE0ELNS1_11target_archE4294967295ELNS1_3gpuE0ELNS1_3repE0EEENS1_30default_config_static_selectorELNS0_4arch9wavefront6targetE0EEEvT1_
	.p2align	8
	.type	_ZN7rocprim17ROCPRIM_400000_NS6detail17trampoline_kernelINS0_14default_configENS1_25partition_config_selectorILNS1_17partition_subalgoE8ElNS0_10empty_typeEbEEZZNS1_14partition_implILS5_8ELb0ES3_jPKlPS6_PKS6_NS0_5tupleIJPlS6_EEENSE_IJSB_SB_EEENS0_18inequality_wrapperIN6hipcub16HIPCUB_304000_NS8EqualityEEESF_JS6_EEE10hipError_tPvRmT3_T4_T5_T6_T7_T9_mT8_P12ihipStream_tbDpT10_ENKUlT_T0_E_clISt17integral_constantIbLb0EES16_EEDaS11_S12_EUlS11_E_NS1_11comp_targetILNS1_3genE0ELNS1_11target_archE4294967295ELNS1_3gpuE0ELNS1_3repE0EEENS1_30default_config_static_selectorELNS0_4arch9wavefront6targetE0EEEvT1_,@function
_ZN7rocprim17ROCPRIM_400000_NS6detail17trampoline_kernelINS0_14default_configENS1_25partition_config_selectorILNS1_17partition_subalgoE8ElNS0_10empty_typeEbEEZZNS1_14partition_implILS5_8ELb0ES3_jPKlPS6_PKS6_NS0_5tupleIJPlS6_EEENSE_IJSB_SB_EEENS0_18inequality_wrapperIN6hipcub16HIPCUB_304000_NS8EqualityEEESF_JS6_EEE10hipError_tPvRmT3_T4_T5_T6_T7_T9_mT8_P12ihipStream_tbDpT10_ENKUlT_T0_E_clISt17integral_constantIbLb0EES16_EEDaS11_S12_EUlS11_E_NS1_11comp_targetILNS1_3genE0ELNS1_11target_archE4294967295ELNS1_3gpuE0ELNS1_3repE0EEENS1_30default_config_static_selectorELNS0_4arch9wavefront6targetE0EEEvT1_: ; @_ZN7rocprim17ROCPRIM_400000_NS6detail17trampoline_kernelINS0_14default_configENS1_25partition_config_selectorILNS1_17partition_subalgoE8ElNS0_10empty_typeEbEEZZNS1_14partition_implILS5_8ELb0ES3_jPKlPS6_PKS6_NS0_5tupleIJPlS6_EEENSE_IJSB_SB_EEENS0_18inequality_wrapperIN6hipcub16HIPCUB_304000_NS8EqualityEEESF_JS6_EEE10hipError_tPvRmT3_T4_T5_T6_T7_T9_mT8_P12ihipStream_tbDpT10_ENKUlT_T0_E_clISt17integral_constantIbLb0EES16_EEDaS11_S12_EUlS11_E_NS1_11comp_targetILNS1_3genE0ELNS1_11target_archE4294967295ELNS1_3gpuE0ELNS1_3repE0EEENS1_30default_config_static_selectorELNS0_4arch9wavefront6targetE0EEEvT1_
; %bb.0:
	.section	.rodata,"a",@progbits
	.p2align	6, 0x0
	.amdhsa_kernel _ZN7rocprim17ROCPRIM_400000_NS6detail17trampoline_kernelINS0_14default_configENS1_25partition_config_selectorILNS1_17partition_subalgoE8ElNS0_10empty_typeEbEEZZNS1_14partition_implILS5_8ELb0ES3_jPKlPS6_PKS6_NS0_5tupleIJPlS6_EEENSE_IJSB_SB_EEENS0_18inequality_wrapperIN6hipcub16HIPCUB_304000_NS8EqualityEEESF_JS6_EEE10hipError_tPvRmT3_T4_T5_T6_T7_T9_mT8_P12ihipStream_tbDpT10_ENKUlT_T0_E_clISt17integral_constantIbLb0EES16_EEDaS11_S12_EUlS11_E_NS1_11comp_targetILNS1_3genE0ELNS1_11target_archE4294967295ELNS1_3gpuE0ELNS1_3repE0EEENS1_30default_config_static_selectorELNS0_4arch9wavefront6targetE0EEEvT1_
		.amdhsa_group_segment_fixed_size 0
		.amdhsa_private_segment_fixed_size 0
		.amdhsa_kernarg_size 112
		.amdhsa_user_sgpr_count 6
		.amdhsa_user_sgpr_private_segment_buffer 1
		.amdhsa_user_sgpr_dispatch_ptr 0
		.amdhsa_user_sgpr_queue_ptr 0
		.amdhsa_user_sgpr_kernarg_segment_ptr 1
		.amdhsa_user_sgpr_dispatch_id 0
		.amdhsa_user_sgpr_flat_scratch_init 0
		.amdhsa_user_sgpr_private_segment_size 0
		.amdhsa_wavefront_size32 1
		.amdhsa_uses_dynamic_stack 0
		.amdhsa_system_sgpr_private_segment_wavefront_offset 0
		.amdhsa_system_sgpr_workgroup_id_x 1
		.amdhsa_system_sgpr_workgroup_id_y 0
		.amdhsa_system_sgpr_workgroup_id_z 0
		.amdhsa_system_sgpr_workgroup_info 0
		.amdhsa_system_vgpr_workitem_id 0
		.amdhsa_next_free_vgpr 1
		.amdhsa_next_free_sgpr 1
		.amdhsa_reserve_vcc 0
		.amdhsa_reserve_flat_scratch 0
		.amdhsa_float_round_mode_32 0
		.amdhsa_float_round_mode_16_64 0
		.amdhsa_float_denorm_mode_32 3
		.amdhsa_float_denorm_mode_16_64 3
		.amdhsa_dx10_clamp 1
		.amdhsa_ieee_mode 1
		.amdhsa_fp16_overflow 0
		.amdhsa_workgroup_processor_mode 1
		.amdhsa_memory_ordered 1
		.amdhsa_forward_progress 1
		.amdhsa_shared_vgpr_count 0
		.amdhsa_exception_fp_ieee_invalid_op 0
		.amdhsa_exception_fp_denorm_src 0
		.amdhsa_exception_fp_ieee_div_zero 0
		.amdhsa_exception_fp_ieee_overflow 0
		.amdhsa_exception_fp_ieee_underflow 0
		.amdhsa_exception_fp_ieee_inexact 0
		.amdhsa_exception_int_div_zero 0
	.end_amdhsa_kernel
	.section	.text._ZN7rocprim17ROCPRIM_400000_NS6detail17trampoline_kernelINS0_14default_configENS1_25partition_config_selectorILNS1_17partition_subalgoE8ElNS0_10empty_typeEbEEZZNS1_14partition_implILS5_8ELb0ES3_jPKlPS6_PKS6_NS0_5tupleIJPlS6_EEENSE_IJSB_SB_EEENS0_18inequality_wrapperIN6hipcub16HIPCUB_304000_NS8EqualityEEESF_JS6_EEE10hipError_tPvRmT3_T4_T5_T6_T7_T9_mT8_P12ihipStream_tbDpT10_ENKUlT_T0_E_clISt17integral_constantIbLb0EES16_EEDaS11_S12_EUlS11_E_NS1_11comp_targetILNS1_3genE0ELNS1_11target_archE4294967295ELNS1_3gpuE0ELNS1_3repE0EEENS1_30default_config_static_selectorELNS0_4arch9wavefront6targetE0EEEvT1_,"axG",@progbits,_ZN7rocprim17ROCPRIM_400000_NS6detail17trampoline_kernelINS0_14default_configENS1_25partition_config_selectorILNS1_17partition_subalgoE8ElNS0_10empty_typeEbEEZZNS1_14partition_implILS5_8ELb0ES3_jPKlPS6_PKS6_NS0_5tupleIJPlS6_EEENSE_IJSB_SB_EEENS0_18inequality_wrapperIN6hipcub16HIPCUB_304000_NS8EqualityEEESF_JS6_EEE10hipError_tPvRmT3_T4_T5_T6_T7_T9_mT8_P12ihipStream_tbDpT10_ENKUlT_T0_E_clISt17integral_constantIbLb0EES16_EEDaS11_S12_EUlS11_E_NS1_11comp_targetILNS1_3genE0ELNS1_11target_archE4294967295ELNS1_3gpuE0ELNS1_3repE0EEENS1_30default_config_static_selectorELNS0_4arch9wavefront6targetE0EEEvT1_,comdat
.Lfunc_end226:
	.size	_ZN7rocprim17ROCPRIM_400000_NS6detail17trampoline_kernelINS0_14default_configENS1_25partition_config_selectorILNS1_17partition_subalgoE8ElNS0_10empty_typeEbEEZZNS1_14partition_implILS5_8ELb0ES3_jPKlPS6_PKS6_NS0_5tupleIJPlS6_EEENSE_IJSB_SB_EEENS0_18inequality_wrapperIN6hipcub16HIPCUB_304000_NS8EqualityEEESF_JS6_EEE10hipError_tPvRmT3_T4_T5_T6_T7_T9_mT8_P12ihipStream_tbDpT10_ENKUlT_T0_E_clISt17integral_constantIbLb0EES16_EEDaS11_S12_EUlS11_E_NS1_11comp_targetILNS1_3genE0ELNS1_11target_archE4294967295ELNS1_3gpuE0ELNS1_3repE0EEENS1_30default_config_static_selectorELNS0_4arch9wavefront6targetE0EEEvT1_, .Lfunc_end226-_ZN7rocprim17ROCPRIM_400000_NS6detail17trampoline_kernelINS0_14default_configENS1_25partition_config_selectorILNS1_17partition_subalgoE8ElNS0_10empty_typeEbEEZZNS1_14partition_implILS5_8ELb0ES3_jPKlPS6_PKS6_NS0_5tupleIJPlS6_EEENSE_IJSB_SB_EEENS0_18inequality_wrapperIN6hipcub16HIPCUB_304000_NS8EqualityEEESF_JS6_EEE10hipError_tPvRmT3_T4_T5_T6_T7_T9_mT8_P12ihipStream_tbDpT10_ENKUlT_T0_E_clISt17integral_constantIbLb0EES16_EEDaS11_S12_EUlS11_E_NS1_11comp_targetILNS1_3genE0ELNS1_11target_archE4294967295ELNS1_3gpuE0ELNS1_3repE0EEENS1_30default_config_static_selectorELNS0_4arch9wavefront6targetE0EEEvT1_
                                        ; -- End function
	.set _ZN7rocprim17ROCPRIM_400000_NS6detail17trampoline_kernelINS0_14default_configENS1_25partition_config_selectorILNS1_17partition_subalgoE8ElNS0_10empty_typeEbEEZZNS1_14partition_implILS5_8ELb0ES3_jPKlPS6_PKS6_NS0_5tupleIJPlS6_EEENSE_IJSB_SB_EEENS0_18inequality_wrapperIN6hipcub16HIPCUB_304000_NS8EqualityEEESF_JS6_EEE10hipError_tPvRmT3_T4_T5_T6_T7_T9_mT8_P12ihipStream_tbDpT10_ENKUlT_T0_E_clISt17integral_constantIbLb0EES16_EEDaS11_S12_EUlS11_E_NS1_11comp_targetILNS1_3genE0ELNS1_11target_archE4294967295ELNS1_3gpuE0ELNS1_3repE0EEENS1_30default_config_static_selectorELNS0_4arch9wavefront6targetE0EEEvT1_.num_vgpr, 0
	.set _ZN7rocprim17ROCPRIM_400000_NS6detail17trampoline_kernelINS0_14default_configENS1_25partition_config_selectorILNS1_17partition_subalgoE8ElNS0_10empty_typeEbEEZZNS1_14partition_implILS5_8ELb0ES3_jPKlPS6_PKS6_NS0_5tupleIJPlS6_EEENSE_IJSB_SB_EEENS0_18inequality_wrapperIN6hipcub16HIPCUB_304000_NS8EqualityEEESF_JS6_EEE10hipError_tPvRmT3_T4_T5_T6_T7_T9_mT8_P12ihipStream_tbDpT10_ENKUlT_T0_E_clISt17integral_constantIbLb0EES16_EEDaS11_S12_EUlS11_E_NS1_11comp_targetILNS1_3genE0ELNS1_11target_archE4294967295ELNS1_3gpuE0ELNS1_3repE0EEENS1_30default_config_static_selectorELNS0_4arch9wavefront6targetE0EEEvT1_.num_agpr, 0
	.set _ZN7rocprim17ROCPRIM_400000_NS6detail17trampoline_kernelINS0_14default_configENS1_25partition_config_selectorILNS1_17partition_subalgoE8ElNS0_10empty_typeEbEEZZNS1_14partition_implILS5_8ELb0ES3_jPKlPS6_PKS6_NS0_5tupleIJPlS6_EEENSE_IJSB_SB_EEENS0_18inequality_wrapperIN6hipcub16HIPCUB_304000_NS8EqualityEEESF_JS6_EEE10hipError_tPvRmT3_T4_T5_T6_T7_T9_mT8_P12ihipStream_tbDpT10_ENKUlT_T0_E_clISt17integral_constantIbLb0EES16_EEDaS11_S12_EUlS11_E_NS1_11comp_targetILNS1_3genE0ELNS1_11target_archE4294967295ELNS1_3gpuE0ELNS1_3repE0EEENS1_30default_config_static_selectorELNS0_4arch9wavefront6targetE0EEEvT1_.numbered_sgpr, 0
	.set _ZN7rocprim17ROCPRIM_400000_NS6detail17trampoline_kernelINS0_14default_configENS1_25partition_config_selectorILNS1_17partition_subalgoE8ElNS0_10empty_typeEbEEZZNS1_14partition_implILS5_8ELb0ES3_jPKlPS6_PKS6_NS0_5tupleIJPlS6_EEENSE_IJSB_SB_EEENS0_18inequality_wrapperIN6hipcub16HIPCUB_304000_NS8EqualityEEESF_JS6_EEE10hipError_tPvRmT3_T4_T5_T6_T7_T9_mT8_P12ihipStream_tbDpT10_ENKUlT_T0_E_clISt17integral_constantIbLb0EES16_EEDaS11_S12_EUlS11_E_NS1_11comp_targetILNS1_3genE0ELNS1_11target_archE4294967295ELNS1_3gpuE0ELNS1_3repE0EEENS1_30default_config_static_selectorELNS0_4arch9wavefront6targetE0EEEvT1_.num_named_barrier, 0
	.set _ZN7rocprim17ROCPRIM_400000_NS6detail17trampoline_kernelINS0_14default_configENS1_25partition_config_selectorILNS1_17partition_subalgoE8ElNS0_10empty_typeEbEEZZNS1_14partition_implILS5_8ELb0ES3_jPKlPS6_PKS6_NS0_5tupleIJPlS6_EEENSE_IJSB_SB_EEENS0_18inequality_wrapperIN6hipcub16HIPCUB_304000_NS8EqualityEEESF_JS6_EEE10hipError_tPvRmT3_T4_T5_T6_T7_T9_mT8_P12ihipStream_tbDpT10_ENKUlT_T0_E_clISt17integral_constantIbLb0EES16_EEDaS11_S12_EUlS11_E_NS1_11comp_targetILNS1_3genE0ELNS1_11target_archE4294967295ELNS1_3gpuE0ELNS1_3repE0EEENS1_30default_config_static_selectorELNS0_4arch9wavefront6targetE0EEEvT1_.private_seg_size, 0
	.set _ZN7rocprim17ROCPRIM_400000_NS6detail17trampoline_kernelINS0_14default_configENS1_25partition_config_selectorILNS1_17partition_subalgoE8ElNS0_10empty_typeEbEEZZNS1_14partition_implILS5_8ELb0ES3_jPKlPS6_PKS6_NS0_5tupleIJPlS6_EEENSE_IJSB_SB_EEENS0_18inequality_wrapperIN6hipcub16HIPCUB_304000_NS8EqualityEEESF_JS6_EEE10hipError_tPvRmT3_T4_T5_T6_T7_T9_mT8_P12ihipStream_tbDpT10_ENKUlT_T0_E_clISt17integral_constantIbLb0EES16_EEDaS11_S12_EUlS11_E_NS1_11comp_targetILNS1_3genE0ELNS1_11target_archE4294967295ELNS1_3gpuE0ELNS1_3repE0EEENS1_30default_config_static_selectorELNS0_4arch9wavefront6targetE0EEEvT1_.uses_vcc, 0
	.set _ZN7rocprim17ROCPRIM_400000_NS6detail17trampoline_kernelINS0_14default_configENS1_25partition_config_selectorILNS1_17partition_subalgoE8ElNS0_10empty_typeEbEEZZNS1_14partition_implILS5_8ELb0ES3_jPKlPS6_PKS6_NS0_5tupleIJPlS6_EEENSE_IJSB_SB_EEENS0_18inequality_wrapperIN6hipcub16HIPCUB_304000_NS8EqualityEEESF_JS6_EEE10hipError_tPvRmT3_T4_T5_T6_T7_T9_mT8_P12ihipStream_tbDpT10_ENKUlT_T0_E_clISt17integral_constantIbLb0EES16_EEDaS11_S12_EUlS11_E_NS1_11comp_targetILNS1_3genE0ELNS1_11target_archE4294967295ELNS1_3gpuE0ELNS1_3repE0EEENS1_30default_config_static_selectorELNS0_4arch9wavefront6targetE0EEEvT1_.uses_flat_scratch, 0
	.set _ZN7rocprim17ROCPRIM_400000_NS6detail17trampoline_kernelINS0_14default_configENS1_25partition_config_selectorILNS1_17partition_subalgoE8ElNS0_10empty_typeEbEEZZNS1_14partition_implILS5_8ELb0ES3_jPKlPS6_PKS6_NS0_5tupleIJPlS6_EEENSE_IJSB_SB_EEENS0_18inequality_wrapperIN6hipcub16HIPCUB_304000_NS8EqualityEEESF_JS6_EEE10hipError_tPvRmT3_T4_T5_T6_T7_T9_mT8_P12ihipStream_tbDpT10_ENKUlT_T0_E_clISt17integral_constantIbLb0EES16_EEDaS11_S12_EUlS11_E_NS1_11comp_targetILNS1_3genE0ELNS1_11target_archE4294967295ELNS1_3gpuE0ELNS1_3repE0EEENS1_30default_config_static_selectorELNS0_4arch9wavefront6targetE0EEEvT1_.has_dyn_sized_stack, 0
	.set _ZN7rocprim17ROCPRIM_400000_NS6detail17trampoline_kernelINS0_14default_configENS1_25partition_config_selectorILNS1_17partition_subalgoE8ElNS0_10empty_typeEbEEZZNS1_14partition_implILS5_8ELb0ES3_jPKlPS6_PKS6_NS0_5tupleIJPlS6_EEENSE_IJSB_SB_EEENS0_18inequality_wrapperIN6hipcub16HIPCUB_304000_NS8EqualityEEESF_JS6_EEE10hipError_tPvRmT3_T4_T5_T6_T7_T9_mT8_P12ihipStream_tbDpT10_ENKUlT_T0_E_clISt17integral_constantIbLb0EES16_EEDaS11_S12_EUlS11_E_NS1_11comp_targetILNS1_3genE0ELNS1_11target_archE4294967295ELNS1_3gpuE0ELNS1_3repE0EEENS1_30default_config_static_selectorELNS0_4arch9wavefront6targetE0EEEvT1_.has_recursion, 0
	.set _ZN7rocprim17ROCPRIM_400000_NS6detail17trampoline_kernelINS0_14default_configENS1_25partition_config_selectorILNS1_17partition_subalgoE8ElNS0_10empty_typeEbEEZZNS1_14partition_implILS5_8ELb0ES3_jPKlPS6_PKS6_NS0_5tupleIJPlS6_EEENSE_IJSB_SB_EEENS0_18inequality_wrapperIN6hipcub16HIPCUB_304000_NS8EqualityEEESF_JS6_EEE10hipError_tPvRmT3_T4_T5_T6_T7_T9_mT8_P12ihipStream_tbDpT10_ENKUlT_T0_E_clISt17integral_constantIbLb0EES16_EEDaS11_S12_EUlS11_E_NS1_11comp_targetILNS1_3genE0ELNS1_11target_archE4294967295ELNS1_3gpuE0ELNS1_3repE0EEENS1_30default_config_static_selectorELNS0_4arch9wavefront6targetE0EEEvT1_.has_indirect_call, 0
	.section	.AMDGPU.csdata,"",@progbits
; Kernel info:
; codeLenInByte = 0
; TotalNumSgprs: 0
; NumVgprs: 0
; ScratchSize: 0
; MemoryBound: 0
; FloatMode: 240
; IeeeMode: 1
; LDSByteSize: 0 bytes/workgroup (compile time only)
; SGPRBlocks: 0
; VGPRBlocks: 0
; NumSGPRsForWavesPerEU: 1
; NumVGPRsForWavesPerEU: 1
; Occupancy: 16
; WaveLimiterHint : 0
; COMPUTE_PGM_RSRC2:SCRATCH_EN: 0
; COMPUTE_PGM_RSRC2:USER_SGPR: 6
; COMPUTE_PGM_RSRC2:TRAP_HANDLER: 0
; COMPUTE_PGM_RSRC2:TGID_X_EN: 1
; COMPUTE_PGM_RSRC2:TGID_Y_EN: 0
; COMPUTE_PGM_RSRC2:TGID_Z_EN: 0
; COMPUTE_PGM_RSRC2:TIDIG_COMP_CNT: 0
	.section	.text._ZN7rocprim17ROCPRIM_400000_NS6detail17trampoline_kernelINS0_14default_configENS1_25partition_config_selectorILNS1_17partition_subalgoE8ElNS0_10empty_typeEbEEZZNS1_14partition_implILS5_8ELb0ES3_jPKlPS6_PKS6_NS0_5tupleIJPlS6_EEENSE_IJSB_SB_EEENS0_18inequality_wrapperIN6hipcub16HIPCUB_304000_NS8EqualityEEESF_JS6_EEE10hipError_tPvRmT3_T4_T5_T6_T7_T9_mT8_P12ihipStream_tbDpT10_ENKUlT_T0_E_clISt17integral_constantIbLb0EES16_EEDaS11_S12_EUlS11_E_NS1_11comp_targetILNS1_3genE5ELNS1_11target_archE942ELNS1_3gpuE9ELNS1_3repE0EEENS1_30default_config_static_selectorELNS0_4arch9wavefront6targetE0EEEvT1_,"axG",@progbits,_ZN7rocprim17ROCPRIM_400000_NS6detail17trampoline_kernelINS0_14default_configENS1_25partition_config_selectorILNS1_17partition_subalgoE8ElNS0_10empty_typeEbEEZZNS1_14partition_implILS5_8ELb0ES3_jPKlPS6_PKS6_NS0_5tupleIJPlS6_EEENSE_IJSB_SB_EEENS0_18inequality_wrapperIN6hipcub16HIPCUB_304000_NS8EqualityEEESF_JS6_EEE10hipError_tPvRmT3_T4_T5_T6_T7_T9_mT8_P12ihipStream_tbDpT10_ENKUlT_T0_E_clISt17integral_constantIbLb0EES16_EEDaS11_S12_EUlS11_E_NS1_11comp_targetILNS1_3genE5ELNS1_11target_archE942ELNS1_3gpuE9ELNS1_3repE0EEENS1_30default_config_static_selectorELNS0_4arch9wavefront6targetE0EEEvT1_,comdat
	.protected	_ZN7rocprim17ROCPRIM_400000_NS6detail17trampoline_kernelINS0_14default_configENS1_25partition_config_selectorILNS1_17partition_subalgoE8ElNS0_10empty_typeEbEEZZNS1_14partition_implILS5_8ELb0ES3_jPKlPS6_PKS6_NS0_5tupleIJPlS6_EEENSE_IJSB_SB_EEENS0_18inequality_wrapperIN6hipcub16HIPCUB_304000_NS8EqualityEEESF_JS6_EEE10hipError_tPvRmT3_T4_T5_T6_T7_T9_mT8_P12ihipStream_tbDpT10_ENKUlT_T0_E_clISt17integral_constantIbLb0EES16_EEDaS11_S12_EUlS11_E_NS1_11comp_targetILNS1_3genE5ELNS1_11target_archE942ELNS1_3gpuE9ELNS1_3repE0EEENS1_30default_config_static_selectorELNS0_4arch9wavefront6targetE0EEEvT1_ ; -- Begin function _ZN7rocprim17ROCPRIM_400000_NS6detail17trampoline_kernelINS0_14default_configENS1_25partition_config_selectorILNS1_17partition_subalgoE8ElNS0_10empty_typeEbEEZZNS1_14partition_implILS5_8ELb0ES3_jPKlPS6_PKS6_NS0_5tupleIJPlS6_EEENSE_IJSB_SB_EEENS0_18inequality_wrapperIN6hipcub16HIPCUB_304000_NS8EqualityEEESF_JS6_EEE10hipError_tPvRmT3_T4_T5_T6_T7_T9_mT8_P12ihipStream_tbDpT10_ENKUlT_T0_E_clISt17integral_constantIbLb0EES16_EEDaS11_S12_EUlS11_E_NS1_11comp_targetILNS1_3genE5ELNS1_11target_archE942ELNS1_3gpuE9ELNS1_3repE0EEENS1_30default_config_static_selectorELNS0_4arch9wavefront6targetE0EEEvT1_
	.globl	_ZN7rocprim17ROCPRIM_400000_NS6detail17trampoline_kernelINS0_14default_configENS1_25partition_config_selectorILNS1_17partition_subalgoE8ElNS0_10empty_typeEbEEZZNS1_14partition_implILS5_8ELb0ES3_jPKlPS6_PKS6_NS0_5tupleIJPlS6_EEENSE_IJSB_SB_EEENS0_18inequality_wrapperIN6hipcub16HIPCUB_304000_NS8EqualityEEESF_JS6_EEE10hipError_tPvRmT3_T4_T5_T6_T7_T9_mT8_P12ihipStream_tbDpT10_ENKUlT_T0_E_clISt17integral_constantIbLb0EES16_EEDaS11_S12_EUlS11_E_NS1_11comp_targetILNS1_3genE5ELNS1_11target_archE942ELNS1_3gpuE9ELNS1_3repE0EEENS1_30default_config_static_selectorELNS0_4arch9wavefront6targetE0EEEvT1_
	.p2align	8
	.type	_ZN7rocprim17ROCPRIM_400000_NS6detail17trampoline_kernelINS0_14default_configENS1_25partition_config_selectorILNS1_17partition_subalgoE8ElNS0_10empty_typeEbEEZZNS1_14partition_implILS5_8ELb0ES3_jPKlPS6_PKS6_NS0_5tupleIJPlS6_EEENSE_IJSB_SB_EEENS0_18inequality_wrapperIN6hipcub16HIPCUB_304000_NS8EqualityEEESF_JS6_EEE10hipError_tPvRmT3_T4_T5_T6_T7_T9_mT8_P12ihipStream_tbDpT10_ENKUlT_T0_E_clISt17integral_constantIbLb0EES16_EEDaS11_S12_EUlS11_E_NS1_11comp_targetILNS1_3genE5ELNS1_11target_archE942ELNS1_3gpuE9ELNS1_3repE0EEENS1_30default_config_static_selectorELNS0_4arch9wavefront6targetE0EEEvT1_,@function
_ZN7rocprim17ROCPRIM_400000_NS6detail17trampoline_kernelINS0_14default_configENS1_25partition_config_selectorILNS1_17partition_subalgoE8ElNS0_10empty_typeEbEEZZNS1_14partition_implILS5_8ELb0ES3_jPKlPS6_PKS6_NS0_5tupleIJPlS6_EEENSE_IJSB_SB_EEENS0_18inequality_wrapperIN6hipcub16HIPCUB_304000_NS8EqualityEEESF_JS6_EEE10hipError_tPvRmT3_T4_T5_T6_T7_T9_mT8_P12ihipStream_tbDpT10_ENKUlT_T0_E_clISt17integral_constantIbLb0EES16_EEDaS11_S12_EUlS11_E_NS1_11comp_targetILNS1_3genE5ELNS1_11target_archE942ELNS1_3gpuE9ELNS1_3repE0EEENS1_30default_config_static_selectorELNS0_4arch9wavefront6targetE0EEEvT1_: ; @_ZN7rocprim17ROCPRIM_400000_NS6detail17trampoline_kernelINS0_14default_configENS1_25partition_config_selectorILNS1_17partition_subalgoE8ElNS0_10empty_typeEbEEZZNS1_14partition_implILS5_8ELb0ES3_jPKlPS6_PKS6_NS0_5tupleIJPlS6_EEENSE_IJSB_SB_EEENS0_18inequality_wrapperIN6hipcub16HIPCUB_304000_NS8EqualityEEESF_JS6_EEE10hipError_tPvRmT3_T4_T5_T6_T7_T9_mT8_P12ihipStream_tbDpT10_ENKUlT_T0_E_clISt17integral_constantIbLb0EES16_EEDaS11_S12_EUlS11_E_NS1_11comp_targetILNS1_3genE5ELNS1_11target_archE942ELNS1_3gpuE9ELNS1_3repE0EEENS1_30default_config_static_selectorELNS0_4arch9wavefront6targetE0EEEvT1_
; %bb.0:
	.section	.rodata,"a",@progbits
	.p2align	6, 0x0
	.amdhsa_kernel _ZN7rocprim17ROCPRIM_400000_NS6detail17trampoline_kernelINS0_14default_configENS1_25partition_config_selectorILNS1_17partition_subalgoE8ElNS0_10empty_typeEbEEZZNS1_14partition_implILS5_8ELb0ES3_jPKlPS6_PKS6_NS0_5tupleIJPlS6_EEENSE_IJSB_SB_EEENS0_18inequality_wrapperIN6hipcub16HIPCUB_304000_NS8EqualityEEESF_JS6_EEE10hipError_tPvRmT3_T4_T5_T6_T7_T9_mT8_P12ihipStream_tbDpT10_ENKUlT_T0_E_clISt17integral_constantIbLb0EES16_EEDaS11_S12_EUlS11_E_NS1_11comp_targetILNS1_3genE5ELNS1_11target_archE942ELNS1_3gpuE9ELNS1_3repE0EEENS1_30default_config_static_selectorELNS0_4arch9wavefront6targetE0EEEvT1_
		.amdhsa_group_segment_fixed_size 0
		.amdhsa_private_segment_fixed_size 0
		.amdhsa_kernarg_size 112
		.amdhsa_user_sgpr_count 6
		.amdhsa_user_sgpr_private_segment_buffer 1
		.amdhsa_user_sgpr_dispatch_ptr 0
		.amdhsa_user_sgpr_queue_ptr 0
		.amdhsa_user_sgpr_kernarg_segment_ptr 1
		.amdhsa_user_sgpr_dispatch_id 0
		.amdhsa_user_sgpr_flat_scratch_init 0
		.amdhsa_user_sgpr_private_segment_size 0
		.amdhsa_wavefront_size32 1
		.amdhsa_uses_dynamic_stack 0
		.amdhsa_system_sgpr_private_segment_wavefront_offset 0
		.amdhsa_system_sgpr_workgroup_id_x 1
		.amdhsa_system_sgpr_workgroup_id_y 0
		.amdhsa_system_sgpr_workgroup_id_z 0
		.amdhsa_system_sgpr_workgroup_info 0
		.amdhsa_system_vgpr_workitem_id 0
		.amdhsa_next_free_vgpr 1
		.amdhsa_next_free_sgpr 1
		.amdhsa_reserve_vcc 0
		.amdhsa_reserve_flat_scratch 0
		.amdhsa_float_round_mode_32 0
		.amdhsa_float_round_mode_16_64 0
		.amdhsa_float_denorm_mode_32 3
		.amdhsa_float_denorm_mode_16_64 3
		.amdhsa_dx10_clamp 1
		.amdhsa_ieee_mode 1
		.amdhsa_fp16_overflow 0
		.amdhsa_workgroup_processor_mode 1
		.amdhsa_memory_ordered 1
		.amdhsa_forward_progress 1
		.amdhsa_shared_vgpr_count 0
		.amdhsa_exception_fp_ieee_invalid_op 0
		.amdhsa_exception_fp_denorm_src 0
		.amdhsa_exception_fp_ieee_div_zero 0
		.amdhsa_exception_fp_ieee_overflow 0
		.amdhsa_exception_fp_ieee_underflow 0
		.amdhsa_exception_fp_ieee_inexact 0
		.amdhsa_exception_int_div_zero 0
	.end_amdhsa_kernel
	.section	.text._ZN7rocprim17ROCPRIM_400000_NS6detail17trampoline_kernelINS0_14default_configENS1_25partition_config_selectorILNS1_17partition_subalgoE8ElNS0_10empty_typeEbEEZZNS1_14partition_implILS5_8ELb0ES3_jPKlPS6_PKS6_NS0_5tupleIJPlS6_EEENSE_IJSB_SB_EEENS0_18inequality_wrapperIN6hipcub16HIPCUB_304000_NS8EqualityEEESF_JS6_EEE10hipError_tPvRmT3_T4_T5_T6_T7_T9_mT8_P12ihipStream_tbDpT10_ENKUlT_T0_E_clISt17integral_constantIbLb0EES16_EEDaS11_S12_EUlS11_E_NS1_11comp_targetILNS1_3genE5ELNS1_11target_archE942ELNS1_3gpuE9ELNS1_3repE0EEENS1_30default_config_static_selectorELNS0_4arch9wavefront6targetE0EEEvT1_,"axG",@progbits,_ZN7rocprim17ROCPRIM_400000_NS6detail17trampoline_kernelINS0_14default_configENS1_25partition_config_selectorILNS1_17partition_subalgoE8ElNS0_10empty_typeEbEEZZNS1_14partition_implILS5_8ELb0ES3_jPKlPS6_PKS6_NS0_5tupleIJPlS6_EEENSE_IJSB_SB_EEENS0_18inequality_wrapperIN6hipcub16HIPCUB_304000_NS8EqualityEEESF_JS6_EEE10hipError_tPvRmT3_T4_T5_T6_T7_T9_mT8_P12ihipStream_tbDpT10_ENKUlT_T0_E_clISt17integral_constantIbLb0EES16_EEDaS11_S12_EUlS11_E_NS1_11comp_targetILNS1_3genE5ELNS1_11target_archE942ELNS1_3gpuE9ELNS1_3repE0EEENS1_30default_config_static_selectorELNS0_4arch9wavefront6targetE0EEEvT1_,comdat
.Lfunc_end227:
	.size	_ZN7rocprim17ROCPRIM_400000_NS6detail17trampoline_kernelINS0_14default_configENS1_25partition_config_selectorILNS1_17partition_subalgoE8ElNS0_10empty_typeEbEEZZNS1_14partition_implILS5_8ELb0ES3_jPKlPS6_PKS6_NS0_5tupleIJPlS6_EEENSE_IJSB_SB_EEENS0_18inequality_wrapperIN6hipcub16HIPCUB_304000_NS8EqualityEEESF_JS6_EEE10hipError_tPvRmT3_T4_T5_T6_T7_T9_mT8_P12ihipStream_tbDpT10_ENKUlT_T0_E_clISt17integral_constantIbLb0EES16_EEDaS11_S12_EUlS11_E_NS1_11comp_targetILNS1_3genE5ELNS1_11target_archE942ELNS1_3gpuE9ELNS1_3repE0EEENS1_30default_config_static_selectorELNS0_4arch9wavefront6targetE0EEEvT1_, .Lfunc_end227-_ZN7rocprim17ROCPRIM_400000_NS6detail17trampoline_kernelINS0_14default_configENS1_25partition_config_selectorILNS1_17partition_subalgoE8ElNS0_10empty_typeEbEEZZNS1_14partition_implILS5_8ELb0ES3_jPKlPS6_PKS6_NS0_5tupleIJPlS6_EEENSE_IJSB_SB_EEENS0_18inequality_wrapperIN6hipcub16HIPCUB_304000_NS8EqualityEEESF_JS6_EEE10hipError_tPvRmT3_T4_T5_T6_T7_T9_mT8_P12ihipStream_tbDpT10_ENKUlT_T0_E_clISt17integral_constantIbLb0EES16_EEDaS11_S12_EUlS11_E_NS1_11comp_targetILNS1_3genE5ELNS1_11target_archE942ELNS1_3gpuE9ELNS1_3repE0EEENS1_30default_config_static_selectorELNS0_4arch9wavefront6targetE0EEEvT1_
                                        ; -- End function
	.set _ZN7rocprim17ROCPRIM_400000_NS6detail17trampoline_kernelINS0_14default_configENS1_25partition_config_selectorILNS1_17partition_subalgoE8ElNS0_10empty_typeEbEEZZNS1_14partition_implILS5_8ELb0ES3_jPKlPS6_PKS6_NS0_5tupleIJPlS6_EEENSE_IJSB_SB_EEENS0_18inequality_wrapperIN6hipcub16HIPCUB_304000_NS8EqualityEEESF_JS6_EEE10hipError_tPvRmT3_T4_T5_T6_T7_T9_mT8_P12ihipStream_tbDpT10_ENKUlT_T0_E_clISt17integral_constantIbLb0EES16_EEDaS11_S12_EUlS11_E_NS1_11comp_targetILNS1_3genE5ELNS1_11target_archE942ELNS1_3gpuE9ELNS1_3repE0EEENS1_30default_config_static_selectorELNS0_4arch9wavefront6targetE0EEEvT1_.num_vgpr, 0
	.set _ZN7rocprim17ROCPRIM_400000_NS6detail17trampoline_kernelINS0_14default_configENS1_25partition_config_selectorILNS1_17partition_subalgoE8ElNS0_10empty_typeEbEEZZNS1_14partition_implILS5_8ELb0ES3_jPKlPS6_PKS6_NS0_5tupleIJPlS6_EEENSE_IJSB_SB_EEENS0_18inequality_wrapperIN6hipcub16HIPCUB_304000_NS8EqualityEEESF_JS6_EEE10hipError_tPvRmT3_T4_T5_T6_T7_T9_mT8_P12ihipStream_tbDpT10_ENKUlT_T0_E_clISt17integral_constantIbLb0EES16_EEDaS11_S12_EUlS11_E_NS1_11comp_targetILNS1_3genE5ELNS1_11target_archE942ELNS1_3gpuE9ELNS1_3repE0EEENS1_30default_config_static_selectorELNS0_4arch9wavefront6targetE0EEEvT1_.num_agpr, 0
	.set _ZN7rocprim17ROCPRIM_400000_NS6detail17trampoline_kernelINS0_14default_configENS1_25partition_config_selectorILNS1_17partition_subalgoE8ElNS0_10empty_typeEbEEZZNS1_14partition_implILS5_8ELb0ES3_jPKlPS6_PKS6_NS0_5tupleIJPlS6_EEENSE_IJSB_SB_EEENS0_18inequality_wrapperIN6hipcub16HIPCUB_304000_NS8EqualityEEESF_JS6_EEE10hipError_tPvRmT3_T4_T5_T6_T7_T9_mT8_P12ihipStream_tbDpT10_ENKUlT_T0_E_clISt17integral_constantIbLb0EES16_EEDaS11_S12_EUlS11_E_NS1_11comp_targetILNS1_3genE5ELNS1_11target_archE942ELNS1_3gpuE9ELNS1_3repE0EEENS1_30default_config_static_selectorELNS0_4arch9wavefront6targetE0EEEvT1_.numbered_sgpr, 0
	.set _ZN7rocprim17ROCPRIM_400000_NS6detail17trampoline_kernelINS0_14default_configENS1_25partition_config_selectorILNS1_17partition_subalgoE8ElNS0_10empty_typeEbEEZZNS1_14partition_implILS5_8ELb0ES3_jPKlPS6_PKS6_NS0_5tupleIJPlS6_EEENSE_IJSB_SB_EEENS0_18inequality_wrapperIN6hipcub16HIPCUB_304000_NS8EqualityEEESF_JS6_EEE10hipError_tPvRmT3_T4_T5_T6_T7_T9_mT8_P12ihipStream_tbDpT10_ENKUlT_T0_E_clISt17integral_constantIbLb0EES16_EEDaS11_S12_EUlS11_E_NS1_11comp_targetILNS1_3genE5ELNS1_11target_archE942ELNS1_3gpuE9ELNS1_3repE0EEENS1_30default_config_static_selectorELNS0_4arch9wavefront6targetE0EEEvT1_.num_named_barrier, 0
	.set _ZN7rocprim17ROCPRIM_400000_NS6detail17trampoline_kernelINS0_14default_configENS1_25partition_config_selectorILNS1_17partition_subalgoE8ElNS0_10empty_typeEbEEZZNS1_14partition_implILS5_8ELb0ES3_jPKlPS6_PKS6_NS0_5tupleIJPlS6_EEENSE_IJSB_SB_EEENS0_18inequality_wrapperIN6hipcub16HIPCUB_304000_NS8EqualityEEESF_JS6_EEE10hipError_tPvRmT3_T4_T5_T6_T7_T9_mT8_P12ihipStream_tbDpT10_ENKUlT_T0_E_clISt17integral_constantIbLb0EES16_EEDaS11_S12_EUlS11_E_NS1_11comp_targetILNS1_3genE5ELNS1_11target_archE942ELNS1_3gpuE9ELNS1_3repE0EEENS1_30default_config_static_selectorELNS0_4arch9wavefront6targetE0EEEvT1_.private_seg_size, 0
	.set _ZN7rocprim17ROCPRIM_400000_NS6detail17trampoline_kernelINS0_14default_configENS1_25partition_config_selectorILNS1_17partition_subalgoE8ElNS0_10empty_typeEbEEZZNS1_14partition_implILS5_8ELb0ES3_jPKlPS6_PKS6_NS0_5tupleIJPlS6_EEENSE_IJSB_SB_EEENS0_18inequality_wrapperIN6hipcub16HIPCUB_304000_NS8EqualityEEESF_JS6_EEE10hipError_tPvRmT3_T4_T5_T6_T7_T9_mT8_P12ihipStream_tbDpT10_ENKUlT_T0_E_clISt17integral_constantIbLb0EES16_EEDaS11_S12_EUlS11_E_NS1_11comp_targetILNS1_3genE5ELNS1_11target_archE942ELNS1_3gpuE9ELNS1_3repE0EEENS1_30default_config_static_selectorELNS0_4arch9wavefront6targetE0EEEvT1_.uses_vcc, 0
	.set _ZN7rocprim17ROCPRIM_400000_NS6detail17trampoline_kernelINS0_14default_configENS1_25partition_config_selectorILNS1_17partition_subalgoE8ElNS0_10empty_typeEbEEZZNS1_14partition_implILS5_8ELb0ES3_jPKlPS6_PKS6_NS0_5tupleIJPlS6_EEENSE_IJSB_SB_EEENS0_18inequality_wrapperIN6hipcub16HIPCUB_304000_NS8EqualityEEESF_JS6_EEE10hipError_tPvRmT3_T4_T5_T6_T7_T9_mT8_P12ihipStream_tbDpT10_ENKUlT_T0_E_clISt17integral_constantIbLb0EES16_EEDaS11_S12_EUlS11_E_NS1_11comp_targetILNS1_3genE5ELNS1_11target_archE942ELNS1_3gpuE9ELNS1_3repE0EEENS1_30default_config_static_selectorELNS0_4arch9wavefront6targetE0EEEvT1_.uses_flat_scratch, 0
	.set _ZN7rocprim17ROCPRIM_400000_NS6detail17trampoline_kernelINS0_14default_configENS1_25partition_config_selectorILNS1_17partition_subalgoE8ElNS0_10empty_typeEbEEZZNS1_14partition_implILS5_8ELb0ES3_jPKlPS6_PKS6_NS0_5tupleIJPlS6_EEENSE_IJSB_SB_EEENS0_18inequality_wrapperIN6hipcub16HIPCUB_304000_NS8EqualityEEESF_JS6_EEE10hipError_tPvRmT3_T4_T5_T6_T7_T9_mT8_P12ihipStream_tbDpT10_ENKUlT_T0_E_clISt17integral_constantIbLb0EES16_EEDaS11_S12_EUlS11_E_NS1_11comp_targetILNS1_3genE5ELNS1_11target_archE942ELNS1_3gpuE9ELNS1_3repE0EEENS1_30default_config_static_selectorELNS0_4arch9wavefront6targetE0EEEvT1_.has_dyn_sized_stack, 0
	.set _ZN7rocprim17ROCPRIM_400000_NS6detail17trampoline_kernelINS0_14default_configENS1_25partition_config_selectorILNS1_17partition_subalgoE8ElNS0_10empty_typeEbEEZZNS1_14partition_implILS5_8ELb0ES3_jPKlPS6_PKS6_NS0_5tupleIJPlS6_EEENSE_IJSB_SB_EEENS0_18inequality_wrapperIN6hipcub16HIPCUB_304000_NS8EqualityEEESF_JS6_EEE10hipError_tPvRmT3_T4_T5_T6_T7_T9_mT8_P12ihipStream_tbDpT10_ENKUlT_T0_E_clISt17integral_constantIbLb0EES16_EEDaS11_S12_EUlS11_E_NS1_11comp_targetILNS1_3genE5ELNS1_11target_archE942ELNS1_3gpuE9ELNS1_3repE0EEENS1_30default_config_static_selectorELNS0_4arch9wavefront6targetE0EEEvT1_.has_recursion, 0
	.set _ZN7rocprim17ROCPRIM_400000_NS6detail17trampoline_kernelINS0_14default_configENS1_25partition_config_selectorILNS1_17partition_subalgoE8ElNS0_10empty_typeEbEEZZNS1_14partition_implILS5_8ELb0ES3_jPKlPS6_PKS6_NS0_5tupleIJPlS6_EEENSE_IJSB_SB_EEENS0_18inequality_wrapperIN6hipcub16HIPCUB_304000_NS8EqualityEEESF_JS6_EEE10hipError_tPvRmT3_T4_T5_T6_T7_T9_mT8_P12ihipStream_tbDpT10_ENKUlT_T0_E_clISt17integral_constantIbLb0EES16_EEDaS11_S12_EUlS11_E_NS1_11comp_targetILNS1_3genE5ELNS1_11target_archE942ELNS1_3gpuE9ELNS1_3repE0EEENS1_30default_config_static_selectorELNS0_4arch9wavefront6targetE0EEEvT1_.has_indirect_call, 0
	.section	.AMDGPU.csdata,"",@progbits
; Kernel info:
; codeLenInByte = 0
; TotalNumSgprs: 0
; NumVgprs: 0
; ScratchSize: 0
; MemoryBound: 0
; FloatMode: 240
; IeeeMode: 1
; LDSByteSize: 0 bytes/workgroup (compile time only)
; SGPRBlocks: 0
; VGPRBlocks: 0
; NumSGPRsForWavesPerEU: 1
; NumVGPRsForWavesPerEU: 1
; Occupancy: 16
; WaveLimiterHint : 0
; COMPUTE_PGM_RSRC2:SCRATCH_EN: 0
; COMPUTE_PGM_RSRC2:USER_SGPR: 6
; COMPUTE_PGM_RSRC2:TRAP_HANDLER: 0
; COMPUTE_PGM_RSRC2:TGID_X_EN: 1
; COMPUTE_PGM_RSRC2:TGID_Y_EN: 0
; COMPUTE_PGM_RSRC2:TGID_Z_EN: 0
; COMPUTE_PGM_RSRC2:TIDIG_COMP_CNT: 0
	.section	.text._ZN7rocprim17ROCPRIM_400000_NS6detail17trampoline_kernelINS0_14default_configENS1_25partition_config_selectorILNS1_17partition_subalgoE8ElNS0_10empty_typeEbEEZZNS1_14partition_implILS5_8ELb0ES3_jPKlPS6_PKS6_NS0_5tupleIJPlS6_EEENSE_IJSB_SB_EEENS0_18inequality_wrapperIN6hipcub16HIPCUB_304000_NS8EqualityEEESF_JS6_EEE10hipError_tPvRmT3_T4_T5_T6_T7_T9_mT8_P12ihipStream_tbDpT10_ENKUlT_T0_E_clISt17integral_constantIbLb0EES16_EEDaS11_S12_EUlS11_E_NS1_11comp_targetILNS1_3genE4ELNS1_11target_archE910ELNS1_3gpuE8ELNS1_3repE0EEENS1_30default_config_static_selectorELNS0_4arch9wavefront6targetE0EEEvT1_,"axG",@progbits,_ZN7rocprim17ROCPRIM_400000_NS6detail17trampoline_kernelINS0_14default_configENS1_25partition_config_selectorILNS1_17partition_subalgoE8ElNS0_10empty_typeEbEEZZNS1_14partition_implILS5_8ELb0ES3_jPKlPS6_PKS6_NS0_5tupleIJPlS6_EEENSE_IJSB_SB_EEENS0_18inequality_wrapperIN6hipcub16HIPCUB_304000_NS8EqualityEEESF_JS6_EEE10hipError_tPvRmT3_T4_T5_T6_T7_T9_mT8_P12ihipStream_tbDpT10_ENKUlT_T0_E_clISt17integral_constantIbLb0EES16_EEDaS11_S12_EUlS11_E_NS1_11comp_targetILNS1_3genE4ELNS1_11target_archE910ELNS1_3gpuE8ELNS1_3repE0EEENS1_30default_config_static_selectorELNS0_4arch9wavefront6targetE0EEEvT1_,comdat
	.protected	_ZN7rocprim17ROCPRIM_400000_NS6detail17trampoline_kernelINS0_14default_configENS1_25partition_config_selectorILNS1_17partition_subalgoE8ElNS0_10empty_typeEbEEZZNS1_14partition_implILS5_8ELb0ES3_jPKlPS6_PKS6_NS0_5tupleIJPlS6_EEENSE_IJSB_SB_EEENS0_18inequality_wrapperIN6hipcub16HIPCUB_304000_NS8EqualityEEESF_JS6_EEE10hipError_tPvRmT3_T4_T5_T6_T7_T9_mT8_P12ihipStream_tbDpT10_ENKUlT_T0_E_clISt17integral_constantIbLb0EES16_EEDaS11_S12_EUlS11_E_NS1_11comp_targetILNS1_3genE4ELNS1_11target_archE910ELNS1_3gpuE8ELNS1_3repE0EEENS1_30default_config_static_selectorELNS0_4arch9wavefront6targetE0EEEvT1_ ; -- Begin function _ZN7rocprim17ROCPRIM_400000_NS6detail17trampoline_kernelINS0_14default_configENS1_25partition_config_selectorILNS1_17partition_subalgoE8ElNS0_10empty_typeEbEEZZNS1_14partition_implILS5_8ELb0ES3_jPKlPS6_PKS6_NS0_5tupleIJPlS6_EEENSE_IJSB_SB_EEENS0_18inequality_wrapperIN6hipcub16HIPCUB_304000_NS8EqualityEEESF_JS6_EEE10hipError_tPvRmT3_T4_T5_T6_T7_T9_mT8_P12ihipStream_tbDpT10_ENKUlT_T0_E_clISt17integral_constantIbLb0EES16_EEDaS11_S12_EUlS11_E_NS1_11comp_targetILNS1_3genE4ELNS1_11target_archE910ELNS1_3gpuE8ELNS1_3repE0EEENS1_30default_config_static_selectorELNS0_4arch9wavefront6targetE0EEEvT1_
	.globl	_ZN7rocprim17ROCPRIM_400000_NS6detail17trampoline_kernelINS0_14default_configENS1_25partition_config_selectorILNS1_17partition_subalgoE8ElNS0_10empty_typeEbEEZZNS1_14partition_implILS5_8ELb0ES3_jPKlPS6_PKS6_NS0_5tupleIJPlS6_EEENSE_IJSB_SB_EEENS0_18inequality_wrapperIN6hipcub16HIPCUB_304000_NS8EqualityEEESF_JS6_EEE10hipError_tPvRmT3_T4_T5_T6_T7_T9_mT8_P12ihipStream_tbDpT10_ENKUlT_T0_E_clISt17integral_constantIbLb0EES16_EEDaS11_S12_EUlS11_E_NS1_11comp_targetILNS1_3genE4ELNS1_11target_archE910ELNS1_3gpuE8ELNS1_3repE0EEENS1_30default_config_static_selectorELNS0_4arch9wavefront6targetE0EEEvT1_
	.p2align	8
	.type	_ZN7rocprim17ROCPRIM_400000_NS6detail17trampoline_kernelINS0_14default_configENS1_25partition_config_selectorILNS1_17partition_subalgoE8ElNS0_10empty_typeEbEEZZNS1_14partition_implILS5_8ELb0ES3_jPKlPS6_PKS6_NS0_5tupleIJPlS6_EEENSE_IJSB_SB_EEENS0_18inequality_wrapperIN6hipcub16HIPCUB_304000_NS8EqualityEEESF_JS6_EEE10hipError_tPvRmT3_T4_T5_T6_T7_T9_mT8_P12ihipStream_tbDpT10_ENKUlT_T0_E_clISt17integral_constantIbLb0EES16_EEDaS11_S12_EUlS11_E_NS1_11comp_targetILNS1_3genE4ELNS1_11target_archE910ELNS1_3gpuE8ELNS1_3repE0EEENS1_30default_config_static_selectorELNS0_4arch9wavefront6targetE0EEEvT1_,@function
_ZN7rocprim17ROCPRIM_400000_NS6detail17trampoline_kernelINS0_14default_configENS1_25partition_config_selectorILNS1_17partition_subalgoE8ElNS0_10empty_typeEbEEZZNS1_14partition_implILS5_8ELb0ES3_jPKlPS6_PKS6_NS0_5tupleIJPlS6_EEENSE_IJSB_SB_EEENS0_18inequality_wrapperIN6hipcub16HIPCUB_304000_NS8EqualityEEESF_JS6_EEE10hipError_tPvRmT3_T4_T5_T6_T7_T9_mT8_P12ihipStream_tbDpT10_ENKUlT_T0_E_clISt17integral_constantIbLb0EES16_EEDaS11_S12_EUlS11_E_NS1_11comp_targetILNS1_3genE4ELNS1_11target_archE910ELNS1_3gpuE8ELNS1_3repE0EEENS1_30default_config_static_selectorELNS0_4arch9wavefront6targetE0EEEvT1_: ; @_ZN7rocprim17ROCPRIM_400000_NS6detail17trampoline_kernelINS0_14default_configENS1_25partition_config_selectorILNS1_17partition_subalgoE8ElNS0_10empty_typeEbEEZZNS1_14partition_implILS5_8ELb0ES3_jPKlPS6_PKS6_NS0_5tupleIJPlS6_EEENSE_IJSB_SB_EEENS0_18inequality_wrapperIN6hipcub16HIPCUB_304000_NS8EqualityEEESF_JS6_EEE10hipError_tPvRmT3_T4_T5_T6_T7_T9_mT8_P12ihipStream_tbDpT10_ENKUlT_T0_E_clISt17integral_constantIbLb0EES16_EEDaS11_S12_EUlS11_E_NS1_11comp_targetILNS1_3genE4ELNS1_11target_archE910ELNS1_3gpuE8ELNS1_3repE0EEENS1_30default_config_static_selectorELNS0_4arch9wavefront6targetE0EEEvT1_
; %bb.0:
	.section	.rodata,"a",@progbits
	.p2align	6, 0x0
	.amdhsa_kernel _ZN7rocprim17ROCPRIM_400000_NS6detail17trampoline_kernelINS0_14default_configENS1_25partition_config_selectorILNS1_17partition_subalgoE8ElNS0_10empty_typeEbEEZZNS1_14partition_implILS5_8ELb0ES3_jPKlPS6_PKS6_NS0_5tupleIJPlS6_EEENSE_IJSB_SB_EEENS0_18inequality_wrapperIN6hipcub16HIPCUB_304000_NS8EqualityEEESF_JS6_EEE10hipError_tPvRmT3_T4_T5_T6_T7_T9_mT8_P12ihipStream_tbDpT10_ENKUlT_T0_E_clISt17integral_constantIbLb0EES16_EEDaS11_S12_EUlS11_E_NS1_11comp_targetILNS1_3genE4ELNS1_11target_archE910ELNS1_3gpuE8ELNS1_3repE0EEENS1_30default_config_static_selectorELNS0_4arch9wavefront6targetE0EEEvT1_
		.amdhsa_group_segment_fixed_size 0
		.amdhsa_private_segment_fixed_size 0
		.amdhsa_kernarg_size 112
		.amdhsa_user_sgpr_count 6
		.amdhsa_user_sgpr_private_segment_buffer 1
		.amdhsa_user_sgpr_dispatch_ptr 0
		.amdhsa_user_sgpr_queue_ptr 0
		.amdhsa_user_sgpr_kernarg_segment_ptr 1
		.amdhsa_user_sgpr_dispatch_id 0
		.amdhsa_user_sgpr_flat_scratch_init 0
		.amdhsa_user_sgpr_private_segment_size 0
		.amdhsa_wavefront_size32 1
		.amdhsa_uses_dynamic_stack 0
		.amdhsa_system_sgpr_private_segment_wavefront_offset 0
		.amdhsa_system_sgpr_workgroup_id_x 1
		.amdhsa_system_sgpr_workgroup_id_y 0
		.amdhsa_system_sgpr_workgroup_id_z 0
		.amdhsa_system_sgpr_workgroup_info 0
		.amdhsa_system_vgpr_workitem_id 0
		.amdhsa_next_free_vgpr 1
		.amdhsa_next_free_sgpr 1
		.amdhsa_reserve_vcc 0
		.amdhsa_reserve_flat_scratch 0
		.amdhsa_float_round_mode_32 0
		.amdhsa_float_round_mode_16_64 0
		.amdhsa_float_denorm_mode_32 3
		.amdhsa_float_denorm_mode_16_64 3
		.amdhsa_dx10_clamp 1
		.amdhsa_ieee_mode 1
		.amdhsa_fp16_overflow 0
		.amdhsa_workgroup_processor_mode 1
		.amdhsa_memory_ordered 1
		.amdhsa_forward_progress 1
		.amdhsa_shared_vgpr_count 0
		.amdhsa_exception_fp_ieee_invalid_op 0
		.amdhsa_exception_fp_denorm_src 0
		.amdhsa_exception_fp_ieee_div_zero 0
		.amdhsa_exception_fp_ieee_overflow 0
		.amdhsa_exception_fp_ieee_underflow 0
		.amdhsa_exception_fp_ieee_inexact 0
		.amdhsa_exception_int_div_zero 0
	.end_amdhsa_kernel
	.section	.text._ZN7rocprim17ROCPRIM_400000_NS6detail17trampoline_kernelINS0_14default_configENS1_25partition_config_selectorILNS1_17partition_subalgoE8ElNS0_10empty_typeEbEEZZNS1_14partition_implILS5_8ELb0ES3_jPKlPS6_PKS6_NS0_5tupleIJPlS6_EEENSE_IJSB_SB_EEENS0_18inequality_wrapperIN6hipcub16HIPCUB_304000_NS8EqualityEEESF_JS6_EEE10hipError_tPvRmT3_T4_T5_T6_T7_T9_mT8_P12ihipStream_tbDpT10_ENKUlT_T0_E_clISt17integral_constantIbLb0EES16_EEDaS11_S12_EUlS11_E_NS1_11comp_targetILNS1_3genE4ELNS1_11target_archE910ELNS1_3gpuE8ELNS1_3repE0EEENS1_30default_config_static_selectorELNS0_4arch9wavefront6targetE0EEEvT1_,"axG",@progbits,_ZN7rocprim17ROCPRIM_400000_NS6detail17trampoline_kernelINS0_14default_configENS1_25partition_config_selectorILNS1_17partition_subalgoE8ElNS0_10empty_typeEbEEZZNS1_14partition_implILS5_8ELb0ES3_jPKlPS6_PKS6_NS0_5tupleIJPlS6_EEENSE_IJSB_SB_EEENS0_18inequality_wrapperIN6hipcub16HIPCUB_304000_NS8EqualityEEESF_JS6_EEE10hipError_tPvRmT3_T4_T5_T6_T7_T9_mT8_P12ihipStream_tbDpT10_ENKUlT_T0_E_clISt17integral_constantIbLb0EES16_EEDaS11_S12_EUlS11_E_NS1_11comp_targetILNS1_3genE4ELNS1_11target_archE910ELNS1_3gpuE8ELNS1_3repE0EEENS1_30default_config_static_selectorELNS0_4arch9wavefront6targetE0EEEvT1_,comdat
.Lfunc_end228:
	.size	_ZN7rocprim17ROCPRIM_400000_NS6detail17trampoline_kernelINS0_14default_configENS1_25partition_config_selectorILNS1_17partition_subalgoE8ElNS0_10empty_typeEbEEZZNS1_14partition_implILS5_8ELb0ES3_jPKlPS6_PKS6_NS0_5tupleIJPlS6_EEENSE_IJSB_SB_EEENS0_18inequality_wrapperIN6hipcub16HIPCUB_304000_NS8EqualityEEESF_JS6_EEE10hipError_tPvRmT3_T4_T5_T6_T7_T9_mT8_P12ihipStream_tbDpT10_ENKUlT_T0_E_clISt17integral_constantIbLb0EES16_EEDaS11_S12_EUlS11_E_NS1_11comp_targetILNS1_3genE4ELNS1_11target_archE910ELNS1_3gpuE8ELNS1_3repE0EEENS1_30default_config_static_selectorELNS0_4arch9wavefront6targetE0EEEvT1_, .Lfunc_end228-_ZN7rocprim17ROCPRIM_400000_NS6detail17trampoline_kernelINS0_14default_configENS1_25partition_config_selectorILNS1_17partition_subalgoE8ElNS0_10empty_typeEbEEZZNS1_14partition_implILS5_8ELb0ES3_jPKlPS6_PKS6_NS0_5tupleIJPlS6_EEENSE_IJSB_SB_EEENS0_18inequality_wrapperIN6hipcub16HIPCUB_304000_NS8EqualityEEESF_JS6_EEE10hipError_tPvRmT3_T4_T5_T6_T7_T9_mT8_P12ihipStream_tbDpT10_ENKUlT_T0_E_clISt17integral_constantIbLb0EES16_EEDaS11_S12_EUlS11_E_NS1_11comp_targetILNS1_3genE4ELNS1_11target_archE910ELNS1_3gpuE8ELNS1_3repE0EEENS1_30default_config_static_selectorELNS0_4arch9wavefront6targetE0EEEvT1_
                                        ; -- End function
	.set _ZN7rocprim17ROCPRIM_400000_NS6detail17trampoline_kernelINS0_14default_configENS1_25partition_config_selectorILNS1_17partition_subalgoE8ElNS0_10empty_typeEbEEZZNS1_14partition_implILS5_8ELb0ES3_jPKlPS6_PKS6_NS0_5tupleIJPlS6_EEENSE_IJSB_SB_EEENS0_18inequality_wrapperIN6hipcub16HIPCUB_304000_NS8EqualityEEESF_JS6_EEE10hipError_tPvRmT3_T4_T5_T6_T7_T9_mT8_P12ihipStream_tbDpT10_ENKUlT_T0_E_clISt17integral_constantIbLb0EES16_EEDaS11_S12_EUlS11_E_NS1_11comp_targetILNS1_3genE4ELNS1_11target_archE910ELNS1_3gpuE8ELNS1_3repE0EEENS1_30default_config_static_selectorELNS0_4arch9wavefront6targetE0EEEvT1_.num_vgpr, 0
	.set _ZN7rocprim17ROCPRIM_400000_NS6detail17trampoline_kernelINS0_14default_configENS1_25partition_config_selectorILNS1_17partition_subalgoE8ElNS0_10empty_typeEbEEZZNS1_14partition_implILS5_8ELb0ES3_jPKlPS6_PKS6_NS0_5tupleIJPlS6_EEENSE_IJSB_SB_EEENS0_18inequality_wrapperIN6hipcub16HIPCUB_304000_NS8EqualityEEESF_JS6_EEE10hipError_tPvRmT3_T4_T5_T6_T7_T9_mT8_P12ihipStream_tbDpT10_ENKUlT_T0_E_clISt17integral_constantIbLb0EES16_EEDaS11_S12_EUlS11_E_NS1_11comp_targetILNS1_3genE4ELNS1_11target_archE910ELNS1_3gpuE8ELNS1_3repE0EEENS1_30default_config_static_selectorELNS0_4arch9wavefront6targetE0EEEvT1_.num_agpr, 0
	.set _ZN7rocprim17ROCPRIM_400000_NS6detail17trampoline_kernelINS0_14default_configENS1_25partition_config_selectorILNS1_17partition_subalgoE8ElNS0_10empty_typeEbEEZZNS1_14partition_implILS5_8ELb0ES3_jPKlPS6_PKS6_NS0_5tupleIJPlS6_EEENSE_IJSB_SB_EEENS0_18inequality_wrapperIN6hipcub16HIPCUB_304000_NS8EqualityEEESF_JS6_EEE10hipError_tPvRmT3_T4_T5_T6_T7_T9_mT8_P12ihipStream_tbDpT10_ENKUlT_T0_E_clISt17integral_constantIbLb0EES16_EEDaS11_S12_EUlS11_E_NS1_11comp_targetILNS1_3genE4ELNS1_11target_archE910ELNS1_3gpuE8ELNS1_3repE0EEENS1_30default_config_static_selectorELNS0_4arch9wavefront6targetE0EEEvT1_.numbered_sgpr, 0
	.set _ZN7rocprim17ROCPRIM_400000_NS6detail17trampoline_kernelINS0_14default_configENS1_25partition_config_selectorILNS1_17partition_subalgoE8ElNS0_10empty_typeEbEEZZNS1_14partition_implILS5_8ELb0ES3_jPKlPS6_PKS6_NS0_5tupleIJPlS6_EEENSE_IJSB_SB_EEENS0_18inequality_wrapperIN6hipcub16HIPCUB_304000_NS8EqualityEEESF_JS6_EEE10hipError_tPvRmT3_T4_T5_T6_T7_T9_mT8_P12ihipStream_tbDpT10_ENKUlT_T0_E_clISt17integral_constantIbLb0EES16_EEDaS11_S12_EUlS11_E_NS1_11comp_targetILNS1_3genE4ELNS1_11target_archE910ELNS1_3gpuE8ELNS1_3repE0EEENS1_30default_config_static_selectorELNS0_4arch9wavefront6targetE0EEEvT1_.num_named_barrier, 0
	.set _ZN7rocprim17ROCPRIM_400000_NS6detail17trampoline_kernelINS0_14default_configENS1_25partition_config_selectorILNS1_17partition_subalgoE8ElNS0_10empty_typeEbEEZZNS1_14partition_implILS5_8ELb0ES3_jPKlPS6_PKS6_NS0_5tupleIJPlS6_EEENSE_IJSB_SB_EEENS0_18inequality_wrapperIN6hipcub16HIPCUB_304000_NS8EqualityEEESF_JS6_EEE10hipError_tPvRmT3_T4_T5_T6_T7_T9_mT8_P12ihipStream_tbDpT10_ENKUlT_T0_E_clISt17integral_constantIbLb0EES16_EEDaS11_S12_EUlS11_E_NS1_11comp_targetILNS1_3genE4ELNS1_11target_archE910ELNS1_3gpuE8ELNS1_3repE0EEENS1_30default_config_static_selectorELNS0_4arch9wavefront6targetE0EEEvT1_.private_seg_size, 0
	.set _ZN7rocprim17ROCPRIM_400000_NS6detail17trampoline_kernelINS0_14default_configENS1_25partition_config_selectorILNS1_17partition_subalgoE8ElNS0_10empty_typeEbEEZZNS1_14partition_implILS5_8ELb0ES3_jPKlPS6_PKS6_NS0_5tupleIJPlS6_EEENSE_IJSB_SB_EEENS0_18inequality_wrapperIN6hipcub16HIPCUB_304000_NS8EqualityEEESF_JS6_EEE10hipError_tPvRmT3_T4_T5_T6_T7_T9_mT8_P12ihipStream_tbDpT10_ENKUlT_T0_E_clISt17integral_constantIbLb0EES16_EEDaS11_S12_EUlS11_E_NS1_11comp_targetILNS1_3genE4ELNS1_11target_archE910ELNS1_3gpuE8ELNS1_3repE0EEENS1_30default_config_static_selectorELNS0_4arch9wavefront6targetE0EEEvT1_.uses_vcc, 0
	.set _ZN7rocprim17ROCPRIM_400000_NS6detail17trampoline_kernelINS0_14default_configENS1_25partition_config_selectorILNS1_17partition_subalgoE8ElNS0_10empty_typeEbEEZZNS1_14partition_implILS5_8ELb0ES3_jPKlPS6_PKS6_NS0_5tupleIJPlS6_EEENSE_IJSB_SB_EEENS0_18inequality_wrapperIN6hipcub16HIPCUB_304000_NS8EqualityEEESF_JS6_EEE10hipError_tPvRmT3_T4_T5_T6_T7_T9_mT8_P12ihipStream_tbDpT10_ENKUlT_T0_E_clISt17integral_constantIbLb0EES16_EEDaS11_S12_EUlS11_E_NS1_11comp_targetILNS1_3genE4ELNS1_11target_archE910ELNS1_3gpuE8ELNS1_3repE0EEENS1_30default_config_static_selectorELNS0_4arch9wavefront6targetE0EEEvT1_.uses_flat_scratch, 0
	.set _ZN7rocprim17ROCPRIM_400000_NS6detail17trampoline_kernelINS0_14default_configENS1_25partition_config_selectorILNS1_17partition_subalgoE8ElNS0_10empty_typeEbEEZZNS1_14partition_implILS5_8ELb0ES3_jPKlPS6_PKS6_NS0_5tupleIJPlS6_EEENSE_IJSB_SB_EEENS0_18inequality_wrapperIN6hipcub16HIPCUB_304000_NS8EqualityEEESF_JS6_EEE10hipError_tPvRmT3_T4_T5_T6_T7_T9_mT8_P12ihipStream_tbDpT10_ENKUlT_T0_E_clISt17integral_constantIbLb0EES16_EEDaS11_S12_EUlS11_E_NS1_11comp_targetILNS1_3genE4ELNS1_11target_archE910ELNS1_3gpuE8ELNS1_3repE0EEENS1_30default_config_static_selectorELNS0_4arch9wavefront6targetE0EEEvT1_.has_dyn_sized_stack, 0
	.set _ZN7rocprim17ROCPRIM_400000_NS6detail17trampoline_kernelINS0_14default_configENS1_25partition_config_selectorILNS1_17partition_subalgoE8ElNS0_10empty_typeEbEEZZNS1_14partition_implILS5_8ELb0ES3_jPKlPS6_PKS6_NS0_5tupleIJPlS6_EEENSE_IJSB_SB_EEENS0_18inequality_wrapperIN6hipcub16HIPCUB_304000_NS8EqualityEEESF_JS6_EEE10hipError_tPvRmT3_T4_T5_T6_T7_T9_mT8_P12ihipStream_tbDpT10_ENKUlT_T0_E_clISt17integral_constantIbLb0EES16_EEDaS11_S12_EUlS11_E_NS1_11comp_targetILNS1_3genE4ELNS1_11target_archE910ELNS1_3gpuE8ELNS1_3repE0EEENS1_30default_config_static_selectorELNS0_4arch9wavefront6targetE0EEEvT1_.has_recursion, 0
	.set _ZN7rocprim17ROCPRIM_400000_NS6detail17trampoline_kernelINS0_14default_configENS1_25partition_config_selectorILNS1_17partition_subalgoE8ElNS0_10empty_typeEbEEZZNS1_14partition_implILS5_8ELb0ES3_jPKlPS6_PKS6_NS0_5tupleIJPlS6_EEENSE_IJSB_SB_EEENS0_18inequality_wrapperIN6hipcub16HIPCUB_304000_NS8EqualityEEESF_JS6_EEE10hipError_tPvRmT3_T4_T5_T6_T7_T9_mT8_P12ihipStream_tbDpT10_ENKUlT_T0_E_clISt17integral_constantIbLb0EES16_EEDaS11_S12_EUlS11_E_NS1_11comp_targetILNS1_3genE4ELNS1_11target_archE910ELNS1_3gpuE8ELNS1_3repE0EEENS1_30default_config_static_selectorELNS0_4arch9wavefront6targetE0EEEvT1_.has_indirect_call, 0
	.section	.AMDGPU.csdata,"",@progbits
; Kernel info:
; codeLenInByte = 0
; TotalNumSgprs: 0
; NumVgprs: 0
; ScratchSize: 0
; MemoryBound: 0
; FloatMode: 240
; IeeeMode: 1
; LDSByteSize: 0 bytes/workgroup (compile time only)
; SGPRBlocks: 0
; VGPRBlocks: 0
; NumSGPRsForWavesPerEU: 1
; NumVGPRsForWavesPerEU: 1
; Occupancy: 16
; WaveLimiterHint : 0
; COMPUTE_PGM_RSRC2:SCRATCH_EN: 0
; COMPUTE_PGM_RSRC2:USER_SGPR: 6
; COMPUTE_PGM_RSRC2:TRAP_HANDLER: 0
; COMPUTE_PGM_RSRC2:TGID_X_EN: 1
; COMPUTE_PGM_RSRC2:TGID_Y_EN: 0
; COMPUTE_PGM_RSRC2:TGID_Z_EN: 0
; COMPUTE_PGM_RSRC2:TIDIG_COMP_CNT: 0
	.section	.text._ZN7rocprim17ROCPRIM_400000_NS6detail17trampoline_kernelINS0_14default_configENS1_25partition_config_selectorILNS1_17partition_subalgoE8ElNS0_10empty_typeEbEEZZNS1_14partition_implILS5_8ELb0ES3_jPKlPS6_PKS6_NS0_5tupleIJPlS6_EEENSE_IJSB_SB_EEENS0_18inequality_wrapperIN6hipcub16HIPCUB_304000_NS8EqualityEEESF_JS6_EEE10hipError_tPvRmT3_T4_T5_T6_T7_T9_mT8_P12ihipStream_tbDpT10_ENKUlT_T0_E_clISt17integral_constantIbLb0EES16_EEDaS11_S12_EUlS11_E_NS1_11comp_targetILNS1_3genE3ELNS1_11target_archE908ELNS1_3gpuE7ELNS1_3repE0EEENS1_30default_config_static_selectorELNS0_4arch9wavefront6targetE0EEEvT1_,"axG",@progbits,_ZN7rocprim17ROCPRIM_400000_NS6detail17trampoline_kernelINS0_14default_configENS1_25partition_config_selectorILNS1_17partition_subalgoE8ElNS0_10empty_typeEbEEZZNS1_14partition_implILS5_8ELb0ES3_jPKlPS6_PKS6_NS0_5tupleIJPlS6_EEENSE_IJSB_SB_EEENS0_18inequality_wrapperIN6hipcub16HIPCUB_304000_NS8EqualityEEESF_JS6_EEE10hipError_tPvRmT3_T4_T5_T6_T7_T9_mT8_P12ihipStream_tbDpT10_ENKUlT_T0_E_clISt17integral_constantIbLb0EES16_EEDaS11_S12_EUlS11_E_NS1_11comp_targetILNS1_3genE3ELNS1_11target_archE908ELNS1_3gpuE7ELNS1_3repE0EEENS1_30default_config_static_selectorELNS0_4arch9wavefront6targetE0EEEvT1_,comdat
	.protected	_ZN7rocprim17ROCPRIM_400000_NS6detail17trampoline_kernelINS0_14default_configENS1_25partition_config_selectorILNS1_17partition_subalgoE8ElNS0_10empty_typeEbEEZZNS1_14partition_implILS5_8ELb0ES3_jPKlPS6_PKS6_NS0_5tupleIJPlS6_EEENSE_IJSB_SB_EEENS0_18inequality_wrapperIN6hipcub16HIPCUB_304000_NS8EqualityEEESF_JS6_EEE10hipError_tPvRmT3_T4_T5_T6_T7_T9_mT8_P12ihipStream_tbDpT10_ENKUlT_T0_E_clISt17integral_constantIbLb0EES16_EEDaS11_S12_EUlS11_E_NS1_11comp_targetILNS1_3genE3ELNS1_11target_archE908ELNS1_3gpuE7ELNS1_3repE0EEENS1_30default_config_static_selectorELNS0_4arch9wavefront6targetE0EEEvT1_ ; -- Begin function _ZN7rocprim17ROCPRIM_400000_NS6detail17trampoline_kernelINS0_14default_configENS1_25partition_config_selectorILNS1_17partition_subalgoE8ElNS0_10empty_typeEbEEZZNS1_14partition_implILS5_8ELb0ES3_jPKlPS6_PKS6_NS0_5tupleIJPlS6_EEENSE_IJSB_SB_EEENS0_18inequality_wrapperIN6hipcub16HIPCUB_304000_NS8EqualityEEESF_JS6_EEE10hipError_tPvRmT3_T4_T5_T6_T7_T9_mT8_P12ihipStream_tbDpT10_ENKUlT_T0_E_clISt17integral_constantIbLb0EES16_EEDaS11_S12_EUlS11_E_NS1_11comp_targetILNS1_3genE3ELNS1_11target_archE908ELNS1_3gpuE7ELNS1_3repE0EEENS1_30default_config_static_selectorELNS0_4arch9wavefront6targetE0EEEvT1_
	.globl	_ZN7rocprim17ROCPRIM_400000_NS6detail17trampoline_kernelINS0_14default_configENS1_25partition_config_selectorILNS1_17partition_subalgoE8ElNS0_10empty_typeEbEEZZNS1_14partition_implILS5_8ELb0ES3_jPKlPS6_PKS6_NS0_5tupleIJPlS6_EEENSE_IJSB_SB_EEENS0_18inequality_wrapperIN6hipcub16HIPCUB_304000_NS8EqualityEEESF_JS6_EEE10hipError_tPvRmT3_T4_T5_T6_T7_T9_mT8_P12ihipStream_tbDpT10_ENKUlT_T0_E_clISt17integral_constantIbLb0EES16_EEDaS11_S12_EUlS11_E_NS1_11comp_targetILNS1_3genE3ELNS1_11target_archE908ELNS1_3gpuE7ELNS1_3repE0EEENS1_30default_config_static_selectorELNS0_4arch9wavefront6targetE0EEEvT1_
	.p2align	8
	.type	_ZN7rocprim17ROCPRIM_400000_NS6detail17trampoline_kernelINS0_14default_configENS1_25partition_config_selectorILNS1_17partition_subalgoE8ElNS0_10empty_typeEbEEZZNS1_14partition_implILS5_8ELb0ES3_jPKlPS6_PKS6_NS0_5tupleIJPlS6_EEENSE_IJSB_SB_EEENS0_18inequality_wrapperIN6hipcub16HIPCUB_304000_NS8EqualityEEESF_JS6_EEE10hipError_tPvRmT3_T4_T5_T6_T7_T9_mT8_P12ihipStream_tbDpT10_ENKUlT_T0_E_clISt17integral_constantIbLb0EES16_EEDaS11_S12_EUlS11_E_NS1_11comp_targetILNS1_3genE3ELNS1_11target_archE908ELNS1_3gpuE7ELNS1_3repE0EEENS1_30default_config_static_selectorELNS0_4arch9wavefront6targetE0EEEvT1_,@function
_ZN7rocprim17ROCPRIM_400000_NS6detail17trampoline_kernelINS0_14default_configENS1_25partition_config_selectorILNS1_17partition_subalgoE8ElNS0_10empty_typeEbEEZZNS1_14partition_implILS5_8ELb0ES3_jPKlPS6_PKS6_NS0_5tupleIJPlS6_EEENSE_IJSB_SB_EEENS0_18inequality_wrapperIN6hipcub16HIPCUB_304000_NS8EqualityEEESF_JS6_EEE10hipError_tPvRmT3_T4_T5_T6_T7_T9_mT8_P12ihipStream_tbDpT10_ENKUlT_T0_E_clISt17integral_constantIbLb0EES16_EEDaS11_S12_EUlS11_E_NS1_11comp_targetILNS1_3genE3ELNS1_11target_archE908ELNS1_3gpuE7ELNS1_3repE0EEENS1_30default_config_static_selectorELNS0_4arch9wavefront6targetE0EEEvT1_: ; @_ZN7rocprim17ROCPRIM_400000_NS6detail17trampoline_kernelINS0_14default_configENS1_25partition_config_selectorILNS1_17partition_subalgoE8ElNS0_10empty_typeEbEEZZNS1_14partition_implILS5_8ELb0ES3_jPKlPS6_PKS6_NS0_5tupleIJPlS6_EEENSE_IJSB_SB_EEENS0_18inequality_wrapperIN6hipcub16HIPCUB_304000_NS8EqualityEEESF_JS6_EEE10hipError_tPvRmT3_T4_T5_T6_T7_T9_mT8_P12ihipStream_tbDpT10_ENKUlT_T0_E_clISt17integral_constantIbLb0EES16_EEDaS11_S12_EUlS11_E_NS1_11comp_targetILNS1_3genE3ELNS1_11target_archE908ELNS1_3gpuE7ELNS1_3repE0EEENS1_30default_config_static_selectorELNS0_4arch9wavefront6targetE0EEEvT1_
; %bb.0:
	.section	.rodata,"a",@progbits
	.p2align	6, 0x0
	.amdhsa_kernel _ZN7rocprim17ROCPRIM_400000_NS6detail17trampoline_kernelINS0_14default_configENS1_25partition_config_selectorILNS1_17partition_subalgoE8ElNS0_10empty_typeEbEEZZNS1_14partition_implILS5_8ELb0ES3_jPKlPS6_PKS6_NS0_5tupleIJPlS6_EEENSE_IJSB_SB_EEENS0_18inequality_wrapperIN6hipcub16HIPCUB_304000_NS8EqualityEEESF_JS6_EEE10hipError_tPvRmT3_T4_T5_T6_T7_T9_mT8_P12ihipStream_tbDpT10_ENKUlT_T0_E_clISt17integral_constantIbLb0EES16_EEDaS11_S12_EUlS11_E_NS1_11comp_targetILNS1_3genE3ELNS1_11target_archE908ELNS1_3gpuE7ELNS1_3repE0EEENS1_30default_config_static_selectorELNS0_4arch9wavefront6targetE0EEEvT1_
		.amdhsa_group_segment_fixed_size 0
		.amdhsa_private_segment_fixed_size 0
		.amdhsa_kernarg_size 112
		.amdhsa_user_sgpr_count 6
		.amdhsa_user_sgpr_private_segment_buffer 1
		.amdhsa_user_sgpr_dispatch_ptr 0
		.amdhsa_user_sgpr_queue_ptr 0
		.amdhsa_user_sgpr_kernarg_segment_ptr 1
		.amdhsa_user_sgpr_dispatch_id 0
		.amdhsa_user_sgpr_flat_scratch_init 0
		.amdhsa_user_sgpr_private_segment_size 0
		.amdhsa_wavefront_size32 1
		.amdhsa_uses_dynamic_stack 0
		.amdhsa_system_sgpr_private_segment_wavefront_offset 0
		.amdhsa_system_sgpr_workgroup_id_x 1
		.amdhsa_system_sgpr_workgroup_id_y 0
		.amdhsa_system_sgpr_workgroup_id_z 0
		.amdhsa_system_sgpr_workgroup_info 0
		.amdhsa_system_vgpr_workitem_id 0
		.amdhsa_next_free_vgpr 1
		.amdhsa_next_free_sgpr 1
		.amdhsa_reserve_vcc 0
		.amdhsa_reserve_flat_scratch 0
		.amdhsa_float_round_mode_32 0
		.amdhsa_float_round_mode_16_64 0
		.amdhsa_float_denorm_mode_32 3
		.amdhsa_float_denorm_mode_16_64 3
		.amdhsa_dx10_clamp 1
		.amdhsa_ieee_mode 1
		.amdhsa_fp16_overflow 0
		.amdhsa_workgroup_processor_mode 1
		.amdhsa_memory_ordered 1
		.amdhsa_forward_progress 1
		.amdhsa_shared_vgpr_count 0
		.amdhsa_exception_fp_ieee_invalid_op 0
		.amdhsa_exception_fp_denorm_src 0
		.amdhsa_exception_fp_ieee_div_zero 0
		.amdhsa_exception_fp_ieee_overflow 0
		.amdhsa_exception_fp_ieee_underflow 0
		.amdhsa_exception_fp_ieee_inexact 0
		.amdhsa_exception_int_div_zero 0
	.end_amdhsa_kernel
	.section	.text._ZN7rocprim17ROCPRIM_400000_NS6detail17trampoline_kernelINS0_14default_configENS1_25partition_config_selectorILNS1_17partition_subalgoE8ElNS0_10empty_typeEbEEZZNS1_14partition_implILS5_8ELb0ES3_jPKlPS6_PKS6_NS0_5tupleIJPlS6_EEENSE_IJSB_SB_EEENS0_18inequality_wrapperIN6hipcub16HIPCUB_304000_NS8EqualityEEESF_JS6_EEE10hipError_tPvRmT3_T4_T5_T6_T7_T9_mT8_P12ihipStream_tbDpT10_ENKUlT_T0_E_clISt17integral_constantIbLb0EES16_EEDaS11_S12_EUlS11_E_NS1_11comp_targetILNS1_3genE3ELNS1_11target_archE908ELNS1_3gpuE7ELNS1_3repE0EEENS1_30default_config_static_selectorELNS0_4arch9wavefront6targetE0EEEvT1_,"axG",@progbits,_ZN7rocprim17ROCPRIM_400000_NS6detail17trampoline_kernelINS0_14default_configENS1_25partition_config_selectorILNS1_17partition_subalgoE8ElNS0_10empty_typeEbEEZZNS1_14partition_implILS5_8ELb0ES3_jPKlPS6_PKS6_NS0_5tupleIJPlS6_EEENSE_IJSB_SB_EEENS0_18inequality_wrapperIN6hipcub16HIPCUB_304000_NS8EqualityEEESF_JS6_EEE10hipError_tPvRmT3_T4_T5_T6_T7_T9_mT8_P12ihipStream_tbDpT10_ENKUlT_T0_E_clISt17integral_constantIbLb0EES16_EEDaS11_S12_EUlS11_E_NS1_11comp_targetILNS1_3genE3ELNS1_11target_archE908ELNS1_3gpuE7ELNS1_3repE0EEENS1_30default_config_static_selectorELNS0_4arch9wavefront6targetE0EEEvT1_,comdat
.Lfunc_end229:
	.size	_ZN7rocprim17ROCPRIM_400000_NS6detail17trampoline_kernelINS0_14default_configENS1_25partition_config_selectorILNS1_17partition_subalgoE8ElNS0_10empty_typeEbEEZZNS1_14partition_implILS5_8ELb0ES3_jPKlPS6_PKS6_NS0_5tupleIJPlS6_EEENSE_IJSB_SB_EEENS0_18inequality_wrapperIN6hipcub16HIPCUB_304000_NS8EqualityEEESF_JS6_EEE10hipError_tPvRmT3_T4_T5_T6_T7_T9_mT8_P12ihipStream_tbDpT10_ENKUlT_T0_E_clISt17integral_constantIbLb0EES16_EEDaS11_S12_EUlS11_E_NS1_11comp_targetILNS1_3genE3ELNS1_11target_archE908ELNS1_3gpuE7ELNS1_3repE0EEENS1_30default_config_static_selectorELNS0_4arch9wavefront6targetE0EEEvT1_, .Lfunc_end229-_ZN7rocprim17ROCPRIM_400000_NS6detail17trampoline_kernelINS0_14default_configENS1_25partition_config_selectorILNS1_17partition_subalgoE8ElNS0_10empty_typeEbEEZZNS1_14partition_implILS5_8ELb0ES3_jPKlPS6_PKS6_NS0_5tupleIJPlS6_EEENSE_IJSB_SB_EEENS0_18inequality_wrapperIN6hipcub16HIPCUB_304000_NS8EqualityEEESF_JS6_EEE10hipError_tPvRmT3_T4_T5_T6_T7_T9_mT8_P12ihipStream_tbDpT10_ENKUlT_T0_E_clISt17integral_constantIbLb0EES16_EEDaS11_S12_EUlS11_E_NS1_11comp_targetILNS1_3genE3ELNS1_11target_archE908ELNS1_3gpuE7ELNS1_3repE0EEENS1_30default_config_static_selectorELNS0_4arch9wavefront6targetE0EEEvT1_
                                        ; -- End function
	.set _ZN7rocprim17ROCPRIM_400000_NS6detail17trampoline_kernelINS0_14default_configENS1_25partition_config_selectorILNS1_17partition_subalgoE8ElNS0_10empty_typeEbEEZZNS1_14partition_implILS5_8ELb0ES3_jPKlPS6_PKS6_NS0_5tupleIJPlS6_EEENSE_IJSB_SB_EEENS0_18inequality_wrapperIN6hipcub16HIPCUB_304000_NS8EqualityEEESF_JS6_EEE10hipError_tPvRmT3_T4_T5_T6_T7_T9_mT8_P12ihipStream_tbDpT10_ENKUlT_T0_E_clISt17integral_constantIbLb0EES16_EEDaS11_S12_EUlS11_E_NS1_11comp_targetILNS1_3genE3ELNS1_11target_archE908ELNS1_3gpuE7ELNS1_3repE0EEENS1_30default_config_static_selectorELNS0_4arch9wavefront6targetE0EEEvT1_.num_vgpr, 0
	.set _ZN7rocprim17ROCPRIM_400000_NS6detail17trampoline_kernelINS0_14default_configENS1_25partition_config_selectorILNS1_17partition_subalgoE8ElNS0_10empty_typeEbEEZZNS1_14partition_implILS5_8ELb0ES3_jPKlPS6_PKS6_NS0_5tupleIJPlS6_EEENSE_IJSB_SB_EEENS0_18inequality_wrapperIN6hipcub16HIPCUB_304000_NS8EqualityEEESF_JS6_EEE10hipError_tPvRmT3_T4_T5_T6_T7_T9_mT8_P12ihipStream_tbDpT10_ENKUlT_T0_E_clISt17integral_constantIbLb0EES16_EEDaS11_S12_EUlS11_E_NS1_11comp_targetILNS1_3genE3ELNS1_11target_archE908ELNS1_3gpuE7ELNS1_3repE0EEENS1_30default_config_static_selectorELNS0_4arch9wavefront6targetE0EEEvT1_.num_agpr, 0
	.set _ZN7rocprim17ROCPRIM_400000_NS6detail17trampoline_kernelINS0_14default_configENS1_25partition_config_selectorILNS1_17partition_subalgoE8ElNS0_10empty_typeEbEEZZNS1_14partition_implILS5_8ELb0ES3_jPKlPS6_PKS6_NS0_5tupleIJPlS6_EEENSE_IJSB_SB_EEENS0_18inequality_wrapperIN6hipcub16HIPCUB_304000_NS8EqualityEEESF_JS6_EEE10hipError_tPvRmT3_T4_T5_T6_T7_T9_mT8_P12ihipStream_tbDpT10_ENKUlT_T0_E_clISt17integral_constantIbLb0EES16_EEDaS11_S12_EUlS11_E_NS1_11comp_targetILNS1_3genE3ELNS1_11target_archE908ELNS1_3gpuE7ELNS1_3repE0EEENS1_30default_config_static_selectorELNS0_4arch9wavefront6targetE0EEEvT1_.numbered_sgpr, 0
	.set _ZN7rocprim17ROCPRIM_400000_NS6detail17trampoline_kernelINS0_14default_configENS1_25partition_config_selectorILNS1_17partition_subalgoE8ElNS0_10empty_typeEbEEZZNS1_14partition_implILS5_8ELb0ES3_jPKlPS6_PKS6_NS0_5tupleIJPlS6_EEENSE_IJSB_SB_EEENS0_18inequality_wrapperIN6hipcub16HIPCUB_304000_NS8EqualityEEESF_JS6_EEE10hipError_tPvRmT3_T4_T5_T6_T7_T9_mT8_P12ihipStream_tbDpT10_ENKUlT_T0_E_clISt17integral_constantIbLb0EES16_EEDaS11_S12_EUlS11_E_NS1_11comp_targetILNS1_3genE3ELNS1_11target_archE908ELNS1_3gpuE7ELNS1_3repE0EEENS1_30default_config_static_selectorELNS0_4arch9wavefront6targetE0EEEvT1_.num_named_barrier, 0
	.set _ZN7rocprim17ROCPRIM_400000_NS6detail17trampoline_kernelINS0_14default_configENS1_25partition_config_selectorILNS1_17partition_subalgoE8ElNS0_10empty_typeEbEEZZNS1_14partition_implILS5_8ELb0ES3_jPKlPS6_PKS6_NS0_5tupleIJPlS6_EEENSE_IJSB_SB_EEENS0_18inequality_wrapperIN6hipcub16HIPCUB_304000_NS8EqualityEEESF_JS6_EEE10hipError_tPvRmT3_T4_T5_T6_T7_T9_mT8_P12ihipStream_tbDpT10_ENKUlT_T0_E_clISt17integral_constantIbLb0EES16_EEDaS11_S12_EUlS11_E_NS1_11comp_targetILNS1_3genE3ELNS1_11target_archE908ELNS1_3gpuE7ELNS1_3repE0EEENS1_30default_config_static_selectorELNS0_4arch9wavefront6targetE0EEEvT1_.private_seg_size, 0
	.set _ZN7rocprim17ROCPRIM_400000_NS6detail17trampoline_kernelINS0_14default_configENS1_25partition_config_selectorILNS1_17partition_subalgoE8ElNS0_10empty_typeEbEEZZNS1_14partition_implILS5_8ELb0ES3_jPKlPS6_PKS6_NS0_5tupleIJPlS6_EEENSE_IJSB_SB_EEENS0_18inequality_wrapperIN6hipcub16HIPCUB_304000_NS8EqualityEEESF_JS6_EEE10hipError_tPvRmT3_T4_T5_T6_T7_T9_mT8_P12ihipStream_tbDpT10_ENKUlT_T0_E_clISt17integral_constantIbLb0EES16_EEDaS11_S12_EUlS11_E_NS1_11comp_targetILNS1_3genE3ELNS1_11target_archE908ELNS1_3gpuE7ELNS1_3repE0EEENS1_30default_config_static_selectorELNS0_4arch9wavefront6targetE0EEEvT1_.uses_vcc, 0
	.set _ZN7rocprim17ROCPRIM_400000_NS6detail17trampoline_kernelINS0_14default_configENS1_25partition_config_selectorILNS1_17partition_subalgoE8ElNS0_10empty_typeEbEEZZNS1_14partition_implILS5_8ELb0ES3_jPKlPS6_PKS6_NS0_5tupleIJPlS6_EEENSE_IJSB_SB_EEENS0_18inequality_wrapperIN6hipcub16HIPCUB_304000_NS8EqualityEEESF_JS6_EEE10hipError_tPvRmT3_T4_T5_T6_T7_T9_mT8_P12ihipStream_tbDpT10_ENKUlT_T0_E_clISt17integral_constantIbLb0EES16_EEDaS11_S12_EUlS11_E_NS1_11comp_targetILNS1_3genE3ELNS1_11target_archE908ELNS1_3gpuE7ELNS1_3repE0EEENS1_30default_config_static_selectorELNS0_4arch9wavefront6targetE0EEEvT1_.uses_flat_scratch, 0
	.set _ZN7rocprim17ROCPRIM_400000_NS6detail17trampoline_kernelINS0_14default_configENS1_25partition_config_selectorILNS1_17partition_subalgoE8ElNS0_10empty_typeEbEEZZNS1_14partition_implILS5_8ELb0ES3_jPKlPS6_PKS6_NS0_5tupleIJPlS6_EEENSE_IJSB_SB_EEENS0_18inequality_wrapperIN6hipcub16HIPCUB_304000_NS8EqualityEEESF_JS6_EEE10hipError_tPvRmT3_T4_T5_T6_T7_T9_mT8_P12ihipStream_tbDpT10_ENKUlT_T0_E_clISt17integral_constantIbLb0EES16_EEDaS11_S12_EUlS11_E_NS1_11comp_targetILNS1_3genE3ELNS1_11target_archE908ELNS1_3gpuE7ELNS1_3repE0EEENS1_30default_config_static_selectorELNS0_4arch9wavefront6targetE0EEEvT1_.has_dyn_sized_stack, 0
	.set _ZN7rocprim17ROCPRIM_400000_NS6detail17trampoline_kernelINS0_14default_configENS1_25partition_config_selectorILNS1_17partition_subalgoE8ElNS0_10empty_typeEbEEZZNS1_14partition_implILS5_8ELb0ES3_jPKlPS6_PKS6_NS0_5tupleIJPlS6_EEENSE_IJSB_SB_EEENS0_18inequality_wrapperIN6hipcub16HIPCUB_304000_NS8EqualityEEESF_JS6_EEE10hipError_tPvRmT3_T4_T5_T6_T7_T9_mT8_P12ihipStream_tbDpT10_ENKUlT_T0_E_clISt17integral_constantIbLb0EES16_EEDaS11_S12_EUlS11_E_NS1_11comp_targetILNS1_3genE3ELNS1_11target_archE908ELNS1_3gpuE7ELNS1_3repE0EEENS1_30default_config_static_selectorELNS0_4arch9wavefront6targetE0EEEvT1_.has_recursion, 0
	.set _ZN7rocprim17ROCPRIM_400000_NS6detail17trampoline_kernelINS0_14default_configENS1_25partition_config_selectorILNS1_17partition_subalgoE8ElNS0_10empty_typeEbEEZZNS1_14partition_implILS5_8ELb0ES3_jPKlPS6_PKS6_NS0_5tupleIJPlS6_EEENSE_IJSB_SB_EEENS0_18inequality_wrapperIN6hipcub16HIPCUB_304000_NS8EqualityEEESF_JS6_EEE10hipError_tPvRmT3_T4_T5_T6_T7_T9_mT8_P12ihipStream_tbDpT10_ENKUlT_T0_E_clISt17integral_constantIbLb0EES16_EEDaS11_S12_EUlS11_E_NS1_11comp_targetILNS1_3genE3ELNS1_11target_archE908ELNS1_3gpuE7ELNS1_3repE0EEENS1_30default_config_static_selectorELNS0_4arch9wavefront6targetE0EEEvT1_.has_indirect_call, 0
	.section	.AMDGPU.csdata,"",@progbits
; Kernel info:
; codeLenInByte = 0
; TotalNumSgprs: 0
; NumVgprs: 0
; ScratchSize: 0
; MemoryBound: 0
; FloatMode: 240
; IeeeMode: 1
; LDSByteSize: 0 bytes/workgroup (compile time only)
; SGPRBlocks: 0
; VGPRBlocks: 0
; NumSGPRsForWavesPerEU: 1
; NumVGPRsForWavesPerEU: 1
; Occupancy: 16
; WaveLimiterHint : 0
; COMPUTE_PGM_RSRC2:SCRATCH_EN: 0
; COMPUTE_PGM_RSRC2:USER_SGPR: 6
; COMPUTE_PGM_RSRC2:TRAP_HANDLER: 0
; COMPUTE_PGM_RSRC2:TGID_X_EN: 1
; COMPUTE_PGM_RSRC2:TGID_Y_EN: 0
; COMPUTE_PGM_RSRC2:TGID_Z_EN: 0
; COMPUTE_PGM_RSRC2:TIDIG_COMP_CNT: 0
	.section	.text._ZN7rocprim17ROCPRIM_400000_NS6detail17trampoline_kernelINS0_14default_configENS1_25partition_config_selectorILNS1_17partition_subalgoE8ElNS0_10empty_typeEbEEZZNS1_14partition_implILS5_8ELb0ES3_jPKlPS6_PKS6_NS0_5tupleIJPlS6_EEENSE_IJSB_SB_EEENS0_18inequality_wrapperIN6hipcub16HIPCUB_304000_NS8EqualityEEESF_JS6_EEE10hipError_tPvRmT3_T4_T5_T6_T7_T9_mT8_P12ihipStream_tbDpT10_ENKUlT_T0_E_clISt17integral_constantIbLb0EES16_EEDaS11_S12_EUlS11_E_NS1_11comp_targetILNS1_3genE2ELNS1_11target_archE906ELNS1_3gpuE6ELNS1_3repE0EEENS1_30default_config_static_selectorELNS0_4arch9wavefront6targetE0EEEvT1_,"axG",@progbits,_ZN7rocprim17ROCPRIM_400000_NS6detail17trampoline_kernelINS0_14default_configENS1_25partition_config_selectorILNS1_17partition_subalgoE8ElNS0_10empty_typeEbEEZZNS1_14partition_implILS5_8ELb0ES3_jPKlPS6_PKS6_NS0_5tupleIJPlS6_EEENSE_IJSB_SB_EEENS0_18inequality_wrapperIN6hipcub16HIPCUB_304000_NS8EqualityEEESF_JS6_EEE10hipError_tPvRmT3_T4_T5_T6_T7_T9_mT8_P12ihipStream_tbDpT10_ENKUlT_T0_E_clISt17integral_constantIbLb0EES16_EEDaS11_S12_EUlS11_E_NS1_11comp_targetILNS1_3genE2ELNS1_11target_archE906ELNS1_3gpuE6ELNS1_3repE0EEENS1_30default_config_static_selectorELNS0_4arch9wavefront6targetE0EEEvT1_,comdat
	.protected	_ZN7rocprim17ROCPRIM_400000_NS6detail17trampoline_kernelINS0_14default_configENS1_25partition_config_selectorILNS1_17partition_subalgoE8ElNS0_10empty_typeEbEEZZNS1_14partition_implILS5_8ELb0ES3_jPKlPS6_PKS6_NS0_5tupleIJPlS6_EEENSE_IJSB_SB_EEENS0_18inequality_wrapperIN6hipcub16HIPCUB_304000_NS8EqualityEEESF_JS6_EEE10hipError_tPvRmT3_T4_T5_T6_T7_T9_mT8_P12ihipStream_tbDpT10_ENKUlT_T0_E_clISt17integral_constantIbLb0EES16_EEDaS11_S12_EUlS11_E_NS1_11comp_targetILNS1_3genE2ELNS1_11target_archE906ELNS1_3gpuE6ELNS1_3repE0EEENS1_30default_config_static_selectorELNS0_4arch9wavefront6targetE0EEEvT1_ ; -- Begin function _ZN7rocprim17ROCPRIM_400000_NS6detail17trampoline_kernelINS0_14default_configENS1_25partition_config_selectorILNS1_17partition_subalgoE8ElNS0_10empty_typeEbEEZZNS1_14partition_implILS5_8ELb0ES3_jPKlPS6_PKS6_NS0_5tupleIJPlS6_EEENSE_IJSB_SB_EEENS0_18inequality_wrapperIN6hipcub16HIPCUB_304000_NS8EqualityEEESF_JS6_EEE10hipError_tPvRmT3_T4_T5_T6_T7_T9_mT8_P12ihipStream_tbDpT10_ENKUlT_T0_E_clISt17integral_constantIbLb0EES16_EEDaS11_S12_EUlS11_E_NS1_11comp_targetILNS1_3genE2ELNS1_11target_archE906ELNS1_3gpuE6ELNS1_3repE0EEENS1_30default_config_static_selectorELNS0_4arch9wavefront6targetE0EEEvT1_
	.globl	_ZN7rocprim17ROCPRIM_400000_NS6detail17trampoline_kernelINS0_14default_configENS1_25partition_config_selectorILNS1_17partition_subalgoE8ElNS0_10empty_typeEbEEZZNS1_14partition_implILS5_8ELb0ES3_jPKlPS6_PKS6_NS0_5tupleIJPlS6_EEENSE_IJSB_SB_EEENS0_18inequality_wrapperIN6hipcub16HIPCUB_304000_NS8EqualityEEESF_JS6_EEE10hipError_tPvRmT3_T4_T5_T6_T7_T9_mT8_P12ihipStream_tbDpT10_ENKUlT_T0_E_clISt17integral_constantIbLb0EES16_EEDaS11_S12_EUlS11_E_NS1_11comp_targetILNS1_3genE2ELNS1_11target_archE906ELNS1_3gpuE6ELNS1_3repE0EEENS1_30default_config_static_selectorELNS0_4arch9wavefront6targetE0EEEvT1_
	.p2align	8
	.type	_ZN7rocprim17ROCPRIM_400000_NS6detail17trampoline_kernelINS0_14default_configENS1_25partition_config_selectorILNS1_17partition_subalgoE8ElNS0_10empty_typeEbEEZZNS1_14partition_implILS5_8ELb0ES3_jPKlPS6_PKS6_NS0_5tupleIJPlS6_EEENSE_IJSB_SB_EEENS0_18inequality_wrapperIN6hipcub16HIPCUB_304000_NS8EqualityEEESF_JS6_EEE10hipError_tPvRmT3_T4_T5_T6_T7_T9_mT8_P12ihipStream_tbDpT10_ENKUlT_T0_E_clISt17integral_constantIbLb0EES16_EEDaS11_S12_EUlS11_E_NS1_11comp_targetILNS1_3genE2ELNS1_11target_archE906ELNS1_3gpuE6ELNS1_3repE0EEENS1_30default_config_static_selectorELNS0_4arch9wavefront6targetE0EEEvT1_,@function
_ZN7rocprim17ROCPRIM_400000_NS6detail17trampoline_kernelINS0_14default_configENS1_25partition_config_selectorILNS1_17partition_subalgoE8ElNS0_10empty_typeEbEEZZNS1_14partition_implILS5_8ELb0ES3_jPKlPS6_PKS6_NS0_5tupleIJPlS6_EEENSE_IJSB_SB_EEENS0_18inequality_wrapperIN6hipcub16HIPCUB_304000_NS8EqualityEEESF_JS6_EEE10hipError_tPvRmT3_T4_T5_T6_T7_T9_mT8_P12ihipStream_tbDpT10_ENKUlT_T0_E_clISt17integral_constantIbLb0EES16_EEDaS11_S12_EUlS11_E_NS1_11comp_targetILNS1_3genE2ELNS1_11target_archE906ELNS1_3gpuE6ELNS1_3repE0EEENS1_30default_config_static_selectorELNS0_4arch9wavefront6targetE0EEEvT1_: ; @_ZN7rocprim17ROCPRIM_400000_NS6detail17trampoline_kernelINS0_14default_configENS1_25partition_config_selectorILNS1_17partition_subalgoE8ElNS0_10empty_typeEbEEZZNS1_14partition_implILS5_8ELb0ES3_jPKlPS6_PKS6_NS0_5tupleIJPlS6_EEENSE_IJSB_SB_EEENS0_18inequality_wrapperIN6hipcub16HIPCUB_304000_NS8EqualityEEESF_JS6_EEE10hipError_tPvRmT3_T4_T5_T6_T7_T9_mT8_P12ihipStream_tbDpT10_ENKUlT_T0_E_clISt17integral_constantIbLb0EES16_EEDaS11_S12_EUlS11_E_NS1_11comp_targetILNS1_3genE2ELNS1_11target_archE906ELNS1_3gpuE6ELNS1_3repE0EEENS1_30default_config_static_selectorELNS0_4arch9wavefront6targetE0EEEvT1_
; %bb.0:
	.section	.rodata,"a",@progbits
	.p2align	6, 0x0
	.amdhsa_kernel _ZN7rocprim17ROCPRIM_400000_NS6detail17trampoline_kernelINS0_14default_configENS1_25partition_config_selectorILNS1_17partition_subalgoE8ElNS0_10empty_typeEbEEZZNS1_14partition_implILS5_8ELb0ES3_jPKlPS6_PKS6_NS0_5tupleIJPlS6_EEENSE_IJSB_SB_EEENS0_18inequality_wrapperIN6hipcub16HIPCUB_304000_NS8EqualityEEESF_JS6_EEE10hipError_tPvRmT3_T4_T5_T6_T7_T9_mT8_P12ihipStream_tbDpT10_ENKUlT_T0_E_clISt17integral_constantIbLb0EES16_EEDaS11_S12_EUlS11_E_NS1_11comp_targetILNS1_3genE2ELNS1_11target_archE906ELNS1_3gpuE6ELNS1_3repE0EEENS1_30default_config_static_selectorELNS0_4arch9wavefront6targetE0EEEvT1_
		.amdhsa_group_segment_fixed_size 0
		.amdhsa_private_segment_fixed_size 0
		.amdhsa_kernarg_size 112
		.amdhsa_user_sgpr_count 6
		.amdhsa_user_sgpr_private_segment_buffer 1
		.amdhsa_user_sgpr_dispatch_ptr 0
		.amdhsa_user_sgpr_queue_ptr 0
		.amdhsa_user_sgpr_kernarg_segment_ptr 1
		.amdhsa_user_sgpr_dispatch_id 0
		.amdhsa_user_sgpr_flat_scratch_init 0
		.amdhsa_user_sgpr_private_segment_size 0
		.amdhsa_wavefront_size32 1
		.amdhsa_uses_dynamic_stack 0
		.amdhsa_system_sgpr_private_segment_wavefront_offset 0
		.amdhsa_system_sgpr_workgroup_id_x 1
		.amdhsa_system_sgpr_workgroup_id_y 0
		.amdhsa_system_sgpr_workgroup_id_z 0
		.amdhsa_system_sgpr_workgroup_info 0
		.amdhsa_system_vgpr_workitem_id 0
		.amdhsa_next_free_vgpr 1
		.amdhsa_next_free_sgpr 1
		.amdhsa_reserve_vcc 0
		.amdhsa_reserve_flat_scratch 0
		.amdhsa_float_round_mode_32 0
		.amdhsa_float_round_mode_16_64 0
		.amdhsa_float_denorm_mode_32 3
		.amdhsa_float_denorm_mode_16_64 3
		.amdhsa_dx10_clamp 1
		.amdhsa_ieee_mode 1
		.amdhsa_fp16_overflow 0
		.amdhsa_workgroup_processor_mode 1
		.amdhsa_memory_ordered 1
		.amdhsa_forward_progress 1
		.amdhsa_shared_vgpr_count 0
		.amdhsa_exception_fp_ieee_invalid_op 0
		.amdhsa_exception_fp_denorm_src 0
		.amdhsa_exception_fp_ieee_div_zero 0
		.amdhsa_exception_fp_ieee_overflow 0
		.amdhsa_exception_fp_ieee_underflow 0
		.amdhsa_exception_fp_ieee_inexact 0
		.amdhsa_exception_int_div_zero 0
	.end_amdhsa_kernel
	.section	.text._ZN7rocprim17ROCPRIM_400000_NS6detail17trampoline_kernelINS0_14default_configENS1_25partition_config_selectorILNS1_17partition_subalgoE8ElNS0_10empty_typeEbEEZZNS1_14partition_implILS5_8ELb0ES3_jPKlPS6_PKS6_NS0_5tupleIJPlS6_EEENSE_IJSB_SB_EEENS0_18inequality_wrapperIN6hipcub16HIPCUB_304000_NS8EqualityEEESF_JS6_EEE10hipError_tPvRmT3_T4_T5_T6_T7_T9_mT8_P12ihipStream_tbDpT10_ENKUlT_T0_E_clISt17integral_constantIbLb0EES16_EEDaS11_S12_EUlS11_E_NS1_11comp_targetILNS1_3genE2ELNS1_11target_archE906ELNS1_3gpuE6ELNS1_3repE0EEENS1_30default_config_static_selectorELNS0_4arch9wavefront6targetE0EEEvT1_,"axG",@progbits,_ZN7rocprim17ROCPRIM_400000_NS6detail17trampoline_kernelINS0_14default_configENS1_25partition_config_selectorILNS1_17partition_subalgoE8ElNS0_10empty_typeEbEEZZNS1_14partition_implILS5_8ELb0ES3_jPKlPS6_PKS6_NS0_5tupleIJPlS6_EEENSE_IJSB_SB_EEENS0_18inequality_wrapperIN6hipcub16HIPCUB_304000_NS8EqualityEEESF_JS6_EEE10hipError_tPvRmT3_T4_T5_T6_T7_T9_mT8_P12ihipStream_tbDpT10_ENKUlT_T0_E_clISt17integral_constantIbLb0EES16_EEDaS11_S12_EUlS11_E_NS1_11comp_targetILNS1_3genE2ELNS1_11target_archE906ELNS1_3gpuE6ELNS1_3repE0EEENS1_30default_config_static_selectorELNS0_4arch9wavefront6targetE0EEEvT1_,comdat
.Lfunc_end230:
	.size	_ZN7rocprim17ROCPRIM_400000_NS6detail17trampoline_kernelINS0_14default_configENS1_25partition_config_selectorILNS1_17partition_subalgoE8ElNS0_10empty_typeEbEEZZNS1_14partition_implILS5_8ELb0ES3_jPKlPS6_PKS6_NS0_5tupleIJPlS6_EEENSE_IJSB_SB_EEENS0_18inequality_wrapperIN6hipcub16HIPCUB_304000_NS8EqualityEEESF_JS6_EEE10hipError_tPvRmT3_T4_T5_T6_T7_T9_mT8_P12ihipStream_tbDpT10_ENKUlT_T0_E_clISt17integral_constantIbLb0EES16_EEDaS11_S12_EUlS11_E_NS1_11comp_targetILNS1_3genE2ELNS1_11target_archE906ELNS1_3gpuE6ELNS1_3repE0EEENS1_30default_config_static_selectorELNS0_4arch9wavefront6targetE0EEEvT1_, .Lfunc_end230-_ZN7rocprim17ROCPRIM_400000_NS6detail17trampoline_kernelINS0_14default_configENS1_25partition_config_selectorILNS1_17partition_subalgoE8ElNS0_10empty_typeEbEEZZNS1_14partition_implILS5_8ELb0ES3_jPKlPS6_PKS6_NS0_5tupleIJPlS6_EEENSE_IJSB_SB_EEENS0_18inequality_wrapperIN6hipcub16HIPCUB_304000_NS8EqualityEEESF_JS6_EEE10hipError_tPvRmT3_T4_T5_T6_T7_T9_mT8_P12ihipStream_tbDpT10_ENKUlT_T0_E_clISt17integral_constantIbLb0EES16_EEDaS11_S12_EUlS11_E_NS1_11comp_targetILNS1_3genE2ELNS1_11target_archE906ELNS1_3gpuE6ELNS1_3repE0EEENS1_30default_config_static_selectorELNS0_4arch9wavefront6targetE0EEEvT1_
                                        ; -- End function
	.set _ZN7rocprim17ROCPRIM_400000_NS6detail17trampoline_kernelINS0_14default_configENS1_25partition_config_selectorILNS1_17partition_subalgoE8ElNS0_10empty_typeEbEEZZNS1_14partition_implILS5_8ELb0ES3_jPKlPS6_PKS6_NS0_5tupleIJPlS6_EEENSE_IJSB_SB_EEENS0_18inequality_wrapperIN6hipcub16HIPCUB_304000_NS8EqualityEEESF_JS6_EEE10hipError_tPvRmT3_T4_T5_T6_T7_T9_mT8_P12ihipStream_tbDpT10_ENKUlT_T0_E_clISt17integral_constantIbLb0EES16_EEDaS11_S12_EUlS11_E_NS1_11comp_targetILNS1_3genE2ELNS1_11target_archE906ELNS1_3gpuE6ELNS1_3repE0EEENS1_30default_config_static_selectorELNS0_4arch9wavefront6targetE0EEEvT1_.num_vgpr, 0
	.set _ZN7rocprim17ROCPRIM_400000_NS6detail17trampoline_kernelINS0_14default_configENS1_25partition_config_selectorILNS1_17partition_subalgoE8ElNS0_10empty_typeEbEEZZNS1_14partition_implILS5_8ELb0ES3_jPKlPS6_PKS6_NS0_5tupleIJPlS6_EEENSE_IJSB_SB_EEENS0_18inequality_wrapperIN6hipcub16HIPCUB_304000_NS8EqualityEEESF_JS6_EEE10hipError_tPvRmT3_T4_T5_T6_T7_T9_mT8_P12ihipStream_tbDpT10_ENKUlT_T0_E_clISt17integral_constantIbLb0EES16_EEDaS11_S12_EUlS11_E_NS1_11comp_targetILNS1_3genE2ELNS1_11target_archE906ELNS1_3gpuE6ELNS1_3repE0EEENS1_30default_config_static_selectorELNS0_4arch9wavefront6targetE0EEEvT1_.num_agpr, 0
	.set _ZN7rocprim17ROCPRIM_400000_NS6detail17trampoline_kernelINS0_14default_configENS1_25partition_config_selectorILNS1_17partition_subalgoE8ElNS0_10empty_typeEbEEZZNS1_14partition_implILS5_8ELb0ES3_jPKlPS6_PKS6_NS0_5tupleIJPlS6_EEENSE_IJSB_SB_EEENS0_18inequality_wrapperIN6hipcub16HIPCUB_304000_NS8EqualityEEESF_JS6_EEE10hipError_tPvRmT3_T4_T5_T6_T7_T9_mT8_P12ihipStream_tbDpT10_ENKUlT_T0_E_clISt17integral_constantIbLb0EES16_EEDaS11_S12_EUlS11_E_NS1_11comp_targetILNS1_3genE2ELNS1_11target_archE906ELNS1_3gpuE6ELNS1_3repE0EEENS1_30default_config_static_selectorELNS0_4arch9wavefront6targetE0EEEvT1_.numbered_sgpr, 0
	.set _ZN7rocprim17ROCPRIM_400000_NS6detail17trampoline_kernelINS0_14default_configENS1_25partition_config_selectorILNS1_17partition_subalgoE8ElNS0_10empty_typeEbEEZZNS1_14partition_implILS5_8ELb0ES3_jPKlPS6_PKS6_NS0_5tupleIJPlS6_EEENSE_IJSB_SB_EEENS0_18inequality_wrapperIN6hipcub16HIPCUB_304000_NS8EqualityEEESF_JS6_EEE10hipError_tPvRmT3_T4_T5_T6_T7_T9_mT8_P12ihipStream_tbDpT10_ENKUlT_T0_E_clISt17integral_constantIbLb0EES16_EEDaS11_S12_EUlS11_E_NS1_11comp_targetILNS1_3genE2ELNS1_11target_archE906ELNS1_3gpuE6ELNS1_3repE0EEENS1_30default_config_static_selectorELNS0_4arch9wavefront6targetE0EEEvT1_.num_named_barrier, 0
	.set _ZN7rocprim17ROCPRIM_400000_NS6detail17trampoline_kernelINS0_14default_configENS1_25partition_config_selectorILNS1_17partition_subalgoE8ElNS0_10empty_typeEbEEZZNS1_14partition_implILS5_8ELb0ES3_jPKlPS6_PKS6_NS0_5tupleIJPlS6_EEENSE_IJSB_SB_EEENS0_18inequality_wrapperIN6hipcub16HIPCUB_304000_NS8EqualityEEESF_JS6_EEE10hipError_tPvRmT3_T4_T5_T6_T7_T9_mT8_P12ihipStream_tbDpT10_ENKUlT_T0_E_clISt17integral_constantIbLb0EES16_EEDaS11_S12_EUlS11_E_NS1_11comp_targetILNS1_3genE2ELNS1_11target_archE906ELNS1_3gpuE6ELNS1_3repE0EEENS1_30default_config_static_selectorELNS0_4arch9wavefront6targetE0EEEvT1_.private_seg_size, 0
	.set _ZN7rocprim17ROCPRIM_400000_NS6detail17trampoline_kernelINS0_14default_configENS1_25partition_config_selectorILNS1_17partition_subalgoE8ElNS0_10empty_typeEbEEZZNS1_14partition_implILS5_8ELb0ES3_jPKlPS6_PKS6_NS0_5tupleIJPlS6_EEENSE_IJSB_SB_EEENS0_18inequality_wrapperIN6hipcub16HIPCUB_304000_NS8EqualityEEESF_JS6_EEE10hipError_tPvRmT3_T4_T5_T6_T7_T9_mT8_P12ihipStream_tbDpT10_ENKUlT_T0_E_clISt17integral_constantIbLb0EES16_EEDaS11_S12_EUlS11_E_NS1_11comp_targetILNS1_3genE2ELNS1_11target_archE906ELNS1_3gpuE6ELNS1_3repE0EEENS1_30default_config_static_selectorELNS0_4arch9wavefront6targetE0EEEvT1_.uses_vcc, 0
	.set _ZN7rocprim17ROCPRIM_400000_NS6detail17trampoline_kernelINS0_14default_configENS1_25partition_config_selectorILNS1_17partition_subalgoE8ElNS0_10empty_typeEbEEZZNS1_14partition_implILS5_8ELb0ES3_jPKlPS6_PKS6_NS0_5tupleIJPlS6_EEENSE_IJSB_SB_EEENS0_18inequality_wrapperIN6hipcub16HIPCUB_304000_NS8EqualityEEESF_JS6_EEE10hipError_tPvRmT3_T4_T5_T6_T7_T9_mT8_P12ihipStream_tbDpT10_ENKUlT_T0_E_clISt17integral_constantIbLb0EES16_EEDaS11_S12_EUlS11_E_NS1_11comp_targetILNS1_3genE2ELNS1_11target_archE906ELNS1_3gpuE6ELNS1_3repE0EEENS1_30default_config_static_selectorELNS0_4arch9wavefront6targetE0EEEvT1_.uses_flat_scratch, 0
	.set _ZN7rocprim17ROCPRIM_400000_NS6detail17trampoline_kernelINS0_14default_configENS1_25partition_config_selectorILNS1_17partition_subalgoE8ElNS0_10empty_typeEbEEZZNS1_14partition_implILS5_8ELb0ES3_jPKlPS6_PKS6_NS0_5tupleIJPlS6_EEENSE_IJSB_SB_EEENS0_18inequality_wrapperIN6hipcub16HIPCUB_304000_NS8EqualityEEESF_JS6_EEE10hipError_tPvRmT3_T4_T5_T6_T7_T9_mT8_P12ihipStream_tbDpT10_ENKUlT_T0_E_clISt17integral_constantIbLb0EES16_EEDaS11_S12_EUlS11_E_NS1_11comp_targetILNS1_3genE2ELNS1_11target_archE906ELNS1_3gpuE6ELNS1_3repE0EEENS1_30default_config_static_selectorELNS0_4arch9wavefront6targetE0EEEvT1_.has_dyn_sized_stack, 0
	.set _ZN7rocprim17ROCPRIM_400000_NS6detail17trampoline_kernelINS0_14default_configENS1_25partition_config_selectorILNS1_17partition_subalgoE8ElNS0_10empty_typeEbEEZZNS1_14partition_implILS5_8ELb0ES3_jPKlPS6_PKS6_NS0_5tupleIJPlS6_EEENSE_IJSB_SB_EEENS0_18inequality_wrapperIN6hipcub16HIPCUB_304000_NS8EqualityEEESF_JS6_EEE10hipError_tPvRmT3_T4_T5_T6_T7_T9_mT8_P12ihipStream_tbDpT10_ENKUlT_T0_E_clISt17integral_constantIbLb0EES16_EEDaS11_S12_EUlS11_E_NS1_11comp_targetILNS1_3genE2ELNS1_11target_archE906ELNS1_3gpuE6ELNS1_3repE0EEENS1_30default_config_static_selectorELNS0_4arch9wavefront6targetE0EEEvT1_.has_recursion, 0
	.set _ZN7rocprim17ROCPRIM_400000_NS6detail17trampoline_kernelINS0_14default_configENS1_25partition_config_selectorILNS1_17partition_subalgoE8ElNS0_10empty_typeEbEEZZNS1_14partition_implILS5_8ELb0ES3_jPKlPS6_PKS6_NS0_5tupleIJPlS6_EEENSE_IJSB_SB_EEENS0_18inequality_wrapperIN6hipcub16HIPCUB_304000_NS8EqualityEEESF_JS6_EEE10hipError_tPvRmT3_T4_T5_T6_T7_T9_mT8_P12ihipStream_tbDpT10_ENKUlT_T0_E_clISt17integral_constantIbLb0EES16_EEDaS11_S12_EUlS11_E_NS1_11comp_targetILNS1_3genE2ELNS1_11target_archE906ELNS1_3gpuE6ELNS1_3repE0EEENS1_30default_config_static_selectorELNS0_4arch9wavefront6targetE0EEEvT1_.has_indirect_call, 0
	.section	.AMDGPU.csdata,"",@progbits
; Kernel info:
; codeLenInByte = 0
; TotalNumSgprs: 0
; NumVgprs: 0
; ScratchSize: 0
; MemoryBound: 0
; FloatMode: 240
; IeeeMode: 1
; LDSByteSize: 0 bytes/workgroup (compile time only)
; SGPRBlocks: 0
; VGPRBlocks: 0
; NumSGPRsForWavesPerEU: 1
; NumVGPRsForWavesPerEU: 1
; Occupancy: 16
; WaveLimiterHint : 0
; COMPUTE_PGM_RSRC2:SCRATCH_EN: 0
; COMPUTE_PGM_RSRC2:USER_SGPR: 6
; COMPUTE_PGM_RSRC2:TRAP_HANDLER: 0
; COMPUTE_PGM_RSRC2:TGID_X_EN: 1
; COMPUTE_PGM_RSRC2:TGID_Y_EN: 0
; COMPUTE_PGM_RSRC2:TGID_Z_EN: 0
; COMPUTE_PGM_RSRC2:TIDIG_COMP_CNT: 0
	.section	.text._ZN7rocprim17ROCPRIM_400000_NS6detail17trampoline_kernelINS0_14default_configENS1_25partition_config_selectorILNS1_17partition_subalgoE8ElNS0_10empty_typeEbEEZZNS1_14partition_implILS5_8ELb0ES3_jPKlPS6_PKS6_NS0_5tupleIJPlS6_EEENSE_IJSB_SB_EEENS0_18inequality_wrapperIN6hipcub16HIPCUB_304000_NS8EqualityEEESF_JS6_EEE10hipError_tPvRmT3_T4_T5_T6_T7_T9_mT8_P12ihipStream_tbDpT10_ENKUlT_T0_E_clISt17integral_constantIbLb0EES16_EEDaS11_S12_EUlS11_E_NS1_11comp_targetILNS1_3genE10ELNS1_11target_archE1200ELNS1_3gpuE4ELNS1_3repE0EEENS1_30default_config_static_selectorELNS0_4arch9wavefront6targetE0EEEvT1_,"axG",@progbits,_ZN7rocprim17ROCPRIM_400000_NS6detail17trampoline_kernelINS0_14default_configENS1_25partition_config_selectorILNS1_17partition_subalgoE8ElNS0_10empty_typeEbEEZZNS1_14partition_implILS5_8ELb0ES3_jPKlPS6_PKS6_NS0_5tupleIJPlS6_EEENSE_IJSB_SB_EEENS0_18inequality_wrapperIN6hipcub16HIPCUB_304000_NS8EqualityEEESF_JS6_EEE10hipError_tPvRmT3_T4_T5_T6_T7_T9_mT8_P12ihipStream_tbDpT10_ENKUlT_T0_E_clISt17integral_constantIbLb0EES16_EEDaS11_S12_EUlS11_E_NS1_11comp_targetILNS1_3genE10ELNS1_11target_archE1200ELNS1_3gpuE4ELNS1_3repE0EEENS1_30default_config_static_selectorELNS0_4arch9wavefront6targetE0EEEvT1_,comdat
	.protected	_ZN7rocprim17ROCPRIM_400000_NS6detail17trampoline_kernelINS0_14default_configENS1_25partition_config_selectorILNS1_17partition_subalgoE8ElNS0_10empty_typeEbEEZZNS1_14partition_implILS5_8ELb0ES3_jPKlPS6_PKS6_NS0_5tupleIJPlS6_EEENSE_IJSB_SB_EEENS0_18inequality_wrapperIN6hipcub16HIPCUB_304000_NS8EqualityEEESF_JS6_EEE10hipError_tPvRmT3_T4_T5_T6_T7_T9_mT8_P12ihipStream_tbDpT10_ENKUlT_T0_E_clISt17integral_constantIbLb0EES16_EEDaS11_S12_EUlS11_E_NS1_11comp_targetILNS1_3genE10ELNS1_11target_archE1200ELNS1_3gpuE4ELNS1_3repE0EEENS1_30default_config_static_selectorELNS0_4arch9wavefront6targetE0EEEvT1_ ; -- Begin function _ZN7rocprim17ROCPRIM_400000_NS6detail17trampoline_kernelINS0_14default_configENS1_25partition_config_selectorILNS1_17partition_subalgoE8ElNS0_10empty_typeEbEEZZNS1_14partition_implILS5_8ELb0ES3_jPKlPS6_PKS6_NS0_5tupleIJPlS6_EEENSE_IJSB_SB_EEENS0_18inequality_wrapperIN6hipcub16HIPCUB_304000_NS8EqualityEEESF_JS6_EEE10hipError_tPvRmT3_T4_T5_T6_T7_T9_mT8_P12ihipStream_tbDpT10_ENKUlT_T0_E_clISt17integral_constantIbLb0EES16_EEDaS11_S12_EUlS11_E_NS1_11comp_targetILNS1_3genE10ELNS1_11target_archE1200ELNS1_3gpuE4ELNS1_3repE0EEENS1_30default_config_static_selectorELNS0_4arch9wavefront6targetE0EEEvT1_
	.globl	_ZN7rocprim17ROCPRIM_400000_NS6detail17trampoline_kernelINS0_14default_configENS1_25partition_config_selectorILNS1_17partition_subalgoE8ElNS0_10empty_typeEbEEZZNS1_14partition_implILS5_8ELb0ES3_jPKlPS6_PKS6_NS0_5tupleIJPlS6_EEENSE_IJSB_SB_EEENS0_18inequality_wrapperIN6hipcub16HIPCUB_304000_NS8EqualityEEESF_JS6_EEE10hipError_tPvRmT3_T4_T5_T6_T7_T9_mT8_P12ihipStream_tbDpT10_ENKUlT_T0_E_clISt17integral_constantIbLb0EES16_EEDaS11_S12_EUlS11_E_NS1_11comp_targetILNS1_3genE10ELNS1_11target_archE1200ELNS1_3gpuE4ELNS1_3repE0EEENS1_30default_config_static_selectorELNS0_4arch9wavefront6targetE0EEEvT1_
	.p2align	8
	.type	_ZN7rocprim17ROCPRIM_400000_NS6detail17trampoline_kernelINS0_14default_configENS1_25partition_config_selectorILNS1_17partition_subalgoE8ElNS0_10empty_typeEbEEZZNS1_14partition_implILS5_8ELb0ES3_jPKlPS6_PKS6_NS0_5tupleIJPlS6_EEENSE_IJSB_SB_EEENS0_18inequality_wrapperIN6hipcub16HIPCUB_304000_NS8EqualityEEESF_JS6_EEE10hipError_tPvRmT3_T4_T5_T6_T7_T9_mT8_P12ihipStream_tbDpT10_ENKUlT_T0_E_clISt17integral_constantIbLb0EES16_EEDaS11_S12_EUlS11_E_NS1_11comp_targetILNS1_3genE10ELNS1_11target_archE1200ELNS1_3gpuE4ELNS1_3repE0EEENS1_30default_config_static_selectorELNS0_4arch9wavefront6targetE0EEEvT1_,@function
_ZN7rocprim17ROCPRIM_400000_NS6detail17trampoline_kernelINS0_14default_configENS1_25partition_config_selectorILNS1_17partition_subalgoE8ElNS0_10empty_typeEbEEZZNS1_14partition_implILS5_8ELb0ES3_jPKlPS6_PKS6_NS0_5tupleIJPlS6_EEENSE_IJSB_SB_EEENS0_18inequality_wrapperIN6hipcub16HIPCUB_304000_NS8EqualityEEESF_JS6_EEE10hipError_tPvRmT3_T4_T5_T6_T7_T9_mT8_P12ihipStream_tbDpT10_ENKUlT_T0_E_clISt17integral_constantIbLb0EES16_EEDaS11_S12_EUlS11_E_NS1_11comp_targetILNS1_3genE10ELNS1_11target_archE1200ELNS1_3gpuE4ELNS1_3repE0EEENS1_30default_config_static_selectorELNS0_4arch9wavefront6targetE0EEEvT1_: ; @_ZN7rocprim17ROCPRIM_400000_NS6detail17trampoline_kernelINS0_14default_configENS1_25partition_config_selectorILNS1_17partition_subalgoE8ElNS0_10empty_typeEbEEZZNS1_14partition_implILS5_8ELb0ES3_jPKlPS6_PKS6_NS0_5tupleIJPlS6_EEENSE_IJSB_SB_EEENS0_18inequality_wrapperIN6hipcub16HIPCUB_304000_NS8EqualityEEESF_JS6_EEE10hipError_tPvRmT3_T4_T5_T6_T7_T9_mT8_P12ihipStream_tbDpT10_ENKUlT_T0_E_clISt17integral_constantIbLb0EES16_EEDaS11_S12_EUlS11_E_NS1_11comp_targetILNS1_3genE10ELNS1_11target_archE1200ELNS1_3gpuE4ELNS1_3repE0EEENS1_30default_config_static_selectorELNS0_4arch9wavefront6targetE0EEEvT1_
; %bb.0:
	.section	.rodata,"a",@progbits
	.p2align	6, 0x0
	.amdhsa_kernel _ZN7rocprim17ROCPRIM_400000_NS6detail17trampoline_kernelINS0_14default_configENS1_25partition_config_selectorILNS1_17partition_subalgoE8ElNS0_10empty_typeEbEEZZNS1_14partition_implILS5_8ELb0ES3_jPKlPS6_PKS6_NS0_5tupleIJPlS6_EEENSE_IJSB_SB_EEENS0_18inequality_wrapperIN6hipcub16HIPCUB_304000_NS8EqualityEEESF_JS6_EEE10hipError_tPvRmT3_T4_T5_T6_T7_T9_mT8_P12ihipStream_tbDpT10_ENKUlT_T0_E_clISt17integral_constantIbLb0EES16_EEDaS11_S12_EUlS11_E_NS1_11comp_targetILNS1_3genE10ELNS1_11target_archE1200ELNS1_3gpuE4ELNS1_3repE0EEENS1_30default_config_static_selectorELNS0_4arch9wavefront6targetE0EEEvT1_
		.amdhsa_group_segment_fixed_size 0
		.amdhsa_private_segment_fixed_size 0
		.amdhsa_kernarg_size 112
		.amdhsa_user_sgpr_count 6
		.amdhsa_user_sgpr_private_segment_buffer 1
		.amdhsa_user_sgpr_dispatch_ptr 0
		.amdhsa_user_sgpr_queue_ptr 0
		.amdhsa_user_sgpr_kernarg_segment_ptr 1
		.amdhsa_user_sgpr_dispatch_id 0
		.amdhsa_user_sgpr_flat_scratch_init 0
		.amdhsa_user_sgpr_private_segment_size 0
		.amdhsa_wavefront_size32 1
		.amdhsa_uses_dynamic_stack 0
		.amdhsa_system_sgpr_private_segment_wavefront_offset 0
		.amdhsa_system_sgpr_workgroup_id_x 1
		.amdhsa_system_sgpr_workgroup_id_y 0
		.amdhsa_system_sgpr_workgroup_id_z 0
		.amdhsa_system_sgpr_workgroup_info 0
		.amdhsa_system_vgpr_workitem_id 0
		.amdhsa_next_free_vgpr 1
		.amdhsa_next_free_sgpr 1
		.amdhsa_reserve_vcc 0
		.amdhsa_reserve_flat_scratch 0
		.amdhsa_float_round_mode_32 0
		.amdhsa_float_round_mode_16_64 0
		.amdhsa_float_denorm_mode_32 3
		.amdhsa_float_denorm_mode_16_64 3
		.amdhsa_dx10_clamp 1
		.amdhsa_ieee_mode 1
		.amdhsa_fp16_overflow 0
		.amdhsa_workgroup_processor_mode 1
		.amdhsa_memory_ordered 1
		.amdhsa_forward_progress 1
		.amdhsa_shared_vgpr_count 0
		.amdhsa_exception_fp_ieee_invalid_op 0
		.amdhsa_exception_fp_denorm_src 0
		.amdhsa_exception_fp_ieee_div_zero 0
		.amdhsa_exception_fp_ieee_overflow 0
		.amdhsa_exception_fp_ieee_underflow 0
		.amdhsa_exception_fp_ieee_inexact 0
		.amdhsa_exception_int_div_zero 0
	.end_amdhsa_kernel
	.section	.text._ZN7rocprim17ROCPRIM_400000_NS6detail17trampoline_kernelINS0_14default_configENS1_25partition_config_selectorILNS1_17partition_subalgoE8ElNS0_10empty_typeEbEEZZNS1_14partition_implILS5_8ELb0ES3_jPKlPS6_PKS6_NS0_5tupleIJPlS6_EEENSE_IJSB_SB_EEENS0_18inequality_wrapperIN6hipcub16HIPCUB_304000_NS8EqualityEEESF_JS6_EEE10hipError_tPvRmT3_T4_T5_T6_T7_T9_mT8_P12ihipStream_tbDpT10_ENKUlT_T0_E_clISt17integral_constantIbLb0EES16_EEDaS11_S12_EUlS11_E_NS1_11comp_targetILNS1_3genE10ELNS1_11target_archE1200ELNS1_3gpuE4ELNS1_3repE0EEENS1_30default_config_static_selectorELNS0_4arch9wavefront6targetE0EEEvT1_,"axG",@progbits,_ZN7rocprim17ROCPRIM_400000_NS6detail17trampoline_kernelINS0_14default_configENS1_25partition_config_selectorILNS1_17partition_subalgoE8ElNS0_10empty_typeEbEEZZNS1_14partition_implILS5_8ELb0ES3_jPKlPS6_PKS6_NS0_5tupleIJPlS6_EEENSE_IJSB_SB_EEENS0_18inequality_wrapperIN6hipcub16HIPCUB_304000_NS8EqualityEEESF_JS6_EEE10hipError_tPvRmT3_T4_T5_T6_T7_T9_mT8_P12ihipStream_tbDpT10_ENKUlT_T0_E_clISt17integral_constantIbLb0EES16_EEDaS11_S12_EUlS11_E_NS1_11comp_targetILNS1_3genE10ELNS1_11target_archE1200ELNS1_3gpuE4ELNS1_3repE0EEENS1_30default_config_static_selectorELNS0_4arch9wavefront6targetE0EEEvT1_,comdat
.Lfunc_end231:
	.size	_ZN7rocprim17ROCPRIM_400000_NS6detail17trampoline_kernelINS0_14default_configENS1_25partition_config_selectorILNS1_17partition_subalgoE8ElNS0_10empty_typeEbEEZZNS1_14partition_implILS5_8ELb0ES3_jPKlPS6_PKS6_NS0_5tupleIJPlS6_EEENSE_IJSB_SB_EEENS0_18inequality_wrapperIN6hipcub16HIPCUB_304000_NS8EqualityEEESF_JS6_EEE10hipError_tPvRmT3_T4_T5_T6_T7_T9_mT8_P12ihipStream_tbDpT10_ENKUlT_T0_E_clISt17integral_constantIbLb0EES16_EEDaS11_S12_EUlS11_E_NS1_11comp_targetILNS1_3genE10ELNS1_11target_archE1200ELNS1_3gpuE4ELNS1_3repE0EEENS1_30default_config_static_selectorELNS0_4arch9wavefront6targetE0EEEvT1_, .Lfunc_end231-_ZN7rocprim17ROCPRIM_400000_NS6detail17trampoline_kernelINS0_14default_configENS1_25partition_config_selectorILNS1_17partition_subalgoE8ElNS0_10empty_typeEbEEZZNS1_14partition_implILS5_8ELb0ES3_jPKlPS6_PKS6_NS0_5tupleIJPlS6_EEENSE_IJSB_SB_EEENS0_18inequality_wrapperIN6hipcub16HIPCUB_304000_NS8EqualityEEESF_JS6_EEE10hipError_tPvRmT3_T4_T5_T6_T7_T9_mT8_P12ihipStream_tbDpT10_ENKUlT_T0_E_clISt17integral_constantIbLb0EES16_EEDaS11_S12_EUlS11_E_NS1_11comp_targetILNS1_3genE10ELNS1_11target_archE1200ELNS1_3gpuE4ELNS1_3repE0EEENS1_30default_config_static_selectorELNS0_4arch9wavefront6targetE0EEEvT1_
                                        ; -- End function
	.set _ZN7rocprim17ROCPRIM_400000_NS6detail17trampoline_kernelINS0_14default_configENS1_25partition_config_selectorILNS1_17partition_subalgoE8ElNS0_10empty_typeEbEEZZNS1_14partition_implILS5_8ELb0ES3_jPKlPS6_PKS6_NS0_5tupleIJPlS6_EEENSE_IJSB_SB_EEENS0_18inequality_wrapperIN6hipcub16HIPCUB_304000_NS8EqualityEEESF_JS6_EEE10hipError_tPvRmT3_T4_T5_T6_T7_T9_mT8_P12ihipStream_tbDpT10_ENKUlT_T0_E_clISt17integral_constantIbLb0EES16_EEDaS11_S12_EUlS11_E_NS1_11comp_targetILNS1_3genE10ELNS1_11target_archE1200ELNS1_3gpuE4ELNS1_3repE0EEENS1_30default_config_static_selectorELNS0_4arch9wavefront6targetE0EEEvT1_.num_vgpr, 0
	.set _ZN7rocprim17ROCPRIM_400000_NS6detail17trampoline_kernelINS0_14default_configENS1_25partition_config_selectorILNS1_17partition_subalgoE8ElNS0_10empty_typeEbEEZZNS1_14partition_implILS5_8ELb0ES3_jPKlPS6_PKS6_NS0_5tupleIJPlS6_EEENSE_IJSB_SB_EEENS0_18inequality_wrapperIN6hipcub16HIPCUB_304000_NS8EqualityEEESF_JS6_EEE10hipError_tPvRmT3_T4_T5_T6_T7_T9_mT8_P12ihipStream_tbDpT10_ENKUlT_T0_E_clISt17integral_constantIbLb0EES16_EEDaS11_S12_EUlS11_E_NS1_11comp_targetILNS1_3genE10ELNS1_11target_archE1200ELNS1_3gpuE4ELNS1_3repE0EEENS1_30default_config_static_selectorELNS0_4arch9wavefront6targetE0EEEvT1_.num_agpr, 0
	.set _ZN7rocprim17ROCPRIM_400000_NS6detail17trampoline_kernelINS0_14default_configENS1_25partition_config_selectorILNS1_17partition_subalgoE8ElNS0_10empty_typeEbEEZZNS1_14partition_implILS5_8ELb0ES3_jPKlPS6_PKS6_NS0_5tupleIJPlS6_EEENSE_IJSB_SB_EEENS0_18inequality_wrapperIN6hipcub16HIPCUB_304000_NS8EqualityEEESF_JS6_EEE10hipError_tPvRmT3_T4_T5_T6_T7_T9_mT8_P12ihipStream_tbDpT10_ENKUlT_T0_E_clISt17integral_constantIbLb0EES16_EEDaS11_S12_EUlS11_E_NS1_11comp_targetILNS1_3genE10ELNS1_11target_archE1200ELNS1_3gpuE4ELNS1_3repE0EEENS1_30default_config_static_selectorELNS0_4arch9wavefront6targetE0EEEvT1_.numbered_sgpr, 0
	.set _ZN7rocprim17ROCPRIM_400000_NS6detail17trampoline_kernelINS0_14default_configENS1_25partition_config_selectorILNS1_17partition_subalgoE8ElNS0_10empty_typeEbEEZZNS1_14partition_implILS5_8ELb0ES3_jPKlPS6_PKS6_NS0_5tupleIJPlS6_EEENSE_IJSB_SB_EEENS0_18inequality_wrapperIN6hipcub16HIPCUB_304000_NS8EqualityEEESF_JS6_EEE10hipError_tPvRmT3_T4_T5_T6_T7_T9_mT8_P12ihipStream_tbDpT10_ENKUlT_T0_E_clISt17integral_constantIbLb0EES16_EEDaS11_S12_EUlS11_E_NS1_11comp_targetILNS1_3genE10ELNS1_11target_archE1200ELNS1_3gpuE4ELNS1_3repE0EEENS1_30default_config_static_selectorELNS0_4arch9wavefront6targetE0EEEvT1_.num_named_barrier, 0
	.set _ZN7rocprim17ROCPRIM_400000_NS6detail17trampoline_kernelINS0_14default_configENS1_25partition_config_selectorILNS1_17partition_subalgoE8ElNS0_10empty_typeEbEEZZNS1_14partition_implILS5_8ELb0ES3_jPKlPS6_PKS6_NS0_5tupleIJPlS6_EEENSE_IJSB_SB_EEENS0_18inequality_wrapperIN6hipcub16HIPCUB_304000_NS8EqualityEEESF_JS6_EEE10hipError_tPvRmT3_T4_T5_T6_T7_T9_mT8_P12ihipStream_tbDpT10_ENKUlT_T0_E_clISt17integral_constantIbLb0EES16_EEDaS11_S12_EUlS11_E_NS1_11comp_targetILNS1_3genE10ELNS1_11target_archE1200ELNS1_3gpuE4ELNS1_3repE0EEENS1_30default_config_static_selectorELNS0_4arch9wavefront6targetE0EEEvT1_.private_seg_size, 0
	.set _ZN7rocprim17ROCPRIM_400000_NS6detail17trampoline_kernelINS0_14default_configENS1_25partition_config_selectorILNS1_17partition_subalgoE8ElNS0_10empty_typeEbEEZZNS1_14partition_implILS5_8ELb0ES3_jPKlPS6_PKS6_NS0_5tupleIJPlS6_EEENSE_IJSB_SB_EEENS0_18inequality_wrapperIN6hipcub16HIPCUB_304000_NS8EqualityEEESF_JS6_EEE10hipError_tPvRmT3_T4_T5_T6_T7_T9_mT8_P12ihipStream_tbDpT10_ENKUlT_T0_E_clISt17integral_constantIbLb0EES16_EEDaS11_S12_EUlS11_E_NS1_11comp_targetILNS1_3genE10ELNS1_11target_archE1200ELNS1_3gpuE4ELNS1_3repE0EEENS1_30default_config_static_selectorELNS0_4arch9wavefront6targetE0EEEvT1_.uses_vcc, 0
	.set _ZN7rocprim17ROCPRIM_400000_NS6detail17trampoline_kernelINS0_14default_configENS1_25partition_config_selectorILNS1_17partition_subalgoE8ElNS0_10empty_typeEbEEZZNS1_14partition_implILS5_8ELb0ES3_jPKlPS6_PKS6_NS0_5tupleIJPlS6_EEENSE_IJSB_SB_EEENS0_18inequality_wrapperIN6hipcub16HIPCUB_304000_NS8EqualityEEESF_JS6_EEE10hipError_tPvRmT3_T4_T5_T6_T7_T9_mT8_P12ihipStream_tbDpT10_ENKUlT_T0_E_clISt17integral_constantIbLb0EES16_EEDaS11_S12_EUlS11_E_NS1_11comp_targetILNS1_3genE10ELNS1_11target_archE1200ELNS1_3gpuE4ELNS1_3repE0EEENS1_30default_config_static_selectorELNS0_4arch9wavefront6targetE0EEEvT1_.uses_flat_scratch, 0
	.set _ZN7rocprim17ROCPRIM_400000_NS6detail17trampoline_kernelINS0_14default_configENS1_25partition_config_selectorILNS1_17partition_subalgoE8ElNS0_10empty_typeEbEEZZNS1_14partition_implILS5_8ELb0ES3_jPKlPS6_PKS6_NS0_5tupleIJPlS6_EEENSE_IJSB_SB_EEENS0_18inequality_wrapperIN6hipcub16HIPCUB_304000_NS8EqualityEEESF_JS6_EEE10hipError_tPvRmT3_T4_T5_T6_T7_T9_mT8_P12ihipStream_tbDpT10_ENKUlT_T0_E_clISt17integral_constantIbLb0EES16_EEDaS11_S12_EUlS11_E_NS1_11comp_targetILNS1_3genE10ELNS1_11target_archE1200ELNS1_3gpuE4ELNS1_3repE0EEENS1_30default_config_static_selectorELNS0_4arch9wavefront6targetE0EEEvT1_.has_dyn_sized_stack, 0
	.set _ZN7rocprim17ROCPRIM_400000_NS6detail17trampoline_kernelINS0_14default_configENS1_25partition_config_selectorILNS1_17partition_subalgoE8ElNS0_10empty_typeEbEEZZNS1_14partition_implILS5_8ELb0ES3_jPKlPS6_PKS6_NS0_5tupleIJPlS6_EEENSE_IJSB_SB_EEENS0_18inequality_wrapperIN6hipcub16HIPCUB_304000_NS8EqualityEEESF_JS6_EEE10hipError_tPvRmT3_T4_T5_T6_T7_T9_mT8_P12ihipStream_tbDpT10_ENKUlT_T0_E_clISt17integral_constantIbLb0EES16_EEDaS11_S12_EUlS11_E_NS1_11comp_targetILNS1_3genE10ELNS1_11target_archE1200ELNS1_3gpuE4ELNS1_3repE0EEENS1_30default_config_static_selectorELNS0_4arch9wavefront6targetE0EEEvT1_.has_recursion, 0
	.set _ZN7rocprim17ROCPRIM_400000_NS6detail17trampoline_kernelINS0_14default_configENS1_25partition_config_selectorILNS1_17partition_subalgoE8ElNS0_10empty_typeEbEEZZNS1_14partition_implILS5_8ELb0ES3_jPKlPS6_PKS6_NS0_5tupleIJPlS6_EEENSE_IJSB_SB_EEENS0_18inequality_wrapperIN6hipcub16HIPCUB_304000_NS8EqualityEEESF_JS6_EEE10hipError_tPvRmT3_T4_T5_T6_T7_T9_mT8_P12ihipStream_tbDpT10_ENKUlT_T0_E_clISt17integral_constantIbLb0EES16_EEDaS11_S12_EUlS11_E_NS1_11comp_targetILNS1_3genE10ELNS1_11target_archE1200ELNS1_3gpuE4ELNS1_3repE0EEENS1_30default_config_static_selectorELNS0_4arch9wavefront6targetE0EEEvT1_.has_indirect_call, 0
	.section	.AMDGPU.csdata,"",@progbits
; Kernel info:
; codeLenInByte = 0
; TotalNumSgprs: 0
; NumVgprs: 0
; ScratchSize: 0
; MemoryBound: 0
; FloatMode: 240
; IeeeMode: 1
; LDSByteSize: 0 bytes/workgroup (compile time only)
; SGPRBlocks: 0
; VGPRBlocks: 0
; NumSGPRsForWavesPerEU: 1
; NumVGPRsForWavesPerEU: 1
; Occupancy: 16
; WaveLimiterHint : 0
; COMPUTE_PGM_RSRC2:SCRATCH_EN: 0
; COMPUTE_PGM_RSRC2:USER_SGPR: 6
; COMPUTE_PGM_RSRC2:TRAP_HANDLER: 0
; COMPUTE_PGM_RSRC2:TGID_X_EN: 1
; COMPUTE_PGM_RSRC2:TGID_Y_EN: 0
; COMPUTE_PGM_RSRC2:TGID_Z_EN: 0
; COMPUTE_PGM_RSRC2:TIDIG_COMP_CNT: 0
	.section	.text._ZN7rocprim17ROCPRIM_400000_NS6detail17trampoline_kernelINS0_14default_configENS1_25partition_config_selectorILNS1_17partition_subalgoE8ElNS0_10empty_typeEbEEZZNS1_14partition_implILS5_8ELb0ES3_jPKlPS6_PKS6_NS0_5tupleIJPlS6_EEENSE_IJSB_SB_EEENS0_18inequality_wrapperIN6hipcub16HIPCUB_304000_NS8EqualityEEESF_JS6_EEE10hipError_tPvRmT3_T4_T5_T6_T7_T9_mT8_P12ihipStream_tbDpT10_ENKUlT_T0_E_clISt17integral_constantIbLb0EES16_EEDaS11_S12_EUlS11_E_NS1_11comp_targetILNS1_3genE9ELNS1_11target_archE1100ELNS1_3gpuE3ELNS1_3repE0EEENS1_30default_config_static_selectorELNS0_4arch9wavefront6targetE0EEEvT1_,"axG",@progbits,_ZN7rocprim17ROCPRIM_400000_NS6detail17trampoline_kernelINS0_14default_configENS1_25partition_config_selectorILNS1_17partition_subalgoE8ElNS0_10empty_typeEbEEZZNS1_14partition_implILS5_8ELb0ES3_jPKlPS6_PKS6_NS0_5tupleIJPlS6_EEENSE_IJSB_SB_EEENS0_18inequality_wrapperIN6hipcub16HIPCUB_304000_NS8EqualityEEESF_JS6_EEE10hipError_tPvRmT3_T4_T5_T6_T7_T9_mT8_P12ihipStream_tbDpT10_ENKUlT_T0_E_clISt17integral_constantIbLb0EES16_EEDaS11_S12_EUlS11_E_NS1_11comp_targetILNS1_3genE9ELNS1_11target_archE1100ELNS1_3gpuE3ELNS1_3repE0EEENS1_30default_config_static_selectorELNS0_4arch9wavefront6targetE0EEEvT1_,comdat
	.protected	_ZN7rocprim17ROCPRIM_400000_NS6detail17trampoline_kernelINS0_14default_configENS1_25partition_config_selectorILNS1_17partition_subalgoE8ElNS0_10empty_typeEbEEZZNS1_14partition_implILS5_8ELb0ES3_jPKlPS6_PKS6_NS0_5tupleIJPlS6_EEENSE_IJSB_SB_EEENS0_18inequality_wrapperIN6hipcub16HIPCUB_304000_NS8EqualityEEESF_JS6_EEE10hipError_tPvRmT3_T4_T5_T6_T7_T9_mT8_P12ihipStream_tbDpT10_ENKUlT_T0_E_clISt17integral_constantIbLb0EES16_EEDaS11_S12_EUlS11_E_NS1_11comp_targetILNS1_3genE9ELNS1_11target_archE1100ELNS1_3gpuE3ELNS1_3repE0EEENS1_30default_config_static_selectorELNS0_4arch9wavefront6targetE0EEEvT1_ ; -- Begin function _ZN7rocprim17ROCPRIM_400000_NS6detail17trampoline_kernelINS0_14default_configENS1_25partition_config_selectorILNS1_17partition_subalgoE8ElNS0_10empty_typeEbEEZZNS1_14partition_implILS5_8ELb0ES3_jPKlPS6_PKS6_NS0_5tupleIJPlS6_EEENSE_IJSB_SB_EEENS0_18inequality_wrapperIN6hipcub16HIPCUB_304000_NS8EqualityEEESF_JS6_EEE10hipError_tPvRmT3_T4_T5_T6_T7_T9_mT8_P12ihipStream_tbDpT10_ENKUlT_T0_E_clISt17integral_constantIbLb0EES16_EEDaS11_S12_EUlS11_E_NS1_11comp_targetILNS1_3genE9ELNS1_11target_archE1100ELNS1_3gpuE3ELNS1_3repE0EEENS1_30default_config_static_selectorELNS0_4arch9wavefront6targetE0EEEvT1_
	.globl	_ZN7rocprim17ROCPRIM_400000_NS6detail17trampoline_kernelINS0_14default_configENS1_25partition_config_selectorILNS1_17partition_subalgoE8ElNS0_10empty_typeEbEEZZNS1_14partition_implILS5_8ELb0ES3_jPKlPS6_PKS6_NS0_5tupleIJPlS6_EEENSE_IJSB_SB_EEENS0_18inequality_wrapperIN6hipcub16HIPCUB_304000_NS8EqualityEEESF_JS6_EEE10hipError_tPvRmT3_T4_T5_T6_T7_T9_mT8_P12ihipStream_tbDpT10_ENKUlT_T0_E_clISt17integral_constantIbLb0EES16_EEDaS11_S12_EUlS11_E_NS1_11comp_targetILNS1_3genE9ELNS1_11target_archE1100ELNS1_3gpuE3ELNS1_3repE0EEENS1_30default_config_static_selectorELNS0_4arch9wavefront6targetE0EEEvT1_
	.p2align	8
	.type	_ZN7rocprim17ROCPRIM_400000_NS6detail17trampoline_kernelINS0_14default_configENS1_25partition_config_selectorILNS1_17partition_subalgoE8ElNS0_10empty_typeEbEEZZNS1_14partition_implILS5_8ELb0ES3_jPKlPS6_PKS6_NS0_5tupleIJPlS6_EEENSE_IJSB_SB_EEENS0_18inequality_wrapperIN6hipcub16HIPCUB_304000_NS8EqualityEEESF_JS6_EEE10hipError_tPvRmT3_T4_T5_T6_T7_T9_mT8_P12ihipStream_tbDpT10_ENKUlT_T0_E_clISt17integral_constantIbLb0EES16_EEDaS11_S12_EUlS11_E_NS1_11comp_targetILNS1_3genE9ELNS1_11target_archE1100ELNS1_3gpuE3ELNS1_3repE0EEENS1_30default_config_static_selectorELNS0_4arch9wavefront6targetE0EEEvT1_,@function
_ZN7rocprim17ROCPRIM_400000_NS6detail17trampoline_kernelINS0_14default_configENS1_25partition_config_selectorILNS1_17partition_subalgoE8ElNS0_10empty_typeEbEEZZNS1_14partition_implILS5_8ELb0ES3_jPKlPS6_PKS6_NS0_5tupleIJPlS6_EEENSE_IJSB_SB_EEENS0_18inequality_wrapperIN6hipcub16HIPCUB_304000_NS8EqualityEEESF_JS6_EEE10hipError_tPvRmT3_T4_T5_T6_T7_T9_mT8_P12ihipStream_tbDpT10_ENKUlT_T0_E_clISt17integral_constantIbLb0EES16_EEDaS11_S12_EUlS11_E_NS1_11comp_targetILNS1_3genE9ELNS1_11target_archE1100ELNS1_3gpuE3ELNS1_3repE0EEENS1_30default_config_static_selectorELNS0_4arch9wavefront6targetE0EEEvT1_: ; @_ZN7rocprim17ROCPRIM_400000_NS6detail17trampoline_kernelINS0_14default_configENS1_25partition_config_selectorILNS1_17partition_subalgoE8ElNS0_10empty_typeEbEEZZNS1_14partition_implILS5_8ELb0ES3_jPKlPS6_PKS6_NS0_5tupleIJPlS6_EEENSE_IJSB_SB_EEENS0_18inequality_wrapperIN6hipcub16HIPCUB_304000_NS8EqualityEEESF_JS6_EEE10hipError_tPvRmT3_T4_T5_T6_T7_T9_mT8_P12ihipStream_tbDpT10_ENKUlT_T0_E_clISt17integral_constantIbLb0EES16_EEDaS11_S12_EUlS11_E_NS1_11comp_targetILNS1_3genE9ELNS1_11target_archE1100ELNS1_3gpuE3ELNS1_3repE0EEENS1_30default_config_static_selectorELNS0_4arch9wavefront6targetE0EEEvT1_
; %bb.0:
	.section	.rodata,"a",@progbits
	.p2align	6, 0x0
	.amdhsa_kernel _ZN7rocprim17ROCPRIM_400000_NS6detail17trampoline_kernelINS0_14default_configENS1_25partition_config_selectorILNS1_17partition_subalgoE8ElNS0_10empty_typeEbEEZZNS1_14partition_implILS5_8ELb0ES3_jPKlPS6_PKS6_NS0_5tupleIJPlS6_EEENSE_IJSB_SB_EEENS0_18inequality_wrapperIN6hipcub16HIPCUB_304000_NS8EqualityEEESF_JS6_EEE10hipError_tPvRmT3_T4_T5_T6_T7_T9_mT8_P12ihipStream_tbDpT10_ENKUlT_T0_E_clISt17integral_constantIbLb0EES16_EEDaS11_S12_EUlS11_E_NS1_11comp_targetILNS1_3genE9ELNS1_11target_archE1100ELNS1_3gpuE3ELNS1_3repE0EEENS1_30default_config_static_selectorELNS0_4arch9wavefront6targetE0EEEvT1_
		.amdhsa_group_segment_fixed_size 0
		.amdhsa_private_segment_fixed_size 0
		.amdhsa_kernarg_size 112
		.amdhsa_user_sgpr_count 6
		.amdhsa_user_sgpr_private_segment_buffer 1
		.amdhsa_user_sgpr_dispatch_ptr 0
		.amdhsa_user_sgpr_queue_ptr 0
		.amdhsa_user_sgpr_kernarg_segment_ptr 1
		.amdhsa_user_sgpr_dispatch_id 0
		.amdhsa_user_sgpr_flat_scratch_init 0
		.amdhsa_user_sgpr_private_segment_size 0
		.amdhsa_wavefront_size32 1
		.amdhsa_uses_dynamic_stack 0
		.amdhsa_system_sgpr_private_segment_wavefront_offset 0
		.amdhsa_system_sgpr_workgroup_id_x 1
		.amdhsa_system_sgpr_workgroup_id_y 0
		.amdhsa_system_sgpr_workgroup_id_z 0
		.amdhsa_system_sgpr_workgroup_info 0
		.amdhsa_system_vgpr_workitem_id 0
		.amdhsa_next_free_vgpr 1
		.amdhsa_next_free_sgpr 1
		.amdhsa_reserve_vcc 0
		.amdhsa_reserve_flat_scratch 0
		.amdhsa_float_round_mode_32 0
		.amdhsa_float_round_mode_16_64 0
		.amdhsa_float_denorm_mode_32 3
		.amdhsa_float_denorm_mode_16_64 3
		.amdhsa_dx10_clamp 1
		.amdhsa_ieee_mode 1
		.amdhsa_fp16_overflow 0
		.amdhsa_workgroup_processor_mode 1
		.amdhsa_memory_ordered 1
		.amdhsa_forward_progress 1
		.amdhsa_shared_vgpr_count 0
		.amdhsa_exception_fp_ieee_invalid_op 0
		.amdhsa_exception_fp_denorm_src 0
		.amdhsa_exception_fp_ieee_div_zero 0
		.amdhsa_exception_fp_ieee_overflow 0
		.amdhsa_exception_fp_ieee_underflow 0
		.amdhsa_exception_fp_ieee_inexact 0
		.amdhsa_exception_int_div_zero 0
	.end_amdhsa_kernel
	.section	.text._ZN7rocprim17ROCPRIM_400000_NS6detail17trampoline_kernelINS0_14default_configENS1_25partition_config_selectorILNS1_17partition_subalgoE8ElNS0_10empty_typeEbEEZZNS1_14partition_implILS5_8ELb0ES3_jPKlPS6_PKS6_NS0_5tupleIJPlS6_EEENSE_IJSB_SB_EEENS0_18inequality_wrapperIN6hipcub16HIPCUB_304000_NS8EqualityEEESF_JS6_EEE10hipError_tPvRmT3_T4_T5_T6_T7_T9_mT8_P12ihipStream_tbDpT10_ENKUlT_T0_E_clISt17integral_constantIbLb0EES16_EEDaS11_S12_EUlS11_E_NS1_11comp_targetILNS1_3genE9ELNS1_11target_archE1100ELNS1_3gpuE3ELNS1_3repE0EEENS1_30default_config_static_selectorELNS0_4arch9wavefront6targetE0EEEvT1_,"axG",@progbits,_ZN7rocprim17ROCPRIM_400000_NS6detail17trampoline_kernelINS0_14default_configENS1_25partition_config_selectorILNS1_17partition_subalgoE8ElNS0_10empty_typeEbEEZZNS1_14partition_implILS5_8ELb0ES3_jPKlPS6_PKS6_NS0_5tupleIJPlS6_EEENSE_IJSB_SB_EEENS0_18inequality_wrapperIN6hipcub16HIPCUB_304000_NS8EqualityEEESF_JS6_EEE10hipError_tPvRmT3_T4_T5_T6_T7_T9_mT8_P12ihipStream_tbDpT10_ENKUlT_T0_E_clISt17integral_constantIbLb0EES16_EEDaS11_S12_EUlS11_E_NS1_11comp_targetILNS1_3genE9ELNS1_11target_archE1100ELNS1_3gpuE3ELNS1_3repE0EEENS1_30default_config_static_selectorELNS0_4arch9wavefront6targetE0EEEvT1_,comdat
.Lfunc_end232:
	.size	_ZN7rocprim17ROCPRIM_400000_NS6detail17trampoline_kernelINS0_14default_configENS1_25partition_config_selectorILNS1_17partition_subalgoE8ElNS0_10empty_typeEbEEZZNS1_14partition_implILS5_8ELb0ES3_jPKlPS6_PKS6_NS0_5tupleIJPlS6_EEENSE_IJSB_SB_EEENS0_18inequality_wrapperIN6hipcub16HIPCUB_304000_NS8EqualityEEESF_JS6_EEE10hipError_tPvRmT3_T4_T5_T6_T7_T9_mT8_P12ihipStream_tbDpT10_ENKUlT_T0_E_clISt17integral_constantIbLb0EES16_EEDaS11_S12_EUlS11_E_NS1_11comp_targetILNS1_3genE9ELNS1_11target_archE1100ELNS1_3gpuE3ELNS1_3repE0EEENS1_30default_config_static_selectorELNS0_4arch9wavefront6targetE0EEEvT1_, .Lfunc_end232-_ZN7rocprim17ROCPRIM_400000_NS6detail17trampoline_kernelINS0_14default_configENS1_25partition_config_selectorILNS1_17partition_subalgoE8ElNS0_10empty_typeEbEEZZNS1_14partition_implILS5_8ELb0ES3_jPKlPS6_PKS6_NS0_5tupleIJPlS6_EEENSE_IJSB_SB_EEENS0_18inequality_wrapperIN6hipcub16HIPCUB_304000_NS8EqualityEEESF_JS6_EEE10hipError_tPvRmT3_T4_T5_T6_T7_T9_mT8_P12ihipStream_tbDpT10_ENKUlT_T0_E_clISt17integral_constantIbLb0EES16_EEDaS11_S12_EUlS11_E_NS1_11comp_targetILNS1_3genE9ELNS1_11target_archE1100ELNS1_3gpuE3ELNS1_3repE0EEENS1_30default_config_static_selectorELNS0_4arch9wavefront6targetE0EEEvT1_
                                        ; -- End function
	.set _ZN7rocprim17ROCPRIM_400000_NS6detail17trampoline_kernelINS0_14default_configENS1_25partition_config_selectorILNS1_17partition_subalgoE8ElNS0_10empty_typeEbEEZZNS1_14partition_implILS5_8ELb0ES3_jPKlPS6_PKS6_NS0_5tupleIJPlS6_EEENSE_IJSB_SB_EEENS0_18inequality_wrapperIN6hipcub16HIPCUB_304000_NS8EqualityEEESF_JS6_EEE10hipError_tPvRmT3_T4_T5_T6_T7_T9_mT8_P12ihipStream_tbDpT10_ENKUlT_T0_E_clISt17integral_constantIbLb0EES16_EEDaS11_S12_EUlS11_E_NS1_11comp_targetILNS1_3genE9ELNS1_11target_archE1100ELNS1_3gpuE3ELNS1_3repE0EEENS1_30default_config_static_selectorELNS0_4arch9wavefront6targetE0EEEvT1_.num_vgpr, 0
	.set _ZN7rocprim17ROCPRIM_400000_NS6detail17trampoline_kernelINS0_14default_configENS1_25partition_config_selectorILNS1_17partition_subalgoE8ElNS0_10empty_typeEbEEZZNS1_14partition_implILS5_8ELb0ES3_jPKlPS6_PKS6_NS0_5tupleIJPlS6_EEENSE_IJSB_SB_EEENS0_18inequality_wrapperIN6hipcub16HIPCUB_304000_NS8EqualityEEESF_JS6_EEE10hipError_tPvRmT3_T4_T5_T6_T7_T9_mT8_P12ihipStream_tbDpT10_ENKUlT_T0_E_clISt17integral_constantIbLb0EES16_EEDaS11_S12_EUlS11_E_NS1_11comp_targetILNS1_3genE9ELNS1_11target_archE1100ELNS1_3gpuE3ELNS1_3repE0EEENS1_30default_config_static_selectorELNS0_4arch9wavefront6targetE0EEEvT1_.num_agpr, 0
	.set _ZN7rocprim17ROCPRIM_400000_NS6detail17trampoline_kernelINS0_14default_configENS1_25partition_config_selectorILNS1_17partition_subalgoE8ElNS0_10empty_typeEbEEZZNS1_14partition_implILS5_8ELb0ES3_jPKlPS6_PKS6_NS0_5tupleIJPlS6_EEENSE_IJSB_SB_EEENS0_18inequality_wrapperIN6hipcub16HIPCUB_304000_NS8EqualityEEESF_JS6_EEE10hipError_tPvRmT3_T4_T5_T6_T7_T9_mT8_P12ihipStream_tbDpT10_ENKUlT_T0_E_clISt17integral_constantIbLb0EES16_EEDaS11_S12_EUlS11_E_NS1_11comp_targetILNS1_3genE9ELNS1_11target_archE1100ELNS1_3gpuE3ELNS1_3repE0EEENS1_30default_config_static_selectorELNS0_4arch9wavefront6targetE0EEEvT1_.numbered_sgpr, 0
	.set _ZN7rocprim17ROCPRIM_400000_NS6detail17trampoline_kernelINS0_14default_configENS1_25partition_config_selectorILNS1_17partition_subalgoE8ElNS0_10empty_typeEbEEZZNS1_14partition_implILS5_8ELb0ES3_jPKlPS6_PKS6_NS0_5tupleIJPlS6_EEENSE_IJSB_SB_EEENS0_18inequality_wrapperIN6hipcub16HIPCUB_304000_NS8EqualityEEESF_JS6_EEE10hipError_tPvRmT3_T4_T5_T6_T7_T9_mT8_P12ihipStream_tbDpT10_ENKUlT_T0_E_clISt17integral_constantIbLb0EES16_EEDaS11_S12_EUlS11_E_NS1_11comp_targetILNS1_3genE9ELNS1_11target_archE1100ELNS1_3gpuE3ELNS1_3repE0EEENS1_30default_config_static_selectorELNS0_4arch9wavefront6targetE0EEEvT1_.num_named_barrier, 0
	.set _ZN7rocprim17ROCPRIM_400000_NS6detail17trampoline_kernelINS0_14default_configENS1_25partition_config_selectorILNS1_17partition_subalgoE8ElNS0_10empty_typeEbEEZZNS1_14partition_implILS5_8ELb0ES3_jPKlPS6_PKS6_NS0_5tupleIJPlS6_EEENSE_IJSB_SB_EEENS0_18inequality_wrapperIN6hipcub16HIPCUB_304000_NS8EqualityEEESF_JS6_EEE10hipError_tPvRmT3_T4_T5_T6_T7_T9_mT8_P12ihipStream_tbDpT10_ENKUlT_T0_E_clISt17integral_constantIbLb0EES16_EEDaS11_S12_EUlS11_E_NS1_11comp_targetILNS1_3genE9ELNS1_11target_archE1100ELNS1_3gpuE3ELNS1_3repE0EEENS1_30default_config_static_selectorELNS0_4arch9wavefront6targetE0EEEvT1_.private_seg_size, 0
	.set _ZN7rocprim17ROCPRIM_400000_NS6detail17trampoline_kernelINS0_14default_configENS1_25partition_config_selectorILNS1_17partition_subalgoE8ElNS0_10empty_typeEbEEZZNS1_14partition_implILS5_8ELb0ES3_jPKlPS6_PKS6_NS0_5tupleIJPlS6_EEENSE_IJSB_SB_EEENS0_18inequality_wrapperIN6hipcub16HIPCUB_304000_NS8EqualityEEESF_JS6_EEE10hipError_tPvRmT3_T4_T5_T6_T7_T9_mT8_P12ihipStream_tbDpT10_ENKUlT_T0_E_clISt17integral_constantIbLb0EES16_EEDaS11_S12_EUlS11_E_NS1_11comp_targetILNS1_3genE9ELNS1_11target_archE1100ELNS1_3gpuE3ELNS1_3repE0EEENS1_30default_config_static_selectorELNS0_4arch9wavefront6targetE0EEEvT1_.uses_vcc, 0
	.set _ZN7rocprim17ROCPRIM_400000_NS6detail17trampoline_kernelINS0_14default_configENS1_25partition_config_selectorILNS1_17partition_subalgoE8ElNS0_10empty_typeEbEEZZNS1_14partition_implILS5_8ELb0ES3_jPKlPS6_PKS6_NS0_5tupleIJPlS6_EEENSE_IJSB_SB_EEENS0_18inequality_wrapperIN6hipcub16HIPCUB_304000_NS8EqualityEEESF_JS6_EEE10hipError_tPvRmT3_T4_T5_T6_T7_T9_mT8_P12ihipStream_tbDpT10_ENKUlT_T0_E_clISt17integral_constantIbLb0EES16_EEDaS11_S12_EUlS11_E_NS1_11comp_targetILNS1_3genE9ELNS1_11target_archE1100ELNS1_3gpuE3ELNS1_3repE0EEENS1_30default_config_static_selectorELNS0_4arch9wavefront6targetE0EEEvT1_.uses_flat_scratch, 0
	.set _ZN7rocprim17ROCPRIM_400000_NS6detail17trampoline_kernelINS0_14default_configENS1_25partition_config_selectorILNS1_17partition_subalgoE8ElNS0_10empty_typeEbEEZZNS1_14partition_implILS5_8ELb0ES3_jPKlPS6_PKS6_NS0_5tupleIJPlS6_EEENSE_IJSB_SB_EEENS0_18inequality_wrapperIN6hipcub16HIPCUB_304000_NS8EqualityEEESF_JS6_EEE10hipError_tPvRmT3_T4_T5_T6_T7_T9_mT8_P12ihipStream_tbDpT10_ENKUlT_T0_E_clISt17integral_constantIbLb0EES16_EEDaS11_S12_EUlS11_E_NS1_11comp_targetILNS1_3genE9ELNS1_11target_archE1100ELNS1_3gpuE3ELNS1_3repE0EEENS1_30default_config_static_selectorELNS0_4arch9wavefront6targetE0EEEvT1_.has_dyn_sized_stack, 0
	.set _ZN7rocprim17ROCPRIM_400000_NS6detail17trampoline_kernelINS0_14default_configENS1_25partition_config_selectorILNS1_17partition_subalgoE8ElNS0_10empty_typeEbEEZZNS1_14partition_implILS5_8ELb0ES3_jPKlPS6_PKS6_NS0_5tupleIJPlS6_EEENSE_IJSB_SB_EEENS0_18inequality_wrapperIN6hipcub16HIPCUB_304000_NS8EqualityEEESF_JS6_EEE10hipError_tPvRmT3_T4_T5_T6_T7_T9_mT8_P12ihipStream_tbDpT10_ENKUlT_T0_E_clISt17integral_constantIbLb0EES16_EEDaS11_S12_EUlS11_E_NS1_11comp_targetILNS1_3genE9ELNS1_11target_archE1100ELNS1_3gpuE3ELNS1_3repE0EEENS1_30default_config_static_selectorELNS0_4arch9wavefront6targetE0EEEvT1_.has_recursion, 0
	.set _ZN7rocprim17ROCPRIM_400000_NS6detail17trampoline_kernelINS0_14default_configENS1_25partition_config_selectorILNS1_17partition_subalgoE8ElNS0_10empty_typeEbEEZZNS1_14partition_implILS5_8ELb0ES3_jPKlPS6_PKS6_NS0_5tupleIJPlS6_EEENSE_IJSB_SB_EEENS0_18inequality_wrapperIN6hipcub16HIPCUB_304000_NS8EqualityEEESF_JS6_EEE10hipError_tPvRmT3_T4_T5_T6_T7_T9_mT8_P12ihipStream_tbDpT10_ENKUlT_T0_E_clISt17integral_constantIbLb0EES16_EEDaS11_S12_EUlS11_E_NS1_11comp_targetILNS1_3genE9ELNS1_11target_archE1100ELNS1_3gpuE3ELNS1_3repE0EEENS1_30default_config_static_selectorELNS0_4arch9wavefront6targetE0EEEvT1_.has_indirect_call, 0
	.section	.AMDGPU.csdata,"",@progbits
; Kernel info:
; codeLenInByte = 0
; TotalNumSgprs: 0
; NumVgprs: 0
; ScratchSize: 0
; MemoryBound: 0
; FloatMode: 240
; IeeeMode: 1
; LDSByteSize: 0 bytes/workgroup (compile time only)
; SGPRBlocks: 0
; VGPRBlocks: 0
; NumSGPRsForWavesPerEU: 1
; NumVGPRsForWavesPerEU: 1
; Occupancy: 16
; WaveLimiterHint : 0
; COMPUTE_PGM_RSRC2:SCRATCH_EN: 0
; COMPUTE_PGM_RSRC2:USER_SGPR: 6
; COMPUTE_PGM_RSRC2:TRAP_HANDLER: 0
; COMPUTE_PGM_RSRC2:TGID_X_EN: 1
; COMPUTE_PGM_RSRC2:TGID_Y_EN: 0
; COMPUTE_PGM_RSRC2:TGID_Z_EN: 0
; COMPUTE_PGM_RSRC2:TIDIG_COMP_CNT: 0
	.section	.text._ZN7rocprim17ROCPRIM_400000_NS6detail17trampoline_kernelINS0_14default_configENS1_25partition_config_selectorILNS1_17partition_subalgoE8ElNS0_10empty_typeEbEEZZNS1_14partition_implILS5_8ELb0ES3_jPKlPS6_PKS6_NS0_5tupleIJPlS6_EEENSE_IJSB_SB_EEENS0_18inequality_wrapperIN6hipcub16HIPCUB_304000_NS8EqualityEEESF_JS6_EEE10hipError_tPvRmT3_T4_T5_T6_T7_T9_mT8_P12ihipStream_tbDpT10_ENKUlT_T0_E_clISt17integral_constantIbLb0EES16_EEDaS11_S12_EUlS11_E_NS1_11comp_targetILNS1_3genE8ELNS1_11target_archE1030ELNS1_3gpuE2ELNS1_3repE0EEENS1_30default_config_static_selectorELNS0_4arch9wavefront6targetE0EEEvT1_,"axG",@progbits,_ZN7rocprim17ROCPRIM_400000_NS6detail17trampoline_kernelINS0_14default_configENS1_25partition_config_selectorILNS1_17partition_subalgoE8ElNS0_10empty_typeEbEEZZNS1_14partition_implILS5_8ELb0ES3_jPKlPS6_PKS6_NS0_5tupleIJPlS6_EEENSE_IJSB_SB_EEENS0_18inequality_wrapperIN6hipcub16HIPCUB_304000_NS8EqualityEEESF_JS6_EEE10hipError_tPvRmT3_T4_T5_T6_T7_T9_mT8_P12ihipStream_tbDpT10_ENKUlT_T0_E_clISt17integral_constantIbLb0EES16_EEDaS11_S12_EUlS11_E_NS1_11comp_targetILNS1_3genE8ELNS1_11target_archE1030ELNS1_3gpuE2ELNS1_3repE0EEENS1_30default_config_static_selectorELNS0_4arch9wavefront6targetE0EEEvT1_,comdat
	.protected	_ZN7rocprim17ROCPRIM_400000_NS6detail17trampoline_kernelINS0_14default_configENS1_25partition_config_selectorILNS1_17partition_subalgoE8ElNS0_10empty_typeEbEEZZNS1_14partition_implILS5_8ELb0ES3_jPKlPS6_PKS6_NS0_5tupleIJPlS6_EEENSE_IJSB_SB_EEENS0_18inequality_wrapperIN6hipcub16HIPCUB_304000_NS8EqualityEEESF_JS6_EEE10hipError_tPvRmT3_T4_T5_T6_T7_T9_mT8_P12ihipStream_tbDpT10_ENKUlT_T0_E_clISt17integral_constantIbLb0EES16_EEDaS11_S12_EUlS11_E_NS1_11comp_targetILNS1_3genE8ELNS1_11target_archE1030ELNS1_3gpuE2ELNS1_3repE0EEENS1_30default_config_static_selectorELNS0_4arch9wavefront6targetE0EEEvT1_ ; -- Begin function _ZN7rocprim17ROCPRIM_400000_NS6detail17trampoline_kernelINS0_14default_configENS1_25partition_config_selectorILNS1_17partition_subalgoE8ElNS0_10empty_typeEbEEZZNS1_14partition_implILS5_8ELb0ES3_jPKlPS6_PKS6_NS0_5tupleIJPlS6_EEENSE_IJSB_SB_EEENS0_18inequality_wrapperIN6hipcub16HIPCUB_304000_NS8EqualityEEESF_JS6_EEE10hipError_tPvRmT3_T4_T5_T6_T7_T9_mT8_P12ihipStream_tbDpT10_ENKUlT_T0_E_clISt17integral_constantIbLb0EES16_EEDaS11_S12_EUlS11_E_NS1_11comp_targetILNS1_3genE8ELNS1_11target_archE1030ELNS1_3gpuE2ELNS1_3repE0EEENS1_30default_config_static_selectorELNS0_4arch9wavefront6targetE0EEEvT1_
	.globl	_ZN7rocprim17ROCPRIM_400000_NS6detail17trampoline_kernelINS0_14default_configENS1_25partition_config_selectorILNS1_17partition_subalgoE8ElNS0_10empty_typeEbEEZZNS1_14partition_implILS5_8ELb0ES3_jPKlPS6_PKS6_NS0_5tupleIJPlS6_EEENSE_IJSB_SB_EEENS0_18inequality_wrapperIN6hipcub16HIPCUB_304000_NS8EqualityEEESF_JS6_EEE10hipError_tPvRmT3_T4_T5_T6_T7_T9_mT8_P12ihipStream_tbDpT10_ENKUlT_T0_E_clISt17integral_constantIbLb0EES16_EEDaS11_S12_EUlS11_E_NS1_11comp_targetILNS1_3genE8ELNS1_11target_archE1030ELNS1_3gpuE2ELNS1_3repE0EEENS1_30default_config_static_selectorELNS0_4arch9wavefront6targetE0EEEvT1_
	.p2align	8
	.type	_ZN7rocprim17ROCPRIM_400000_NS6detail17trampoline_kernelINS0_14default_configENS1_25partition_config_selectorILNS1_17partition_subalgoE8ElNS0_10empty_typeEbEEZZNS1_14partition_implILS5_8ELb0ES3_jPKlPS6_PKS6_NS0_5tupleIJPlS6_EEENSE_IJSB_SB_EEENS0_18inequality_wrapperIN6hipcub16HIPCUB_304000_NS8EqualityEEESF_JS6_EEE10hipError_tPvRmT3_T4_T5_T6_T7_T9_mT8_P12ihipStream_tbDpT10_ENKUlT_T0_E_clISt17integral_constantIbLb0EES16_EEDaS11_S12_EUlS11_E_NS1_11comp_targetILNS1_3genE8ELNS1_11target_archE1030ELNS1_3gpuE2ELNS1_3repE0EEENS1_30default_config_static_selectorELNS0_4arch9wavefront6targetE0EEEvT1_,@function
_ZN7rocprim17ROCPRIM_400000_NS6detail17trampoline_kernelINS0_14default_configENS1_25partition_config_selectorILNS1_17partition_subalgoE8ElNS0_10empty_typeEbEEZZNS1_14partition_implILS5_8ELb0ES3_jPKlPS6_PKS6_NS0_5tupleIJPlS6_EEENSE_IJSB_SB_EEENS0_18inequality_wrapperIN6hipcub16HIPCUB_304000_NS8EqualityEEESF_JS6_EEE10hipError_tPvRmT3_T4_T5_T6_T7_T9_mT8_P12ihipStream_tbDpT10_ENKUlT_T0_E_clISt17integral_constantIbLb0EES16_EEDaS11_S12_EUlS11_E_NS1_11comp_targetILNS1_3genE8ELNS1_11target_archE1030ELNS1_3gpuE2ELNS1_3repE0EEENS1_30default_config_static_selectorELNS0_4arch9wavefront6targetE0EEEvT1_: ; @_ZN7rocprim17ROCPRIM_400000_NS6detail17trampoline_kernelINS0_14default_configENS1_25partition_config_selectorILNS1_17partition_subalgoE8ElNS0_10empty_typeEbEEZZNS1_14partition_implILS5_8ELb0ES3_jPKlPS6_PKS6_NS0_5tupleIJPlS6_EEENSE_IJSB_SB_EEENS0_18inequality_wrapperIN6hipcub16HIPCUB_304000_NS8EqualityEEESF_JS6_EEE10hipError_tPvRmT3_T4_T5_T6_T7_T9_mT8_P12ihipStream_tbDpT10_ENKUlT_T0_E_clISt17integral_constantIbLb0EES16_EEDaS11_S12_EUlS11_E_NS1_11comp_targetILNS1_3genE8ELNS1_11target_archE1030ELNS1_3gpuE2ELNS1_3repE0EEENS1_30default_config_static_selectorELNS0_4arch9wavefront6targetE0EEEvT1_
; %bb.0:
	s_clause 0x3
	s_load_dwordx4 s[0:3], s[4:5], 0x8
	s_load_dwordx4 s[12:15], s[4:5], 0x40
	s_load_dword s7, s[4:5], 0x68
	s_load_dwordx2 s[8:9], s[4:5], 0x50
	s_mov_b32 s17, 0
	v_lshlrev_b32_e32 v38, 3, v0
	v_lshrrev_b32_e32 v21, 2, v0
	v_or_b32_e32 v24, 0x200, v0
	v_or_b32_e32 v23, 0x400, v0
	;; [unrolled: 1-line block ×7, first 2 shown]
	s_waitcnt lgkmcnt(0)
	s_lshl_b64 s[10:11], s[2:3], 3
	s_load_dwordx2 s[14:15], s[14:15], 0x0
	s_add_u32 s19, s0, s10
	s_addc_u32 s20, s1, s11
	s_add_i32 s10, s7, -1
	s_lshl_b32 s1, s7, 12
	s_lshl_b32 s0, s10, 12
	s_lshl_b32 s16, s6, 12
	s_add_i32 s7, s2, s0
	s_add_u32 s0, s2, s1
	s_addc_u32 s1, s3, 0
	s_cmp_eq_u32 s6, s10
	v_cmp_le_u64_e64 s0, s[8:9], s[0:1]
	s_cselect_b32 s11, -1, 0
	s_mov_b32 s9, -1
	s_and_b32 s10, s11, s0
	s_lshl_b64 s[0:1], s[16:17], 3
	s_xor_b32 s18, s10, -1
	s_add_u32 s0, s19, s0
	s_addc_u32 s1, s20, s1
	s_and_b32 vcc_lo, exec_lo, s18
	s_cbranch_vccz .LBB233_2
; %bb.1:
	v_add_co_u32 v15, s9, s0, v38
	v_add_co_ci_u32_e64 v16, null, s1, 0, s9
	global_load_dwordx2 v[1:2], v38, s[0:1]
	v_add_co_u32 v3, vcc_lo, 0x1000, v15
	v_add_co_ci_u32_e64 v4, null, 0, v16, vcc_lo
	v_add_co_u32 v5, vcc_lo, 0x2000, v15
	v_add_co_ci_u32_e64 v6, null, 0, v16, vcc_lo
	;; [unrolled: 2-line block ×7, first 2 shown]
	s_clause 0x6
	global_load_dwordx2 v[3:4], v[3:4], off
	global_load_dwordx2 v[5:6], v[5:6], off
	;; [unrolled: 1-line block ×7, first 2 shown]
	v_lshrrev_b32_e32 v26, 2, v24
	v_lshrrev_b32_e32 v27, 2, v23
	;; [unrolled: 1-line block ×4, first 2 shown]
	v_and_b32_e32 v17, 0x78, v21
	v_lshrrev_b32_e32 v30, 2, v20
	v_lshrrev_b32_e32 v31, 2, v18
	;; [unrolled: 1-line block ×3, first 2 shown]
	v_and_b32_e32 v26, 0xf8, v26
	v_and_b32_e32 v27, 0x178, v27
	;; [unrolled: 1-line block ×4, first 2 shown]
	v_add_nc_u32_e32 v17, v17, v38
	v_and_b32_e32 v30, 0x2f8, v30
	v_and_b32_e32 v31, 0x378, v31
	;; [unrolled: 1-line block ×3, first 2 shown]
	v_add_nc_u32_e32 v26, v26, v38
	v_add_nc_u32_e32 v27, v27, v38
	v_add_nc_u32_e32 v28, v28, v38
	v_add_nc_u32_e32 v29, v29, v38
	s_mov_b32 s9, 0
	v_add_nc_u32_e32 v30, v30, v38
	v_add_nc_u32_e32 v31, v31, v38
	v_add_nc_u32_e32 v32, v32, v38
	s_waitcnt vmcnt(7)
	ds_write_b64 v17, v[1:2]
	s_waitcnt vmcnt(6)
	ds_write_b64 v26, v[3:4] offset:4096
	s_waitcnt vmcnt(5)
	ds_write_b64 v27, v[5:6] offset:8192
	;; [unrolled: 2-line block ×7, first 2 shown]
	s_waitcnt lgkmcnt(0)
	s_barrier
.LBB233_2:
	s_andn2_b32 vcc_lo, exec_lo, s9
	s_sub_i32 s19, s8, s7
	s_cbranch_vccnz .LBB233_13
; %bb.3:
	v_mov_b32_e32 v1, 0
	s_mov_b32 s7, exec_lo
	v_mov_b32_e32 v2, v1
	v_mov_b32_e32 v3, v1
	;; [unrolled: 1-line block ×15, first 2 shown]
	v_cmpx_gt_u32_e64 s19, v0
	s_cbranch_execnz .LBB233_20
; %bb.4:
	s_or_b32 exec_lo, exec_lo, s7
	s_mov_b32 s7, exec_lo
	v_cmpx_gt_u32_e64 s19, v24
	s_cbranch_execnz .LBB233_21
.LBB233_5:
	s_or_b32 exec_lo, exec_lo, s7
	s_mov_b32 s7, exec_lo
	v_cmpx_gt_u32_e64 s19, v23
	s_cbranch_execnz .LBB233_22
.LBB233_6:
	s_or_b32 exec_lo, exec_lo, s7
	s_mov_b32 s7, exec_lo
	v_cmpx_gt_u32_e64 s19, v25
	s_cbranch_execnz .LBB233_23
.LBB233_7:
	s_or_b32 exec_lo, exec_lo, s7
	s_mov_b32 s7, exec_lo
	v_cmpx_gt_u32_e64 s19, v22
	s_cbranch_execnz .LBB233_24
.LBB233_8:
	s_or_b32 exec_lo, exec_lo, s7
	s_mov_b32 s7, exec_lo
	v_cmpx_gt_u32_e64 s19, v20
	s_cbranch_execnz .LBB233_25
.LBB233_9:
	s_or_b32 exec_lo, exec_lo, s7
	s_mov_b32 s7, exec_lo
	v_cmpx_gt_u32_e64 s19, v18
	s_cbranch_execnz .LBB233_26
.LBB233_10:
	s_or_b32 exec_lo, exec_lo, s7
	s_mov_b32 s7, exec_lo
	v_cmpx_gt_u32_e64 s19, v19
	s_cbranch_execz .LBB233_12
.LBB233_11:
	v_lshlrev_b32_e32 v15, 3, v19
	global_load_dwordx2 v[15:16], v15, s[0:1]
.LBB233_12:
	s_or_b32 exec_lo, exec_lo, s7
	v_lshrrev_b32_e32 v17, 2, v24
	v_lshrrev_b32_e32 v23, 2, v23
	v_and_b32_e32 v21, 0x78, v21
	v_lshrrev_b32_e32 v24, 2, v25
	v_lshrrev_b32_e32 v22, 2, v22
	v_and_b32_e32 v17, 0xf8, v17
	v_and_b32_e32 v23, 0x1f8, v23
	v_add_nc_u32_e32 v21, v21, v38
	v_lshrrev_b32_e32 v20, 2, v20
	v_lshrrev_b32_e32 v18, 2, v18
	v_add_nc_u32_e32 v17, v17, v38
	v_add_nc_u32_e32 v23, v23, v38
	v_lshrrev_b32_e32 v19, 2, v19
	ds_write_b64 v21, v[1:2]
	s_waitcnt vmcnt(0)
	ds_write_b64 v17, v[3:4] offset:4096
	ds_write_b64 v23, v[5:6] offset:8192
	v_and_b32_e32 v1, 0x1f8, v24
	v_and_b32_e32 v2, 0x3f8, v22
	;; [unrolled: 1-line block ×5, first 2 shown]
	v_add_nc_u32_e32 v1, v1, v38
	v_add_nc_u32_e32 v2, v2, v38
	;; [unrolled: 1-line block ×5, first 2 shown]
	ds_write_b64 v1, v[7:8] offset:12288
	ds_write_b64 v2, v[9:10] offset:16384
	;; [unrolled: 1-line block ×5, first 2 shown]
	s_waitcnt lgkmcnt(0)
	s_barrier
.LBB233_13:
	v_lshlrev_b32_e32 v1, 1, v0
	s_waitcnt lgkmcnt(0)
	buffer_gl0_inv
	s_cmp_lg_u32 s6, 0
	s_mov_b32 s16, 0
	s_cselect_b32 s20, -1, 0
	v_and_b32_e32 v1, 0x3f8, v1
	s_cmp_lg_u64 s[2:3], 0
	s_cselect_b32 s2, -1, 0
	s_or_b32 s2, s20, s2
	v_lshl_add_u32 v21, v0, 6, v1
	s_and_b32 vcc_lo, exec_lo, s2
	ds_read2_b64 v[9:12], v21 offset0:2 offset1:3
	ds_read2_b64 v[5:8], v21 offset0:3 offset1:4
	ds_read2_b64 v[13:16], v21 offset1:1
	ds_read2_b64 v[17:20], v21 offset0:1 offset1:2
	ds_read2_b64 v[1:4], v21 offset0:5 offset1:6
	ds_read_b64 v[21:22], v21 offset:56
	s_waitcnt lgkmcnt(0)
	s_barrier
	buffer_gl0_inv
	s_cbranch_vccz .LBB233_18
; %bb.14:
	s_add_u32 s0, s0, -8
	s_addc_u32 s1, s1, -1
	s_and_b32 vcc_lo, exec_lo, s18
	s_load_dwordx2 s[0:1], s[0:1], 0x0
	ds_write_b64 v38, v[21:22]
	s_cbranch_vccz .LBB233_27
; %bb.15:
	s_waitcnt lgkmcnt(0)
	v_mov_b32_e32 v24, s1
	v_mov_b32_e32 v23, s0
	s_mov_b32 s3, 0
	s_mov_b32 s2, exec_lo
	s_barrier
	buffer_gl0_inv
	v_cmpx_ne_u32_e32 0, v0
; %bb.16:
	v_add_nc_u32_e32 v23, -8, v38
	ds_read_b64 v[23:24], v23
; %bb.17:
	s_or_b32 exec_lo, exec_lo, s2
	v_cmp_ne_u64_e32 vcc_lo, v[3:4], v[21:22]
	s_waitcnt lgkmcnt(0)
	v_cmp_ne_u64_e64 s2, v[23:24], v[13:14]
	v_cndmask_b32_e64 v25, 0, 1, vcc_lo
	v_cmp_ne_u64_e32 vcc_lo, v[1:2], v[3:4]
	v_lshlrev_b16 v25, 8, v25
	v_cndmask_b32_e64 v26, 0, 1, vcc_lo
	v_cmp_ne_u64_e32 vcc_lo, v[7:8], v[1:2]
	v_or_b32_sdwa v25, v26, v25 dst_sel:WORD_1 dst_unused:UNUSED_PAD src0_sel:DWORD src1_sel:DWORD
	v_cndmask_b32_e64 v27, 0, 1, vcc_lo
	v_cmp_ne_u64_e32 vcc_lo, v[9:10], v[11:12]
	v_lshlrev_b16 v27, 8, v27
	v_cndmask_b32_e64 v28, 0, 1, vcc_lo
	v_cmp_ne_u64_e32 vcc_lo, v[11:12], v[7:8]
	v_lshlrev_b16 v28, 8, v28
	v_cndmask_b32_e64 v29, 0, 1, vcc_lo
	v_cmp_ne_u64_e32 vcc_lo, v[15:16], v[9:10]
	v_or_b32_e32 v27, v29, v27
	v_cndmask_b32_e64 v30, 0, 1, vcc_lo
	v_cmp_ne_u64_e32 vcc_lo, v[13:14], v[15:16]
	v_or_b32_sdwa v27, v27, v25 dst_sel:DWORD dst_unused:UNUSED_PAD src0_sel:WORD_0 src1_sel:DWORD
	v_or_b32_sdwa v28, v30, v28 dst_sel:WORD_1 dst_unused:UNUSED_PAD src0_sel:DWORD src1_sel:DWORD
	v_cndmask_b32_e64 v31, 0, 1, vcc_lo
	v_lshlrev_b16 v30, 8, v31
	v_or_b32_sdwa v26, v30, v28 dst_sel:DWORD dst_unused:UNUSED_PAD src0_sel:WORD_0 src1_sel:DWORD
	s_and_b32 vcc_lo, exec_lo, s3
	s_cbranch_vccnz .LBB233_28
	s_branch .LBB233_31
.LBB233_18:
                                        ; implicit-def: $sgpr2
                                        ; implicit-def: $vgpr27
	s_branch .LBB233_32
.LBB233_19:
                                        ; implicit-def: $vgpr23
                                        ; implicit-def: $vgpr43
                                        ; implicit-def: $vgpr42
                                        ; implicit-def: $vgpr25
                                        ; implicit-def: $vgpr41
                                        ; implicit-def: $vgpr40
                                        ; implicit-def: $vgpr39
	s_branch .LBB233_40
.LBB233_20:
	global_load_dwordx2 v[2:3], v38, s[0:1]
	v_mov_b32_e32 v17, v1
	v_mov_b32_e32 v4, v1
	v_mov_b32_e32 v5, v1
	v_mov_b32_e32 v6, v1
	v_mov_b32_e32 v7, v1
	v_mov_b32_e32 v8, v1
	v_mov_b32_e32 v9, v1
	v_mov_b32_e32 v10, v1
	v_mov_b32_e32 v11, v1
	v_mov_b32_e32 v12, v1
	v_mov_b32_e32 v13, v1
	v_mov_b32_e32 v14, v1
	v_mov_b32_e32 v15, v1
	v_mov_b32_e32 v16, v1
	s_waitcnt vmcnt(0)
	v_mov_b32_e32 v1, v2
	v_mov_b32_e32 v2, v3
	;; [unrolled: 1-line block ×16, first 2 shown]
	s_or_b32 exec_lo, exec_lo, s7
	s_mov_b32 s7, exec_lo
	v_cmpx_gt_u32_e64 s19, v24
	s_cbranch_execz .LBB233_5
.LBB233_21:
	v_lshlrev_b32_e32 v3, 3, v24
	global_load_dwordx2 v[3:4], v3, s[0:1]
	s_or_b32 exec_lo, exec_lo, s7
	s_mov_b32 s7, exec_lo
	v_cmpx_gt_u32_e64 s19, v23
	s_cbranch_execz .LBB233_6
.LBB233_22:
	v_lshlrev_b32_e32 v5, 3, v23
	global_load_dwordx2 v[5:6], v5, s[0:1]
	s_or_b32 exec_lo, exec_lo, s7
	s_mov_b32 s7, exec_lo
	v_cmpx_gt_u32_e64 s19, v25
	s_cbranch_execz .LBB233_7
.LBB233_23:
	v_lshlrev_b32_e32 v7, 3, v25
	global_load_dwordx2 v[7:8], v7, s[0:1]
	s_or_b32 exec_lo, exec_lo, s7
	s_mov_b32 s7, exec_lo
	v_cmpx_gt_u32_e64 s19, v22
	s_cbranch_execz .LBB233_8
.LBB233_24:
	v_lshlrev_b32_e32 v9, 3, v22
	global_load_dwordx2 v[9:10], v9, s[0:1]
	s_or_b32 exec_lo, exec_lo, s7
	s_mov_b32 s7, exec_lo
	v_cmpx_gt_u32_e64 s19, v20
	s_cbranch_execz .LBB233_9
.LBB233_25:
	v_lshlrev_b32_e32 v11, 3, v20
	global_load_dwordx2 v[11:12], v11, s[0:1]
	s_or_b32 exec_lo, exec_lo, s7
	s_mov_b32 s7, exec_lo
	v_cmpx_gt_u32_e64 s19, v18
	s_cbranch_execz .LBB233_10
.LBB233_26:
	v_lshlrev_b32_e32 v13, 3, v18
	global_load_dwordx2 v[13:14], v13, s[0:1]
	s_or_b32 exec_lo, exec_lo, s7
	s_mov_b32 s7, exec_lo
	v_cmpx_gt_u32_e64 s19, v19
	s_cbranch_execnz .LBB233_11
	s_branch .LBB233_12
.LBB233_27:
                                        ; implicit-def: $sgpr2
                                        ; implicit-def: $vgpr27
	s_cbranch_execz .LBB233_31
.LBB233_28:
	s_waitcnt lgkmcnt(0)
	v_mov_b32_e32 v24, s1
	v_mov_b32_e32 v23, s0
	s_mov_b32 s0, exec_lo
	s_barrier
	buffer_gl0_inv
	v_cmpx_ne_u32_e32 0, v0
; %bb.29:
	v_add_nc_u32_e32 v23, -8, v38
	ds_read_b64 v[23:24], v23
; %bb.30:
	s_or_b32 exec_lo, exec_lo, s0
	v_or_b32_e32 v25, 7, v38
	v_or_b32_e32 v26, 6, v38
	v_cmp_ne_u64_e32 vcc_lo, v[3:4], v[21:22]
	v_or_b32_e32 v27, 5, v38
	v_cmp_ne_u64_e64 s1, v[1:2], v[3:4]
	v_cmp_gt_u32_e64 s0, s19, v25
	v_cmp_gt_u32_e64 s2, s19, v26
	v_cmp_ne_u64_e64 s3, v[7:8], v[1:2]
	v_cmp_gt_u32_e64 s7, s19, v27
	v_or_b32_e32 v27, 3, v38
	s_and_b32 s0, s0, vcc_lo
	v_or_b32_e32 v28, 4, v38
	v_cndmask_b32_e64 v25, 0, 1, s0
	s_and_b32 s0, s2, s1
	v_cmp_ne_u64_e32 vcc_lo, v[9:10], v[11:12]
	v_cndmask_b32_e64 v26, 0, 1, s0
	s_and_b32 s0, s7, s3
	v_cmp_gt_u32_e64 s1, s19, v28
	v_cndmask_b32_e64 v29, 0, 1, s0
	v_cmp_gt_u32_e64 s0, s19, v27
	v_or_b32_e32 v27, 2, v38
	v_or_b32_e32 v28, 1, v38
	v_cmp_ne_u64_e64 s2, v[11:12], v[7:8]
	v_cmp_ne_u64_e64 s7, v[13:14], v[15:16]
	s_and_b32 s0, s0, vcc_lo
	v_cmp_ne_u64_e32 vcc_lo, v[15:16], v[9:10]
	v_cndmask_b32_e64 v30, 0, 1, s0
	v_cmp_gt_u32_e64 s0, s19, v27
	v_cmp_gt_u32_e64 s3, s19, v28
	s_and_b32 s1, s1, s2
	v_lshlrev_b16 v29, 8, v29
	v_cndmask_b32_e64 v27, 0, 1, s1
	s_and_b32 s0, s0, vcc_lo
	v_lshlrev_b16 v30, 8, v30
	v_cndmask_b32_e64 v28, 0, 1, s0
	s_and_b32 s0, s3, s7
	v_lshlrev_b16 v25, 8, v25
	v_cndmask_b32_e64 v31, 0, 1, s0
	v_or_b32_e32 v27, v27, v29
	v_or_b32_sdwa v28, v28, v30 dst_sel:WORD_1 dst_unused:UNUSED_PAD src0_sel:DWORD src1_sel:DWORD
	s_waitcnt lgkmcnt(0)
	v_cmp_ne_u64_e32 vcc_lo, v[23:24], v[13:14]
	v_or_b32_sdwa v25, v26, v25 dst_sel:WORD_1 dst_unused:UNUSED_PAD src0_sel:DWORD src1_sel:DWORD
	v_lshlrev_b16 v30, 8, v31
	v_cmp_gt_u32_e64 s0, s19, v38
	v_or_b32_sdwa v27, v27, v25 dst_sel:DWORD dst_unused:UNUSED_PAD src0_sel:WORD_0 src1_sel:DWORD
	v_or_b32_sdwa v26, v30, v28 dst_sel:DWORD dst_unused:UNUSED_PAD src0_sel:WORD_0 src1_sel:DWORD
	s_and_b32 s2, s0, vcc_lo
.LBB233_31:
	s_waitcnt lgkmcnt(0)
	s_mov_b32 s16, -1
	s_cbranch_execnz .LBB233_19
.LBB233_32:
	v_cmp_ne_u64_e64 s0, v[3:4], v[21:22]
	v_cmp_ne_u64_e64 s1, v[1:2], v[3:4]
	s_and_b32 vcc_lo, exec_lo, s18
	ds_write_b64 v38, v[21:22]
	s_cbranch_vccz .LBB233_36
; %bb.33:
	v_cmp_ne_u64_e32 vcc_lo, v[11:12], v[7:8]
	v_cndmask_b32_e64 v39, 0, 1, s0
	v_cndmask_b32_e64 v40, 0, 1, s1
	v_mov_b32_e32 v23, 1
	s_mov_b32 s0, 0
	s_mov_b32 s1, exec_lo
	v_cndmask_b32_e64 v24, 0, 1, vcc_lo
	v_cmp_ne_u64_e32 vcc_lo, v[7:8], v[1:2]
	s_waitcnt lgkmcnt(0)
	s_barrier
	buffer_gl0_inv
                                        ; implicit-def: $sgpr2
                                        ; implicit-def: $vgpr27
	v_cndmask_b32_e64 v41, 0, 1, vcc_lo
	v_cmp_ne_u64_e32 vcc_lo, v[9:10], v[11:12]
	v_cndmask_b32_e64 v25, 0, 1, vcc_lo
	v_cmp_ne_u64_e32 vcc_lo, v[15:16], v[9:10]
	;; [unrolled: 2-line block ×3, first 2 shown]
	v_cndmask_b32_e64 v43, 0, 1, vcc_lo
	v_cmpx_ne_u32_e32 0, v0
	s_xor_b32 s1, exec_lo, s1
	s_cbranch_execz .LBB233_35
; %bb.34:
	v_add_nc_u32_e32 v26, -8, v38
	v_lshlrev_b16 v27, 8, v39
	v_lshlrev_b16 v30, 8, v25
	;; [unrolled: 1-line block ×3, first 2 shown]
	s_or_b32 s16, s16, exec_lo
	ds_read_b64 v[28:29], v26
	v_lshlrev_b16 v26, 8, v41
	v_or_b32_sdwa v27, v40, v27 dst_sel:WORD_1 dst_unused:UNUSED_PAD src0_sel:DWORD src1_sel:DWORD
	v_or_b32_sdwa v30, v42, v30 dst_sel:WORD_1 dst_unused:UNUSED_PAD src0_sel:DWORD src1_sel:DWORD
	v_or_b32_e32 v31, 1, v31
	v_or_b32_e32 v26, v24, v26
	v_or_b32_sdwa v27, v26, v27 dst_sel:DWORD dst_unused:UNUSED_PAD src0_sel:WORD_0 src1_sel:DWORD
	v_or_b32_sdwa v26, v31, v30 dst_sel:DWORD dst_unused:UNUSED_PAD src0_sel:WORD_0 src1_sel:DWORD
	s_waitcnt lgkmcnt(0)
	v_cmp_ne_u64_e64 s2, v[28:29], v[13:14]
.LBB233_35:
	s_or_b32 exec_lo, exec_lo, s1
	s_and_b32 vcc_lo, exec_lo, s0
	s_cbranch_vccnz .LBB233_37
	s_branch .LBB233_40
.LBB233_36:
                                        ; implicit-def: $sgpr2
                                        ; implicit-def: $vgpr27
                                        ; implicit-def: $vgpr23
                                        ; implicit-def: $vgpr43
                                        ; implicit-def: $vgpr42
                                        ; implicit-def: $vgpr25
                                        ; implicit-def: $vgpr41
                                        ; implicit-def: $vgpr40
                                        ; implicit-def: $vgpr39
	s_cbranch_execz .LBB233_40
.LBB233_37:
	v_or_b32_e32 v23, 4, v38
	v_cmp_ne_u64_e64 s0, v[11:12], v[7:8]
	v_or_b32_e32 v24, 7, v38
	v_or_b32_e32 v26, 2, v38
	v_cmp_ne_u64_e64 s2, v[9:10], v[5:6]
	v_cmp_gt_u32_e64 s1, s19, v23
	v_or_b32_e32 v23, 3, v38
	v_cmp_gt_u32_e64 s3, s19, v24
	v_cmp_ne_u64_e64 s7, v[15:16], v[19:20]
	v_cmp_gt_u32_e64 s8, s19, v26
	s_and_b32 s0, s1, s0
	v_or_b32_e32 v6, 1, v38
	v_cndmask_b32_e64 v24, 0, 1, s0
	v_cmp_gt_u32_e64 s0, s19, v23
	v_or_b32_e32 v25, 6, v38
	v_or_b32_e32 v23, 5, v38
	v_cmp_ne_u64_e32 vcc_lo, v[3:4], v[21:22]
	v_lshlrev_b16 v5, 8, v24
	s_and_b32 s0, s0, s2
	s_and_b32 s2, s8, s7
	v_cndmask_b32_e64 v20, 0, 1, s0
	v_cndmask_b32_e64 v19, 0, 1, s2
	v_cmp_ne_u64_e64 s2, v[13:14], v[17:18]
	v_cmp_gt_u32_e64 s7, s19, v6
	v_cmp_gt_u32_e64 s1, s19, v25
	v_or_b32_e32 v25, v20, v5
	v_cmp_ne_u64_e64 s8, v[7:8], v[1:2]
	v_cmp_gt_u32_e64 s9, s19, v23
	v_cmp_ne_u64_e64 s0, v[1:2], v[3:4]
	s_and_b32 s2, s7, s2
	v_lshlrev_b16 v5, 8, v19
	v_lshlrev_b32_e32 v6, 16, v25
	v_cndmask_b32_e64 v18, 0, 1, s2
	s_and_b32 s2, s9, s8
	s_and_b32 s0, s1, s0
	v_cndmask_b32_e64 v41, 0, 1, s2
	s_and_b32 s2, s3, vcc_lo
	v_or_b32_sdwa v17, v5, v6 dst_sel:DWORD dst_unused:UNUSED_PAD src0_sel:WORD_0 src1_sel:DWORD
	v_mov_b32_e32 v23, 1
	v_cndmask_b32_e64 v39, 0, 1, s2
	v_cndmask_b32_e64 v40, 0, 1, s0
	s_mov_b32 s1, exec_lo
	s_waitcnt lgkmcnt(0)
	s_barrier
	buffer_gl0_inv
                                        ; implicit-def: $sgpr2
                                        ; implicit-def: $vgpr27
	v_cmpx_ne_u32_e32 0, v0
	s_cbranch_execz .LBB233_39
; %bb.38:
	v_add_nc_u32_e32 v26, -8, v38
	v_lshlrev_b16 v20, 8, v20
	v_lshlrev_b16 v28, 8, v18
	;; [unrolled: 1-line block ×4, first 2 shown]
	ds_read_b64 v[26:27], v26
	v_or_b32_sdwa v19, v19, v20 dst_sel:WORD_1 dst_unused:UNUSED_PAD src0_sel:DWORD src1_sel:DWORD
	v_or_b32_e32 v20, 1, v28
	v_or_b32_e32 v24, v24, v29
	v_or_b32_sdwa v28, v40, v30 dst_sel:WORD_1 dst_unused:UNUSED_PAD src0_sel:DWORD src1_sel:DWORD
	v_cmp_gt_u32_e64 s0, s19, v38
	s_or_b32 s16, s16, exec_lo
	s_waitcnt lgkmcnt(0)
	v_cmp_ne_u64_e32 vcc_lo, v[26:27], v[13:14]
	v_or_b32_sdwa v26, v20, v19 dst_sel:DWORD dst_unused:UNUSED_PAD src0_sel:WORD_0 src1_sel:DWORD
	v_or_b32_sdwa v27, v24, v28 dst_sel:DWORD dst_unused:UNUSED_PAD src0_sel:WORD_0 src1_sel:DWORD
	s_and_b32 s2, s0, vcc_lo
.LBB233_39:
	s_or_b32 exec_lo, exec_lo, s1
	v_or_b32_e32 v43, v18, v5
	v_lshrrev_b32_e32 v24, 24, v6
	v_lshrrev_b32_e32 v42, 8, v17
.LBB233_40:
	s_and_saveexec_b32 s0, s16
	s_cbranch_execz .LBB233_42
; %bb.41:
	v_lshrrev_b32_e32 v42, 16, v26
	v_lshrrev_b32_e32 v43, 8, v26
	v_lshrrev_b64 v[25:26], 24, v[26:27]
	v_lshrrev_b32_e32 v41, 8, v27
	v_lshrrev_b32_e32 v40, 16, v27
	;; [unrolled: 1-line block ×3, first 2 shown]
	v_cndmask_b32_e64 v23, 0, 1, s2
	v_mov_b32_e32 v24, v27
.LBB233_42:
	s_or_b32 exec_lo, exec_lo, s0
	s_load_dwordx2 s[16:17], s[4:5], 0x60
	s_andn2_b32 vcc_lo, exec_lo, s10
	s_cbranch_vccnz .LBB233_46
; %bb.43:
	v_perm_b32 v5, v42, v25, 0xc0c0004
	v_perm_b32 v6, v23, v43, 0xc0c0004
	v_cmp_gt_u32_e32 vcc_lo, s19, v38
	v_or_b32_e32 v17, 1, v38
	v_or_b32_e32 v18, 2, v38
	v_lshlrev_b32_e32 v5, 16, v5
	v_perm_b32 v19, v40, v39, 0xc0c0004
	v_or_b32_e32 v6, v6, v5
	v_cndmask_b32_e32 v5, v5, v6, vcc_lo
	v_cmp_gt_u32_e32 vcc_lo, s19, v17
	v_and_b32_e32 v5, 0xffff00ff, v5
	v_cndmask_b32_e32 v5, v5, v6, vcc_lo
	v_cmp_gt_u32_e32 vcc_lo, s19, v18
	v_or_b32_e32 v18, 3, v38
	v_lshrrev_b32_e32 v17, 24, v5
	v_perm_b32 v5, v17, v5, 0x40c0100
	v_perm_b32 v17, v24, v41, 0xc0c0004
	v_cndmask_b32_e32 v5, v5, v6, vcc_lo
	v_lshl_or_b32 v17, v19, 16, v17
	v_or_b32_e32 v19, 4, v38
	v_cmp_gt_u32_e32 vcc_lo, s19, v18
	v_and_b32_e32 v5, 0xffffff, v5
	v_and_b32_e32 v20, 0xffffff00, v17
	v_cndmask_b32_e32 v5, v5, v6, vcc_lo
	v_cmp_gt_u32_e32 vcc_lo, s19, v19
	v_or_b32_e32 v19, 5, v38
	v_cndmask_b32_e32 v18, v20, v17, vcc_lo
	v_cndmask_b32_e32 v5, v5, v6, vcc_lo
	v_cmp_gt_u32_e32 vcc_lo, s19, v19
	v_or_b32_e32 v20, 6, v38
	v_and_b32_e32 v18, 0xffff00ff, v18
	v_cmp_gt_u32_e64 s0, s19, v20
	v_cndmask_b32_e32 v18, v18, v17, vcc_lo
	s_or_b32 vcc_lo, s0, vcc_lo
	v_lshrrev_b32_e32 v19, 24, v18
	v_cndmask_b32_e32 v23, v5, v6, vcc_lo
	v_or_b32_e32 v5, 7, v38
	v_perm_b32 v18, v19, v18, 0x40c0100
	v_lshrrev_b32_e32 v42, 16, v23
	v_lshrrev_b32_e32 v43, 8, v23
	v_cndmask_b32_e64 v24, v18, v17, s0
	s_mov_b32 s0, exec_lo
	v_lshrrev_b64 v[25:26], 24, v[23:24]
	v_lshrrev_b32_e32 v39, 24, v24
	v_lshrrev_b32_e32 v40, 16, v24
	;; [unrolled: 1-line block ×3, first 2 shown]
	v_cmpx_le_u32_e64 s19, v5
; %bb.44:
	v_mov_b32_e32 v39, 0
; %bb.45:
	s_or_b32 exec_lo, exec_lo, s0
.LBB233_46:
	v_and_b32_e32 v31, 0xff, v42
	v_and_b32_e32 v33, 0xff, v25
	v_add_nc_u32_sdwa v5, v43, v23 dst_sel:DWORD dst_unused:UNUSED_PAD src0_sel:BYTE_0 src1_sel:BYTE_0
	v_and_b32_e32 v35, 0xff, v24
	v_and_b32_e32 v37, 0xff, v41
	v_mbcnt_lo_u32_b32 v45, -1, 0
	v_and_b32_e32 v44, 0xff, v40
	v_add3_u32 v5, v5, v31, v33
	v_and_b32_e32 v6, 0xff, v39
	v_lshrrev_b32_e32 v46, 5, v0
	v_and_b32_e32 v17, 15, v45
	s_and_b32 vcc_lo, exec_lo, s20
	v_add3_u32 v5, v5, v35, v37
	s_mov_b32 s9, -1
	s_waitcnt lgkmcnt(0)
	v_cmp_eq_u32_e64 s0, 0, v17
	v_cmp_lt_u32_e64 s2, 1, v17
	v_add3_u32 v47, v5, v44, v6
	v_and_b32_e32 v5, 16, v45
	v_or_b32_e32 v6, 31, v0
	v_cmp_lt_u32_e64 s3, 3, v17
	v_cmp_lt_u32_e64 s1, 7, v17
	s_barrier
	v_cmp_eq_u32_e64 s8, 0, v5
	v_cmp_eq_u32_e64 s7, v0, v6
	buffer_gl0_inv
                                        ; implicit-def: $vgpr17
                                        ; implicit-def: $vgpr19
                                        ; implicit-def: $vgpr26
                                        ; implicit-def: $vgpr28
                                        ; implicit-def: $vgpr30
                                        ; implicit-def: $vgpr32
                                        ; implicit-def: $vgpr34
                                        ; implicit-def: $vgpr36
                                        ; implicit-def: $vgpr6
	s_cbranch_vccz .LBB233_73
; %bb.47:
	v_mov_b32_dpp v5, v47 row_shr:1 row_mask:0xf bank_mask:0xf
	v_cndmask_b32_e64 v5, v5, 0, s0
	v_add_nc_u32_e32 v5, v5, v47
	v_mov_b32_dpp v6, v5 row_shr:2 row_mask:0xf bank_mask:0xf
	v_cndmask_b32_e64 v6, 0, v6, s2
	v_add_nc_u32_e32 v5, v5, v6
	;; [unrolled: 3-line block ×4, first 2 shown]
	ds_swizzle_b32 v6, v5 offset:swizzle(BROADCAST,32,15)
	s_waitcnt lgkmcnt(0)
	v_cndmask_b32_e64 v6, v6, 0, s8
	v_add_nc_u32_e32 v5, v5, v6
	s_and_saveexec_b32 s9, s7
; %bb.48:
	v_lshlrev_b32_e32 v6, 2, v46
	ds_write_b32 v6, v5
; %bb.49:
	s_or_b32 exec_lo, exec_lo, s9
	s_mov_b32 s9, exec_lo
	s_waitcnt lgkmcnt(0)
	s_barrier
	buffer_gl0_inv
	v_cmpx_gt_u32_e32 16, v0
	s_cbranch_execz .LBB233_51
; %bb.50:
	v_lshlrev_b32_e32 v6, 2, v0
	ds_read_b32 v17, v6
	s_waitcnt lgkmcnt(0)
	v_mov_b32_dpp v18, v17 row_shr:1 row_mask:0xf bank_mask:0xf
	v_cndmask_b32_e64 v18, v18, 0, s0
	v_add_nc_u32_e32 v17, v18, v17
	v_mov_b32_dpp v18, v17 row_shr:2 row_mask:0xf bank_mask:0xf
	v_cndmask_b32_e64 v18, 0, v18, s2
	v_add_nc_u32_e32 v17, v17, v18
	;; [unrolled: 3-line block ×4, first 2 shown]
	ds_write_b32 v6, v17
.LBB233_51:
	s_or_b32 exec_lo, exec_lo, s9
	s_mov_b32 s10, exec_lo
	v_cmp_gt_u32_e32 vcc_lo, 32, v0
	s_waitcnt lgkmcnt(0)
	s_barrier
	buffer_gl0_inv
                                        ; implicit-def: $vgpr30
	v_cmpx_lt_u32_e32 31, v0
	s_cbranch_execz .LBB233_53
; %bb.52:
	v_lshl_add_u32 v6, v46, 2, -4
	ds_read_b32 v30, v6
	s_waitcnt lgkmcnt(0)
	v_add_nc_u32_e32 v5, v30, v5
.LBB233_53:
	s_or_b32 exec_lo, exec_lo, s10
	v_sub_co_u32 v6, s9, v45, 1
	v_cmp_gt_i32_e64 s10, 0, v6
	v_cndmask_b32_e64 v6, v6, v45, s10
	v_lshlrev_b32_e32 v6, 2, v6
	ds_bpermute_b32 v32, v6, v5
	s_and_saveexec_b32 s10, vcc_lo
	s_cbranch_execz .LBB233_72
; %bb.54:
	v_mov_b32_e32 v27, 0
	ds_read_b32 v5, v27 offset:60
	s_and_saveexec_b32 s19, s9
	s_cbranch_execz .LBB233_56
; %bb.55:
	s_add_i32 s20, s6, 32
	s_mov_b32 s21, 0
	v_mov_b32_e32 v6, 1
	s_lshl_b64 s[20:21], s[20:21], 3
	s_add_u32 s20, s16, s20
	s_addc_u32 s21, s17, s21
	s_waitcnt lgkmcnt(0)
	global_store_dwordx2 v27, v[5:6], s[20:21]
.LBB233_56:
	s_or_b32 exec_lo, exec_lo, s19
	v_xad_u32 v17, v45, -1, s6
	s_mov_b32 s20, 0
	v_add_nc_u32_e32 v26, 32, v17
	v_lshlrev_b64 v[18:19], 3, v[26:27]
	v_add_co_u32 v28, vcc_lo, s16, v18
	v_add_co_ci_u32_e64 v29, null, s17, v19, vcc_lo
	global_load_dwordx2 v[19:20], v[28:29], off glc dlc
	s_waitcnt vmcnt(0)
	v_cmp_eq_u16_sdwa s21, v20, v27 src0_sel:BYTE_0 src1_sel:DWORD
	s_and_saveexec_b32 s19, s21
	s_cbranch_execz .LBB233_60
; %bb.57:
	v_mov_b32_e32 v6, 0
.LBB233_58:                             ; =>This Inner Loop Header: Depth=1
	global_load_dwordx2 v[19:20], v[28:29], off glc dlc
	s_waitcnt vmcnt(0)
	v_cmp_ne_u16_sdwa s21, v20, v6 src0_sel:BYTE_0 src1_sel:DWORD
	s_or_b32 s20, s21, s20
	s_andn2_b32 exec_lo, exec_lo, s20
	s_cbranch_execnz .LBB233_58
; %bb.59:
	s_or_b32 exec_lo, exec_lo, s20
.LBB233_60:
	s_or_b32 exec_lo, exec_lo, s19
	v_cmp_ne_u32_e32 vcc_lo, 31, v45
	v_mov_b32_e32 v29, 2
	v_lshlrev_b32_e64 v34, v45, -1
	v_add_nc_u32_e32 v48, 2, v45
	v_add_nc_u32_e32 v50, 4, v45
	v_add_co_ci_u32_e64 v6, null, 0, v45, vcc_lo
	v_cmp_eq_u16_sdwa s19, v20, v29 src0_sel:BYTE_0 src1_sel:DWORD
	v_cmp_gt_u32_e32 vcc_lo, 30, v45
	v_add_nc_u32_e32 v52, 8, v45
	v_lshlrev_b32_e32 v28, 2, v6
	v_lshl_or_b32 v53, v45, 2, 64
	v_and_or_b32 v18, s19, v34, 0x80000000
	v_cndmask_b32_e64 v26, 0, 2, vcc_lo
	v_add_nc_u32_e32 v54, 16, v45
	ds_bpermute_b32 v6, v28, v19
	v_ffbl_b32_e32 v18, v18
	v_add_lshl_u32 v36, v26, v45, 2
	v_cmp_lt_u32_e32 vcc_lo, v45, v18
	s_waitcnt lgkmcnt(0)
	v_cndmask_b32_e32 v6, 0, v6, vcc_lo
	v_cmp_gt_u32_e32 vcc_lo, 28, v45
	v_add_nc_u32_e32 v6, v6, v19
	v_cndmask_b32_e64 v26, 0, 4, vcc_lo
	v_cmp_le_u32_e32 vcc_lo, v48, v18
	ds_bpermute_b32 v19, v36, v6
	v_add_lshl_u32 v49, v26, v45, 2
	s_waitcnt lgkmcnt(0)
	v_cndmask_b32_e32 v19, 0, v19, vcc_lo
	v_cmp_gt_u32_e32 vcc_lo, 24, v45
	v_add_nc_u32_e32 v6, v6, v19
	v_cndmask_b32_e64 v26, 0, 8, vcc_lo
	v_cmp_le_u32_e32 vcc_lo, v50, v18
	ds_bpermute_b32 v19, v49, v6
	v_add_lshl_u32 v51, v26, v45, 2
	s_waitcnt lgkmcnt(0)
	v_cndmask_b32_e32 v19, 0, v19, vcc_lo
	v_cmp_le_u32_e32 vcc_lo, v52, v18
	v_add_nc_u32_e32 v6, v6, v19
	ds_bpermute_b32 v19, v51, v6
	s_waitcnt lgkmcnt(0)
	v_cndmask_b32_e32 v19, 0, v19, vcc_lo
	v_cmp_le_u32_e32 vcc_lo, v54, v18
	v_add_nc_u32_e32 v6, v6, v19
	ds_bpermute_b32 v19, v53, v6
	s_waitcnt lgkmcnt(0)
	v_cndmask_b32_e32 v18, 0, v19, vcc_lo
	v_add_nc_u32_e32 v19, v6, v18
	v_mov_b32_e32 v18, 0
	s_branch .LBB233_63
.LBB233_61:                             ;   in Loop: Header=BB233_63 Depth=1
	s_or_b32 exec_lo, exec_lo, s19
	ds_bpermute_b32 v26, v28, v19
	v_cmp_eq_u16_sdwa s19, v20, v29 src0_sel:BYTE_0 src1_sel:DWORD
	v_subrev_nc_u32_e32 v17, 32, v17
	v_and_or_b32 v27, s19, v34, 0x80000000
	s_mov_b32 s19, 0
	v_ffbl_b32_e32 v27, v27
	v_cmp_lt_u32_e32 vcc_lo, v45, v27
	s_waitcnt lgkmcnt(0)
	v_cndmask_b32_e32 v26, 0, v26, vcc_lo
	v_cmp_le_u32_e32 vcc_lo, v48, v27
	v_add_nc_u32_e32 v19, v26, v19
	ds_bpermute_b32 v26, v36, v19
	s_waitcnt lgkmcnt(0)
	v_cndmask_b32_e32 v26, 0, v26, vcc_lo
	v_cmp_le_u32_e32 vcc_lo, v50, v27
	v_add_nc_u32_e32 v19, v19, v26
	ds_bpermute_b32 v26, v49, v19
	;; [unrolled: 5-line block ×4, first 2 shown]
	s_waitcnt lgkmcnt(0)
	v_cndmask_b32_e32 v26, 0, v26, vcc_lo
	v_add3_u32 v19, v26, v6, v19
.LBB233_62:                             ;   in Loop: Header=BB233_63 Depth=1
	s_and_b32 vcc_lo, exec_lo, s19
	s_cbranch_vccnz .LBB233_68
.LBB233_63:                             ; =>This Loop Header: Depth=1
                                        ;     Child Loop BB233_66 Depth 2
	v_cmp_ne_u16_sdwa s19, v20, v29 src0_sel:BYTE_0 src1_sel:DWORD
	v_mov_b32_e32 v6, v19
                                        ; implicit-def: $vgpr19
                                        ; implicit-def: $vgpr20
	s_cmp_lg_u32 s19, exec_lo
	s_mov_b32 s19, -1
	s_cbranch_scc1 .LBB233_62
; %bb.64:                               ;   in Loop: Header=BB233_63 Depth=1
	v_lshlrev_b64 v[19:20], 3, v[17:18]
	v_add_co_u32 v26, vcc_lo, s16, v19
	v_add_co_ci_u32_e64 v27, null, s17, v20, vcc_lo
	global_load_dwordx2 v[19:20], v[26:27], off glc dlc
	s_waitcnt vmcnt(0)
	v_cmp_eq_u16_sdwa s20, v20, v18 src0_sel:BYTE_0 src1_sel:DWORD
	s_and_saveexec_b32 s19, s20
	s_cbranch_execz .LBB233_61
; %bb.65:                               ;   in Loop: Header=BB233_63 Depth=1
	s_mov_b32 s20, 0
.LBB233_66:                             ;   Parent Loop BB233_63 Depth=1
                                        ; =>  This Inner Loop Header: Depth=2
	global_load_dwordx2 v[19:20], v[26:27], off glc dlc
	s_waitcnt vmcnt(0)
	v_cmp_ne_u16_sdwa s21, v20, v18 src0_sel:BYTE_0 src1_sel:DWORD
	s_or_b32 s20, s21, s20
	s_andn2_b32 exec_lo, exec_lo, s20
	s_cbranch_execnz .LBB233_66
; %bb.67:                               ;   in Loop: Header=BB233_63 Depth=1
	s_or_b32 exec_lo, exec_lo, s20
	s_branch .LBB233_61
.LBB233_68:
	s_and_saveexec_b32 s19, s9
	s_cbranch_execz .LBB233_70
; %bb.69:
	s_add_i32 s20, s6, 32
	s_mov_b32 s21, 0
	v_add_nc_u32_e32 v17, v6, v5
	v_mov_b32_e32 v18, 2
	s_lshl_b64 s[20:21], s[20:21], 3
	v_mov_b32_e32 v19, 0
	s_add_u32 s20, s16, s20
	s_addc_u32 s21, s17, s21
	global_store_dwordx2 v19, v[17:18], s[20:21]
	ds_write_b64 v19, v[5:6] offset:33792
.LBB233_70:
	s_or_b32 exec_lo, exec_lo, s19
	v_cmp_eq_u32_e32 vcc_lo, 0, v0
	s_and_b32 exec_lo, exec_lo, vcc_lo
; %bb.71:
	v_mov_b32_e32 v5, 0
	ds_write_b32 v5, v6 offset:60
.LBB233_72:
	s_or_b32 exec_lo, exec_lo, s10
	v_mov_b32_e32 v5, 0
	s_waitcnt lgkmcnt(0)
	s_waitcnt_vscnt null, 0x0
	s_barrier
	buffer_gl0_inv
	v_cndmask_b32_e64 v17, v32, v30, s9
	ds_read_b32 v6, v5 offset:60
	v_cmp_ne_u32_e32 vcc_lo, 0, v0
	s_waitcnt lgkmcnt(0)
	s_barrier
	buffer_gl0_inv
	s_mov_b32 s9, 0
	v_cndmask_b32_e32 v17, 0, v17, vcc_lo
	v_add_nc_u32_e32 v36, v6, v17
	ds_read_b64 v[5:6], v5 offset:33792
	v_add_nc_u32_sdwa v34, v36, v23 dst_sel:DWORD dst_unused:UNUSED_PAD src0_sel:DWORD src1_sel:BYTE_0
	v_add_nc_u32_sdwa v32, v34, v43 dst_sel:DWORD dst_unused:UNUSED_PAD src0_sel:DWORD src1_sel:BYTE_0
	v_add_nc_u32_e32 v30, v32, v31
	v_add_nc_u32_e32 v28, v30, v33
	;; [unrolled: 1-line block ×5, first 2 shown]
.LBB233_73:
	s_load_dwordx2 s[4:5], s[4:5], 0x28
	s_and_b32 vcc_lo, exec_lo, s9
	s_cbranch_vccz .LBB233_83
; %bb.74:
	s_waitcnt lgkmcnt(0)
	v_mov_b32_dpp v5, v47 row_shr:1 row_mask:0xf bank_mask:0xf
	v_cndmask_b32_e64 v5, v5, 0, s0
	v_add_nc_u32_e32 v5, v5, v47
	v_mov_b32_dpp v6, v5 row_shr:2 row_mask:0xf bank_mask:0xf
	v_cndmask_b32_e64 v6, 0, v6, s2
	v_add_nc_u32_e32 v5, v5, v6
	;; [unrolled: 3-line block ×4, first 2 shown]
	ds_swizzle_b32 v6, v5 offset:swizzle(BROADCAST,32,15)
	s_waitcnt lgkmcnt(0)
	v_cndmask_b32_e64 v6, v6, 0, s8
	v_add_nc_u32_e32 v5, v5, v6
	s_and_saveexec_b32 s6, s7
; %bb.75:
	v_lshlrev_b32_e32 v6, 2, v46
	ds_write_b32 v6, v5
; %bb.76:
	s_or_b32 exec_lo, exec_lo, s6
	s_mov_b32 s6, exec_lo
	s_waitcnt lgkmcnt(0)
	s_barrier
	buffer_gl0_inv
	v_cmpx_gt_u32_e32 16, v0
	s_cbranch_execz .LBB233_78
; %bb.77:
	v_lshlrev_b32_e32 v6, 2, v0
	ds_read_b32 v17, v6
	s_waitcnt lgkmcnt(0)
	v_mov_b32_dpp v18, v17 row_shr:1 row_mask:0xf bank_mask:0xf
	v_cndmask_b32_e64 v18, v18, 0, s0
	v_add_nc_u32_e32 v17, v18, v17
	v_mov_b32_dpp v18, v17 row_shr:2 row_mask:0xf bank_mask:0xf
	v_cndmask_b32_e64 v18, 0, v18, s2
	v_add_nc_u32_e32 v17, v17, v18
	;; [unrolled: 3-line block ×4, first 2 shown]
	ds_write_b32 v6, v17
.LBB233_78:
	s_or_b32 exec_lo, exec_lo, s6
	v_mov_b32_e32 v6, 0
	v_mov_b32_e32 v17, 0
	s_mov_b32 s0, exec_lo
	s_waitcnt lgkmcnt(0)
	s_barrier
	buffer_gl0_inv
	v_cmpx_lt_u32_e32 31, v0
; %bb.79:
	v_lshl_add_u32 v17, v46, 2, -4
	ds_read_b32 v17, v17
; %bb.80:
	s_or_b32 exec_lo, exec_lo, s0
	v_sub_co_u32 v18, vcc_lo, v45, 1
	s_waitcnt lgkmcnt(0)
	v_add_nc_u32_e32 v5, v17, v5
	v_cmp_gt_i32_e64 s0, 0, v18
	v_cndmask_b32_e64 v18, v18, v45, s0
	v_cmp_eq_u32_e64 s0, 0, v0
	v_lshlrev_b32_e32 v18, 2, v18
	ds_bpermute_b32 v18, v18, v5
	ds_read_b32 v5, v6 offset:60
	s_and_saveexec_b32 s1, s0
	s_cbranch_execz .LBB233_82
; %bb.81:
	v_mov_b32_e32 v19, 0
	v_mov_b32_e32 v6, 2
	s_waitcnt lgkmcnt(0)
	global_store_dwordx2 v19, v[5:6], s[16:17] offset:256
.LBB233_82:
	s_or_b32 exec_lo, exec_lo, s1
	s_waitcnt lgkmcnt(1)
	v_cndmask_b32_e32 v6, v18, v17, vcc_lo
	s_waitcnt lgkmcnt(0)
	s_waitcnt_vscnt null, 0x0
	s_barrier
	buffer_gl0_inv
	v_cndmask_b32_e64 v36, v6, 0, s0
	v_mov_b32_e32 v6, 0
	v_add_nc_u32_sdwa v34, v36, v23 dst_sel:DWORD dst_unused:UNUSED_PAD src0_sel:DWORD src1_sel:BYTE_0
	v_add_nc_u32_sdwa v32, v34, v43 dst_sel:DWORD dst_unused:UNUSED_PAD src0_sel:DWORD src1_sel:BYTE_0
	v_add_nc_u32_e32 v30, v32, v31
	v_add_nc_u32_e32 v28, v30, v33
	;; [unrolled: 1-line block ×5, first 2 shown]
.LBB233_83:
	v_and_b32_e32 v23, 1, v23
	s_waitcnt lgkmcnt(0)
	v_cmp_gt_u32_e32 vcc_lo, 0x201, v5
	s_mov_b32 s1, -1
	v_cmp_eq_u32_e64 s0, 1, v23
	s_cbranch_vccnz .LBB233_87
; %bb.84:
	s_and_b32 vcc_lo, exec_lo, s1
	s_cbranch_vccnz .LBB233_104
.LBB233_85:
	v_cmp_eq_u32_e32 vcc_lo, 0, v0
	s_and_b32 s0, vcc_lo, s11
	s_and_saveexec_b32 s1, s0
	s_cbranch_execnz .LBB233_124
.LBB233_86:
	s_endpgm
.LBB233_87:
	v_add_nc_u32_e32 v18, v6, v5
	s_lshl_b64 s[2:3], s[14:15], 3
	s_add_u32 s1, s4, s2
	s_addc_u32 s2, s5, s3
	v_cmp_lt_u32_e32 vcc_lo, v36, v18
	s_or_b32 s3, s18, vcc_lo
	s_and_b32 s3, s3, s0
	s_and_saveexec_b32 s0, s3
	s_cbranch_execz .LBB233_89
; %bb.88:
	v_mov_b32_e32 v37, 0
	v_lshlrev_b64 v[44:45], 3, v[36:37]
	v_add_co_u32 v44, vcc_lo, s1, v44
	v_add_co_ci_u32_e64 v45, null, s2, v45, vcc_lo
	global_store_dwordx2 v[44:45], v[13:14], off
.LBB233_89:
	s_or_b32 exec_lo, exec_lo, s0
	v_and_b32_e32 v20, 1, v43
	v_cmp_lt_u32_e32 vcc_lo, v34, v18
	v_cmp_eq_u32_e64 s0, 1, v20
	s_or_b32 s3, s18, vcc_lo
	s_and_b32 s3, s3, s0
	s_and_saveexec_b32 s0, s3
	s_cbranch_execz .LBB233_91
; %bb.90:
	v_mov_b32_e32 v35, 0
	v_lshlrev_b64 v[44:45], 3, v[34:35]
	v_add_co_u32 v44, vcc_lo, s1, v44
	v_add_co_ci_u32_e64 v45, null, s2, v45, vcc_lo
	global_store_dwordx2 v[44:45], v[15:16], off
.LBB233_91:
	s_or_b32 exec_lo, exec_lo, s0
	v_and_b32_e32 v20, 1, v42
	v_cmp_lt_u32_e32 vcc_lo, v32, v18
	v_cmp_eq_u32_e64 s0, 1, v20
	;; [unrolled: 15-line block ×7, first 2 shown]
	s_or_b32 s3, s18, vcc_lo
	s_and_b32 s3, s3, s0
	s_and_saveexec_b32 s0, s3
	s_cbranch_execz .LBB233_103
; %bb.102:
	v_mov_b32_e32 v18, 0
	v_lshlrev_b64 v[44:45], 3, v[17:18]
	v_add_co_u32 v44, vcc_lo, s1, v44
	v_add_co_ci_u32_e64 v45, null, s2, v45, vcc_lo
	global_store_dwordx2 v[44:45], v[21:22], off
.LBB233_103:
	s_or_b32 exec_lo, exec_lo, s0
	s_branch .LBB233_85
.LBB233_104:
	s_mov_b32 s0, exec_lo
	v_cmpx_eq_u32_e32 1, v23
; %bb.105:
	v_sub_nc_u32_e32 v18, v36, v6
	v_lshlrev_b32_e32 v18, 3, v18
	ds_write_b64 v18, v[13:14]
; %bb.106:
	s_or_b32 exec_lo, exec_lo, s0
	v_and_b32_e32 v13, 1, v43
	s_mov_b32 s0, exec_lo
	v_cmpx_eq_u32_e32 1, v13
; %bb.107:
	v_sub_nc_u32_e32 v13, v34, v6
	v_lshlrev_b32_e32 v13, 3, v13
	ds_write_b64 v13, v[15:16]
; %bb.108:
	s_or_b32 exec_lo, exec_lo, s0
	v_and_b32_e32 v13, 1, v42
	;; [unrolled: 9-line block ×7, first 2 shown]
	s_mov_b32 s0, exec_lo
	v_cmpx_eq_u32_e32 1, v1
; %bb.119:
	v_sub_nc_u32_e32 v1, v17, v6
	v_lshlrev_b32_e32 v1, 3, v1
	ds_write_b64 v1, v[21:22]
; %bb.120:
	s_or_b32 exec_lo, exec_lo, s0
	s_mov_b32 s1, exec_lo
	s_waitcnt lgkmcnt(0)
	s_waitcnt_vscnt null, 0x0
	s_barrier
	buffer_gl0_inv
	v_cmpx_lt_u32_e64 v0, v5
	s_cbranch_execz .LBB233_123
; %bb.121:
	v_mov_b32_e32 v2, 0
	v_mov_b32_e32 v1, v6
	s_lshl_b64 s[2:3], s[14:15], 3
	v_mov_b32_e32 v3, v0
	v_lshlrev_b64 v[1:2], 3, v[1:2]
	v_add_co_u32 v1, vcc_lo, s2, v1
	v_add_co_ci_u32_e64 v2, null, s3, v2, vcc_lo
	s_mov_b32 s2, 0
	v_add_co_u32 v1, vcc_lo, s4, v1
	v_add_co_ci_u32_e64 v2, null, s5, v2, vcc_lo
	v_add_co_u32 v1, vcc_lo, v1, v38
	v_add_co_ci_u32_e64 v2, null, 0, v2, vcc_lo
	.p2align	6
.LBB233_122:                            ; =>This Inner Loop Header: Depth=1
	ds_read_b64 v[7:8], v38
	v_add_nc_u32_e32 v3, 0x200, v3
	v_add_nc_u32_e32 v38, 0x1000, v38
	v_cmp_ge_u32_e32 vcc_lo, v3, v5
	s_or_b32 s2, vcc_lo, s2
	s_waitcnt lgkmcnt(0)
	global_store_dwordx2 v[1:2], v[7:8], off
	v_add_co_u32 v1, s0, 0x1000, v1
	v_add_co_ci_u32_e64 v2, null, 0, v2, s0
	s_andn2_b32 exec_lo, exec_lo, s2
	s_cbranch_execnz .LBB233_122
.LBB233_123:
	s_or_b32 exec_lo, exec_lo, s1
	v_cmp_eq_u32_e32 vcc_lo, 0, v0
	s_and_b32 s0, vcc_lo, s11
	s_and_saveexec_b32 s1, s0
	s_cbranch_execz .LBB233_86
.LBB233_124:
	v_add_co_u32 v0, s0, s14, v5
	v_add_co_ci_u32_e64 v1, null, s15, 0, s0
	v_mov_b32_e32 v2, 0
	v_add_co_u32 v0, vcc_lo, v0, v6
	v_add_co_ci_u32_e64 v1, null, 0, v1, vcc_lo
	global_store_dwordx2 v2, v[0:1], s[12:13]
	s_endpgm
	.section	.rodata,"a",@progbits
	.p2align	6, 0x0
	.amdhsa_kernel _ZN7rocprim17ROCPRIM_400000_NS6detail17trampoline_kernelINS0_14default_configENS1_25partition_config_selectorILNS1_17partition_subalgoE8ElNS0_10empty_typeEbEEZZNS1_14partition_implILS5_8ELb0ES3_jPKlPS6_PKS6_NS0_5tupleIJPlS6_EEENSE_IJSB_SB_EEENS0_18inequality_wrapperIN6hipcub16HIPCUB_304000_NS8EqualityEEESF_JS6_EEE10hipError_tPvRmT3_T4_T5_T6_T7_T9_mT8_P12ihipStream_tbDpT10_ENKUlT_T0_E_clISt17integral_constantIbLb0EES16_EEDaS11_S12_EUlS11_E_NS1_11comp_targetILNS1_3genE8ELNS1_11target_archE1030ELNS1_3gpuE2ELNS1_3repE0EEENS1_30default_config_static_selectorELNS0_4arch9wavefront6targetE0EEEvT1_
		.amdhsa_group_segment_fixed_size 33800
		.amdhsa_private_segment_fixed_size 0
		.amdhsa_kernarg_size 112
		.amdhsa_user_sgpr_count 6
		.amdhsa_user_sgpr_private_segment_buffer 1
		.amdhsa_user_sgpr_dispatch_ptr 0
		.amdhsa_user_sgpr_queue_ptr 0
		.amdhsa_user_sgpr_kernarg_segment_ptr 1
		.amdhsa_user_sgpr_dispatch_id 0
		.amdhsa_user_sgpr_flat_scratch_init 0
		.amdhsa_user_sgpr_private_segment_size 0
		.amdhsa_wavefront_size32 1
		.amdhsa_uses_dynamic_stack 0
		.amdhsa_system_sgpr_private_segment_wavefront_offset 0
		.amdhsa_system_sgpr_workgroup_id_x 1
		.amdhsa_system_sgpr_workgroup_id_y 0
		.amdhsa_system_sgpr_workgroup_id_z 0
		.amdhsa_system_sgpr_workgroup_info 0
		.amdhsa_system_vgpr_workitem_id 0
		.amdhsa_next_free_vgpr 65
		.amdhsa_next_free_sgpr 22
		.amdhsa_reserve_vcc 1
		.amdhsa_reserve_flat_scratch 0
		.amdhsa_float_round_mode_32 0
		.amdhsa_float_round_mode_16_64 0
		.amdhsa_float_denorm_mode_32 3
		.amdhsa_float_denorm_mode_16_64 3
		.amdhsa_dx10_clamp 1
		.amdhsa_ieee_mode 1
		.amdhsa_fp16_overflow 0
		.amdhsa_workgroup_processor_mode 1
		.amdhsa_memory_ordered 1
		.amdhsa_forward_progress 1
		.amdhsa_shared_vgpr_count 0
		.amdhsa_exception_fp_ieee_invalid_op 0
		.amdhsa_exception_fp_denorm_src 0
		.amdhsa_exception_fp_ieee_div_zero 0
		.amdhsa_exception_fp_ieee_overflow 0
		.amdhsa_exception_fp_ieee_underflow 0
		.amdhsa_exception_fp_ieee_inexact 0
		.amdhsa_exception_int_div_zero 0
	.end_amdhsa_kernel
	.section	.text._ZN7rocprim17ROCPRIM_400000_NS6detail17trampoline_kernelINS0_14default_configENS1_25partition_config_selectorILNS1_17partition_subalgoE8ElNS0_10empty_typeEbEEZZNS1_14partition_implILS5_8ELb0ES3_jPKlPS6_PKS6_NS0_5tupleIJPlS6_EEENSE_IJSB_SB_EEENS0_18inequality_wrapperIN6hipcub16HIPCUB_304000_NS8EqualityEEESF_JS6_EEE10hipError_tPvRmT3_T4_T5_T6_T7_T9_mT8_P12ihipStream_tbDpT10_ENKUlT_T0_E_clISt17integral_constantIbLb0EES16_EEDaS11_S12_EUlS11_E_NS1_11comp_targetILNS1_3genE8ELNS1_11target_archE1030ELNS1_3gpuE2ELNS1_3repE0EEENS1_30default_config_static_selectorELNS0_4arch9wavefront6targetE0EEEvT1_,"axG",@progbits,_ZN7rocprim17ROCPRIM_400000_NS6detail17trampoline_kernelINS0_14default_configENS1_25partition_config_selectorILNS1_17partition_subalgoE8ElNS0_10empty_typeEbEEZZNS1_14partition_implILS5_8ELb0ES3_jPKlPS6_PKS6_NS0_5tupleIJPlS6_EEENSE_IJSB_SB_EEENS0_18inequality_wrapperIN6hipcub16HIPCUB_304000_NS8EqualityEEESF_JS6_EEE10hipError_tPvRmT3_T4_T5_T6_T7_T9_mT8_P12ihipStream_tbDpT10_ENKUlT_T0_E_clISt17integral_constantIbLb0EES16_EEDaS11_S12_EUlS11_E_NS1_11comp_targetILNS1_3genE8ELNS1_11target_archE1030ELNS1_3gpuE2ELNS1_3repE0EEENS1_30default_config_static_selectorELNS0_4arch9wavefront6targetE0EEEvT1_,comdat
.Lfunc_end233:
	.size	_ZN7rocprim17ROCPRIM_400000_NS6detail17trampoline_kernelINS0_14default_configENS1_25partition_config_selectorILNS1_17partition_subalgoE8ElNS0_10empty_typeEbEEZZNS1_14partition_implILS5_8ELb0ES3_jPKlPS6_PKS6_NS0_5tupleIJPlS6_EEENSE_IJSB_SB_EEENS0_18inequality_wrapperIN6hipcub16HIPCUB_304000_NS8EqualityEEESF_JS6_EEE10hipError_tPvRmT3_T4_T5_T6_T7_T9_mT8_P12ihipStream_tbDpT10_ENKUlT_T0_E_clISt17integral_constantIbLb0EES16_EEDaS11_S12_EUlS11_E_NS1_11comp_targetILNS1_3genE8ELNS1_11target_archE1030ELNS1_3gpuE2ELNS1_3repE0EEENS1_30default_config_static_selectorELNS0_4arch9wavefront6targetE0EEEvT1_, .Lfunc_end233-_ZN7rocprim17ROCPRIM_400000_NS6detail17trampoline_kernelINS0_14default_configENS1_25partition_config_selectorILNS1_17partition_subalgoE8ElNS0_10empty_typeEbEEZZNS1_14partition_implILS5_8ELb0ES3_jPKlPS6_PKS6_NS0_5tupleIJPlS6_EEENSE_IJSB_SB_EEENS0_18inequality_wrapperIN6hipcub16HIPCUB_304000_NS8EqualityEEESF_JS6_EEE10hipError_tPvRmT3_T4_T5_T6_T7_T9_mT8_P12ihipStream_tbDpT10_ENKUlT_T0_E_clISt17integral_constantIbLb0EES16_EEDaS11_S12_EUlS11_E_NS1_11comp_targetILNS1_3genE8ELNS1_11target_archE1030ELNS1_3gpuE2ELNS1_3repE0EEENS1_30default_config_static_selectorELNS0_4arch9wavefront6targetE0EEEvT1_
                                        ; -- End function
	.set _ZN7rocprim17ROCPRIM_400000_NS6detail17trampoline_kernelINS0_14default_configENS1_25partition_config_selectorILNS1_17partition_subalgoE8ElNS0_10empty_typeEbEEZZNS1_14partition_implILS5_8ELb0ES3_jPKlPS6_PKS6_NS0_5tupleIJPlS6_EEENSE_IJSB_SB_EEENS0_18inequality_wrapperIN6hipcub16HIPCUB_304000_NS8EqualityEEESF_JS6_EEE10hipError_tPvRmT3_T4_T5_T6_T7_T9_mT8_P12ihipStream_tbDpT10_ENKUlT_T0_E_clISt17integral_constantIbLb0EES16_EEDaS11_S12_EUlS11_E_NS1_11comp_targetILNS1_3genE8ELNS1_11target_archE1030ELNS1_3gpuE2ELNS1_3repE0EEENS1_30default_config_static_selectorELNS0_4arch9wavefront6targetE0EEEvT1_.num_vgpr, 55
	.set _ZN7rocprim17ROCPRIM_400000_NS6detail17trampoline_kernelINS0_14default_configENS1_25partition_config_selectorILNS1_17partition_subalgoE8ElNS0_10empty_typeEbEEZZNS1_14partition_implILS5_8ELb0ES3_jPKlPS6_PKS6_NS0_5tupleIJPlS6_EEENSE_IJSB_SB_EEENS0_18inequality_wrapperIN6hipcub16HIPCUB_304000_NS8EqualityEEESF_JS6_EEE10hipError_tPvRmT3_T4_T5_T6_T7_T9_mT8_P12ihipStream_tbDpT10_ENKUlT_T0_E_clISt17integral_constantIbLb0EES16_EEDaS11_S12_EUlS11_E_NS1_11comp_targetILNS1_3genE8ELNS1_11target_archE1030ELNS1_3gpuE2ELNS1_3repE0EEENS1_30default_config_static_selectorELNS0_4arch9wavefront6targetE0EEEvT1_.num_agpr, 0
	.set _ZN7rocprim17ROCPRIM_400000_NS6detail17trampoline_kernelINS0_14default_configENS1_25partition_config_selectorILNS1_17partition_subalgoE8ElNS0_10empty_typeEbEEZZNS1_14partition_implILS5_8ELb0ES3_jPKlPS6_PKS6_NS0_5tupleIJPlS6_EEENSE_IJSB_SB_EEENS0_18inequality_wrapperIN6hipcub16HIPCUB_304000_NS8EqualityEEESF_JS6_EEE10hipError_tPvRmT3_T4_T5_T6_T7_T9_mT8_P12ihipStream_tbDpT10_ENKUlT_T0_E_clISt17integral_constantIbLb0EES16_EEDaS11_S12_EUlS11_E_NS1_11comp_targetILNS1_3genE8ELNS1_11target_archE1030ELNS1_3gpuE2ELNS1_3repE0EEENS1_30default_config_static_selectorELNS0_4arch9wavefront6targetE0EEEvT1_.numbered_sgpr, 22
	.set _ZN7rocprim17ROCPRIM_400000_NS6detail17trampoline_kernelINS0_14default_configENS1_25partition_config_selectorILNS1_17partition_subalgoE8ElNS0_10empty_typeEbEEZZNS1_14partition_implILS5_8ELb0ES3_jPKlPS6_PKS6_NS0_5tupleIJPlS6_EEENSE_IJSB_SB_EEENS0_18inequality_wrapperIN6hipcub16HIPCUB_304000_NS8EqualityEEESF_JS6_EEE10hipError_tPvRmT3_T4_T5_T6_T7_T9_mT8_P12ihipStream_tbDpT10_ENKUlT_T0_E_clISt17integral_constantIbLb0EES16_EEDaS11_S12_EUlS11_E_NS1_11comp_targetILNS1_3genE8ELNS1_11target_archE1030ELNS1_3gpuE2ELNS1_3repE0EEENS1_30default_config_static_selectorELNS0_4arch9wavefront6targetE0EEEvT1_.num_named_barrier, 0
	.set _ZN7rocprim17ROCPRIM_400000_NS6detail17trampoline_kernelINS0_14default_configENS1_25partition_config_selectorILNS1_17partition_subalgoE8ElNS0_10empty_typeEbEEZZNS1_14partition_implILS5_8ELb0ES3_jPKlPS6_PKS6_NS0_5tupleIJPlS6_EEENSE_IJSB_SB_EEENS0_18inequality_wrapperIN6hipcub16HIPCUB_304000_NS8EqualityEEESF_JS6_EEE10hipError_tPvRmT3_T4_T5_T6_T7_T9_mT8_P12ihipStream_tbDpT10_ENKUlT_T0_E_clISt17integral_constantIbLb0EES16_EEDaS11_S12_EUlS11_E_NS1_11comp_targetILNS1_3genE8ELNS1_11target_archE1030ELNS1_3gpuE2ELNS1_3repE0EEENS1_30default_config_static_selectorELNS0_4arch9wavefront6targetE0EEEvT1_.private_seg_size, 0
	.set _ZN7rocprim17ROCPRIM_400000_NS6detail17trampoline_kernelINS0_14default_configENS1_25partition_config_selectorILNS1_17partition_subalgoE8ElNS0_10empty_typeEbEEZZNS1_14partition_implILS5_8ELb0ES3_jPKlPS6_PKS6_NS0_5tupleIJPlS6_EEENSE_IJSB_SB_EEENS0_18inequality_wrapperIN6hipcub16HIPCUB_304000_NS8EqualityEEESF_JS6_EEE10hipError_tPvRmT3_T4_T5_T6_T7_T9_mT8_P12ihipStream_tbDpT10_ENKUlT_T0_E_clISt17integral_constantIbLb0EES16_EEDaS11_S12_EUlS11_E_NS1_11comp_targetILNS1_3genE8ELNS1_11target_archE1030ELNS1_3gpuE2ELNS1_3repE0EEENS1_30default_config_static_selectorELNS0_4arch9wavefront6targetE0EEEvT1_.uses_vcc, 1
	.set _ZN7rocprim17ROCPRIM_400000_NS6detail17trampoline_kernelINS0_14default_configENS1_25partition_config_selectorILNS1_17partition_subalgoE8ElNS0_10empty_typeEbEEZZNS1_14partition_implILS5_8ELb0ES3_jPKlPS6_PKS6_NS0_5tupleIJPlS6_EEENSE_IJSB_SB_EEENS0_18inequality_wrapperIN6hipcub16HIPCUB_304000_NS8EqualityEEESF_JS6_EEE10hipError_tPvRmT3_T4_T5_T6_T7_T9_mT8_P12ihipStream_tbDpT10_ENKUlT_T0_E_clISt17integral_constantIbLb0EES16_EEDaS11_S12_EUlS11_E_NS1_11comp_targetILNS1_3genE8ELNS1_11target_archE1030ELNS1_3gpuE2ELNS1_3repE0EEENS1_30default_config_static_selectorELNS0_4arch9wavefront6targetE0EEEvT1_.uses_flat_scratch, 0
	.set _ZN7rocprim17ROCPRIM_400000_NS6detail17trampoline_kernelINS0_14default_configENS1_25partition_config_selectorILNS1_17partition_subalgoE8ElNS0_10empty_typeEbEEZZNS1_14partition_implILS5_8ELb0ES3_jPKlPS6_PKS6_NS0_5tupleIJPlS6_EEENSE_IJSB_SB_EEENS0_18inequality_wrapperIN6hipcub16HIPCUB_304000_NS8EqualityEEESF_JS6_EEE10hipError_tPvRmT3_T4_T5_T6_T7_T9_mT8_P12ihipStream_tbDpT10_ENKUlT_T0_E_clISt17integral_constantIbLb0EES16_EEDaS11_S12_EUlS11_E_NS1_11comp_targetILNS1_3genE8ELNS1_11target_archE1030ELNS1_3gpuE2ELNS1_3repE0EEENS1_30default_config_static_selectorELNS0_4arch9wavefront6targetE0EEEvT1_.has_dyn_sized_stack, 0
	.set _ZN7rocprim17ROCPRIM_400000_NS6detail17trampoline_kernelINS0_14default_configENS1_25partition_config_selectorILNS1_17partition_subalgoE8ElNS0_10empty_typeEbEEZZNS1_14partition_implILS5_8ELb0ES3_jPKlPS6_PKS6_NS0_5tupleIJPlS6_EEENSE_IJSB_SB_EEENS0_18inequality_wrapperIN6hipcub16HIPCUB_304000_NS8EqualityEEESF_JS6_EEE10hipError_tPvRmT3_T4_T5_T6_T7_T9_mT8_P12ihipStream_tbDpT10_ENKUlT_T0_E_clISt17integral_constantIbLb0EES16_EEDaS11_S12_EUlS11_E_NS1_11comp_targetILNS1_3genE8ELNS1_11target_archE1030ELNS1_3gpuE2ELNS1_3repE0EEENS1_30default_config_static_selectorELNS0_4arch9wavefront6targetE0EEEvT1_.has_recursion, 0
	.set _ZN7rocprim17ROCPRIM_400000_NS6detail17trampoline_kernelINS0_14default_configENS1_25partition_config_selectorILNS1_17partition_subalgoE8ElNS0_10empty_typeEbEEZZNS1_14partition_implILS5_8ELb0ES3_jPKlPS6_PKS6_NS0_5tupleIJPlS6_EEENSE_IJSB_SB_EEENS0_18inequality_wrapperIN6hipcub16HIPCUB_304000_NS8EqualityEEESF_JS6_EEE10hipError_tPvRmT3_T4_T5_T6_T7_T9_mT8_P12ihipStream_tbDpT10_ENKUlT_T0_E_clISt17integral_constantIbLb0EES16_EEDaS11_S12_EUlS11_E_NS1_11comp_targetILNS1_3genE8ELNS1_11target_archE1030ELNS1_3gpuE2ELNS1_3repE0EEENS1_30default_config_static_selectorELNS0_4arch9wavefront6targetE0EEEvT1_.has_indirect_call, 0
	.section	.AMDGPU.csdata,"",@progbits
; Kernel info:
; codeLenInByte = 6412
; TotalNumSgprs: 24
; NumVgprs: 55
; ScratchSize: 0
; MemoryBound: 0
; FloatMode: 240
; IeeeMode: 1
; LDSByteSize: 33800 bytes/workgroup (compile time only)
; SGPRBlocks: 0
; VGPRBlocks: 8
; NumSGPRsForWavesPerEU: 24
; NumVGPRsForWavesPerEU: 65
; Occupancy: 12
; WaveLimiterHint : 1
; COMPUTE_PGM_RSRC2:SCRATCH_EN: 0
; COMPUTE_PGM_RSRC2:USER_SGPR: 6
; COMPUTE_PGM_RSRC2:TRAP_HANDLER: 0
; COMPUTE_PGM_RSRC2:TGID_X_EN: 1
; COMPUTE_PGM_RSRC2:TGID_Y_EN: 0
; COMPUTE_PGM_RSRC2:TGID_Z_EN: 0
; COMPUTE_PGM_RSRC2:TIDIG_COMP_CNT: 0
	.section	.text._ZN7rocprim17ROCPRIM_400000_NS6detail17trampoline_kernelINS0_14default_configENS1_25partition_config_selectorILNS1_17partition_subalgoE8ElNS0_10empty_typeEbEEZZNS1_14partition_implILS5_8ELb0ES3_jPKlPS6_PKS6_NS0_5tupleIJPlS6_EEENSE_IJSB_SB_EEENS0_18inequality_wrapperIN6hipcub16HIPCUB_304000_NS8EqualityEEESF_JS6_EEE10hipError_tPvRmT3_T4_T5_T6_T7_T9_mT8_P12ihipStream_tbDpT10_ENKUlT_T0_E_clISt17integral_constantIbLb1EES16_EEDaS11_S12_EUlS11_E_NS1_11comp_targetILNS1_3genE0ELNS1_11target_archE4294967295ELNS1_3gpuE0ELNS1_3repE0EEENS1_30default_config_static_selectorELNS0_4arch9wavefront6targetE0EEEvT1_,"axG",@progbits,_ZN7rocprim17ROCPRIM_400000_NS6detail17trampoline_kernelINS0_14default_configENS1_25partition_config_selectorILNS1_17partition_subalgoE8ElNS0_10empty_typeEbEEZZNS1_14partition_implILS5_8ELb0ES3_jPKlPS6_PKS6_NS0_5tupleIJPlS6_EEENSE_IJSB_SB_EEENS0_18inequality_wrapperIN6hipcub16HIPCUB_304000_NS8EqualityEEESF_JS6_EEE10hipError_tPvRmT3_T4_T5_T6_T7_T9_mT8_P12ihipStream_tbDpT10_ENKUlT_T0_E_clISt17integral_constantIbLb1EES16_EEDaS11_S12_EUlS11_E_NS1_11comp_targetILNS1_3genE0ELNS1_11target_archE4294967295ELNS1_3gpuE0ELNS1_3repE0EEENS1_30default_config_static_selectorELNS0_4arch9wavefront6targetE0EEEvT1_,comdat
	.protected	_ZN7rocprim17ROCPRIM_400000_NS6detail17trampoline_kernelINS0_14default_configENS1_25partition_config_selectorILNS1_17partition_subalgoE8ElNS0_10empty_typeEbEEZZNS1_14partition_implILS5_8ELb0ES3_jPKlPS6_PKS6_NS0_5tupleIJPlS6_EEENSE_IJSB_SB_EEENS0_18inequality_wrapperIN6hipcub16HIPCUB_304000_NS8EqualityEEESF_JS6_EEE10hipError_tPvRmT3_T4_T5_T6_T7_T9_mT8_P12ihipStream_tbDpT10_ENKUlT_T0_E_clISt17integral_constantIbLb1EES16_EEDaS11_S12_EUlS11_E_NS1_11comp_targetILNS1_3genE0ELNS1_11target_archE4294967295ELNS1_3gpuE0ELNS1_3repE0EEENS1_30default_config_static_selectorELNS0_4arch9wavefront6targetE0EEEvT1_ ; -- Begin function _ZN7rocprim17ROCPRIM_400000_NS6detail17trampoline_kernelINS0_14default_configENS1_25partition_config_selectorILNS1_17partition_subalgoE8ElNS0_10empty_typeEbEEZZNS1_14partition_implILS5_8ELb0ES3_jPKlPS6_PKS6_NS0_5tupleIJPlS6_EEENSE_IJSB_SB_EEENS0_18inequality_wrapperIN6hipcub16HIPCUB_304000_NS8EqualityEEESF_JS6_EEE10hipError_tPvRmT3_T4_T5_T6_T7_T9_mT8_P12ihipStream_tbDpT10_ENKUlT_T0_E_clISt17integral_constantIbLb1EES16_EEDaS11_S12_EUlS11_E_NS1_11comp_targetILNS1_3genE0ELNS1_11target_archE4294967295ELNS1_3gpuE0ELNS1_3repE0EEENS1_30default_config_static_selectorELNS0_4arch9wavefront6targetE0EEEvT1_
	.globl	_ZN7rocprim17ROCPRIM_400000_NS6detail17trampoline_kernelINS0_14default_configENS1_25partition_config_selectorILNS1_17partition_subalgoE8ElNS0_10empty_typeEbEEZZNS1_14partition_implILS5_8ELb0ES3_jPKlPS6_PKS6_NS0_5tupleIJPlS6_EEENSE_IJSB_SB_EEENS0_18inequality_wrapperIN6hipcub16HIPCUB_304000_NS8EqualityEEESF_JS6_EEE10hipError_tPvRmT3_T4_T5_T6_T7_T9_mT8_P12ihipStream_tbDpT10_ENKUlT_T0_E_clISt17integral_constantIbLb1EES16_EEDaS11_S12_EUlS11_E_NS1_11comp_targetILNS1_3genE0ELNS1_11target_archE4294967295ELNS1_3gpuE0ELNS1_3repE0EEENS1_30default_config_static_selectorELNS0_4arch9wavefront6targetE0EEEvT1_
	.p2align	8
	.type	_ZN7rocprim17ROCPRIM_400000_NS6detail17trampoline_kernelINS0_14default_configENS1_25partition_config_selectorILNS1_17partition_subalgoE8ElNS0_10empty_typeEbEEZZNS1_14partition_implILS5_8ELb0ES3_jPKlPS6_PKS6_NS0_5tupleIJPlS6_EEENSE_IJSB_SB_EEENS0_18inequality_wrapperIN6hipcub16HIPCUB_304000_NS8EqualityEEESF_JS6_EEE10hipError_tPvRmT3_T4_T5_T6_T7_T9_mT8_P12ihipStream_tbDpT10_ENKUlT_T0_E_clISt17integral_constantIbLb1EES16_EEDaS11_S12_EUlS11_E_NS1_11comp_targetILNS1_3genE0ELNS1_11target_archE4294967295ELNS1_3gpuE0ELNS1_3repE0EEENS1_30default_config_static_selectorELNS0_4arch9wavefront6targetE0EEEvT1_,@function
_ZN7rocprim17ROCPRIM_400000_NS6detail17trampoline_kernelINS0_14default_configENS1_25partition_config_selectorILNS1_17partition_subalgoE8ElNS0_10empty_typeEbEEZZNS1_14partition_implILS5_8ELb0ES3_jPKlPS6_PKS6_NS0_5tupleIJPlS6_EEENSE_IJSB_SB_EEENS0_18inequality_wrapperIN6hipcub16HIPCUB_304000_NS8EqualityEEESF_JS6_EEE10hipError_tPvRmT3_T4_T5_T6_T7_T9_mT8_P12ihipStream_tbDpT10_ENKUlT_T0_E_clISt17integral_constantIbLb1EES16_EEDaS11_S12_EUlS11_E_NS1_11comp_targetILNS1_3genE0ELNS1_11target_archE4294967295ELNS1_3gpuE0ELNS1_3repE0EEENS1_30default_config_static_selectorELNS0_4arch9wavefront6targetE0EEEvT1_: ; @_ZN7rocprim17ROCPRIM_400000_NS6detail17trampoline_kernelINS0_14default_configENS1_25partition_config_selectorILNS1_17partition_subalgoE8ElNS0_10empty_typeEbEEZZNS1_14partition_implILS5_8ELb0ES3_jPKlPS6_PKS6_NS0_5tupleIJPlS6_EEENSE_IJSB_SB_EEENS0_18inequality_wrapperIN6hipcub16HIPCUB_304000_NS8EqualityEEESF_JS6_EEE10hipError_tPvRmT3_T4_T5_T6_T7_T9_mT8_P12ihipStream_tbDpT10_ENKUlT_T0_E_clISt17integral_constantIbLb1EES16_EEDaS11_S12_EUlS11_E_NS1_11comp_targetILNS1_3genE0ELNS1_11target_archE4294967295ELNS1_3gpuE0ELNS1_3repE0EEENS1_30default_config_static_selectorELNS0_4arch9wavefront6targetE0EEEvT1_
; %bb.0:
	.section	.rodata,"a",@progbits
	.p2align	6, 0x0
	.amdhsa_kernel _ZN7rocprim17ROCPRIM_400000_NS6detail17trampoline_kernelINS0_14default_configENS1_25partition_config_selectorILNS1_17partition_subalgoE8ElNS0_10empty_typeEbEEZZNS1_14partition_implILS5_8ELb0ES3_jPKlPS6_PKS6_NS0_5tupleIJPlS6_EEENSE_IJSB_SB_EEENS0_18inequality_wrapperIN6hipcub16HIPCUB_304000_NS8EqualityEEESF_JS6_EEE10hipError_tPvRmT3_T4_T5_T6_T7_T9_mT8_P12ihipStream_tbDpT10_ENKUlT_T0_E_clISt17integral_constantIbLb1EES16_EEDaS11_S12_EUlS11_E_NS1_11comp_targetILNS1_3genE0ELNS1_11target_archE4294967295ELNS1_3gpuE0ELNS1_3repE0EEENS1_30default_config_static_selectorELNS0_4arch9wavefront6targetE0EEEvT1_
		.amdhsa_group_segment_fixed_size 0
		.amdhsa_private_segment_fixed_size 0
		.amdhsa_kernarg_size 128
		.amdhsa_user_sgpr_count 6
		.amdhsa_user_sgpr_private_segment_buffer 1
		.amdhsa_user_sgpr_dispatch_ptr 0
		.amdhsa_user_sgpr_queue_ptr 0
		.amdhsa_user_sgpr_kernarg_segment_ptr 1
		.amdhsa_user_sgpr_dispatch_id 0
		.amdhsa_user_sgpr_flat_scratch_init 0
		.amdhsa_user_sgpr_private_segment_size 0
		.amdhsa_wavefront_size32 1
		.amdhsa_uses_dynamic_stack 0
		.amdhsa_system_sgpr_private_segment_wavefront_offset 0
		.amdhsa_system_sgpr_workgroup_id_x 1
		.amdhsa_system_sgpr_workgroup_id_y 0
		.amdhsa_system_sgpr_workgroup_id_z 0
		.amdhsa_system_sgpr_workgroup_info 0
		.amdhsa_system_vgpr_workitem_id 0
		.amdhsa_next_free_vgpr 1
		.amdhsa_next_free_sgpr 1
		.amdhsa_reserve_vcc 0
		.amdhsa_reserve_flat_scratch 0
		.amdhsa_float_round_mode_32 0
		.amdhsa_float_round_mode_16_64 0
		.amdhsa_float_denorm_mode_32 3
		.amdhsa_float_denorm_mode_16_64 3
		.amdhsa_dx10_clamp 1
		.amdhsa_ieee_mode 1
		.amdhsa_fp16_overflow 0
		.amdhsa_workgroup_processor_mode 1
		.amdhsa_memory_ordered 1
		.amdhsa_forward_progress 1
		.amdhsa_shared_vgpr_count 0
		.amdhsa_exception_fp_ieee_invalid_op 0
		.amdhsa_exception_fp_denorm_src 0
		.amdhsa_exception_fp_ieee_div_zero 0
		.amdhsa_exception_fp_ieee_overflow 0
		.amdhsa_exception_fp_ieee_underflow 0
		.amdhsa_exception_fp_ieee_inexact 0
		.amdhsa_exception_int_div_zero 0
	.end_amdhsa_kernel
	.section	.text._ZN7rocprim17ROCPRIM_400000_NS6detail17trampoline_kernelINS0_14default_configENS1_25partition_config_selectorILNS1_17partition_subalgoE8ElNS0_10empty_typeEbEEZZNS1_14partition_implILS5_8ELb0ES3_jPKlPS6_PKS6_NS0_5tupleIJPlS6_EEENSE_IJSB_SB_EEENS0_18inequality_wrapperIN6hipcub16HIPCUB_304000_NS8EqualityEEESF_JS6_EEE10hipError_tPvRmT3_T4_T5_T6_T7_T9_mT8_P12ihipStream_tbDpT10_ENKUlT_T0_E_clISt17integral_constantIbLb1EES16_EEDaS11_S12_EUlS11_E_NS1_11comp_targetILNS1_3genE0ELNS1_11target_archE4294967295ELNS1_3gpuE0ELNS1_3repE0EEENS1_30default_config_static_selectorELNS0_4arch9wavefront6targetE0EEEvT1_,"axG",@progbits,_ZN7rocprim17ROCPRIM_400000_NS6detail17trampoline_kernelINS0_14default_configENS1_25partition_config_selectorILNS1_17partition_subalgoE8ElNS0_10empty_typeEbEEZZNS1_14partition_implILS5_8ELb0ES3_jPKlPS6_PKS6_NS0_5tupleIJPlS6_EEENSE_IJSB_SB_EEENS0_18inequality_wrapperIN6hipcub16HIPCUB_304000_NS8EqualityEEESF_JS6_EEE10hipError_tPvRmT3_T4_T5_T6_T7_T9_mT8_P12ihipStream_tbDpT10_ENKUlT_T0_E_clISt17integral_constantIbLb1EES16_EEDaS11_S12_EUlS11_E_NS1_11comp_targetILNS1_3genE0ELNS1_11target_archE4294967295ELNS1_3gpuE0ELNS1_3repE0EEENS1_30default_config_static_selectorELNS0_4arch9wavefront6targetE0EEEvT1_,comdat
.Lfunc_end234:
	.size	_ZN7rocprim17ROCPRIM_400000_NS6detail17trampoline_kernelINS0_14default_configENS1_25partition_config_selectorILNS1_17partition_subalgoE8ElNS0_10empty_typeEbEEZZNS1_14partition_implILS5_8ELb0ES3_jPKlPS6_PKS6_NS0_5tupleIJPlS6_EEENSE_IJSB_SB_EEENS0_18inequality_wrapperIN6hipcub16HIPCUB_304000_NS8EqualityEEESF_JS6_EEE10hipError_tPvRmT3_T4_T5_T6_T7_T9_mT8_P12ihipStream_tbDpT10_ENKUlT_T0_E_clISt17integral_constantIbLb1EES16_EEDaS11_S12_EUlS11_E_NS1_11comp_targetILNS1_3genE0ELNS1_11target_archE4294967295ELNS1_3gpuE0ELNS1_3repE0EEENS1_30default_config_static_selectorELNS0_4arch9wavefront6targetE0EEEvT1_, .Lfunc_end234-_ZN7rocprim17ROCPRIM_400000_NS6detail17trampoline_kernelINS0_14default_configENS1_25partition_config_selectorILNS1_17partition_subalgoE8ElNS0_10empty_typeEbEEZZNS1_14partition_implILS5_8ELb0ES3_jPKlPS6_PKS6_NS0_5tupleIJPlS6_EEENSE_IJSB_SB_EEENS0_18inequality_wrapperIN6hipcub16HIPCUB_304000_NS8EqualityEEESF_JS6_EEE10hipError_tPvRmT3_T4_T5_T6_T7_T9_mT8_P12ihipStream_tbDpT10_ENKUlT_T0_E_clISt17integral_constantIbLb1EES16_EEDaS11_S12_EUlS11_E_NS1_11comp_targetILNS1_3genE0ELNS1_11target_archE4294967295ELNS1_3gpuE0ELNS1_3repE0EEENS1_30default_config_static_selectorELNS0_4arch9wavefront6targetE0EEEvT1_
                                        ; -- End function
	.set _ZN7rocprim17ROCPRIM_400000_NS6detail17trampoline_kernelINS0_14default_configENS1_25partition_config_selectorILNS1_17partition_subalgoE8ElNS0_10empty_typeEbEEZZNS1_14partition_implILS5_8ELb0ES3_jPKlPS6_PKS6_NS0_5tupleIJPlS6_EEENSE_IJSB_SB_EEENS0_18inequality_wrapperIN6hipcub16HIPCUB_304000_NS8EqualityEEESF_JS6_EEE10hipError_tPvRmT3_T4_T5_T6_T7_T9_mT8_P12ihipStream_tbDpT10_ENKUlT_T0_E_clISt17integral_constantIbLb1EES16_EEDaS11_S12_EUlS11_E_NS1_11comp_targetILNS1_3genE0ELNS1_11target_archE4294967295ELNS1_3gpuE0ELNS1_3repE0EEENS1_30default_config_static_selectorELNS0_4arch9wavefront6targetE0EEEvT1_.num_vgpr, 0
	.set _ZN7rocprim17ROCPRIM_400000_NS6detail17trampoline_kernelINS0_14default_configENS1_25partition_config_selectorILNS1_17partition_subalgoE8ElNS0_10empty_typeEbEEZZNS1_14partition_implILS5_8ELb0ES3_jPKlPS6_PKS6_NS0_5tupleIJPlS6_EEENSE_IJSB_SB_EEENS0_18inequality_wrapperIN6hipcub16HIPCUB_304000_NS8EqualityEEESF_JS6_EEE10hipError_tPvRmT3_T4_T5_T6_T7_T9_mT8_P12ihipStream_tbDpT10_ENKUlT_T0_E_clISt17integral_constantIbLb1EES16_EEDaS11_S12_EUlS11_E_NS1_11comp_targetILNS1_3genE0ELNS1_11target_archE4294967295ELNS1_3gpuE0ELNS1_3repE0EEENS1_30default_config_static_selectorELNS0_4arch9wavefront6targetE0EEEvT1_.num_agpr, 0
	.set _ZN7rocprim17ROCPRIM_400000_NS6detail17trampoline_kernelINS0_14default_configENS1_25partition_config_selectorILNS1_17partition_subalgoE8ElNS0_10empty_typeEbEEZZNS1_14partition_implILS5_8ELb0ES3_jPKlPS6_PKS6_NS0_5tupleIJPlS6_EEENSE_IJSB_SB_EEENS0_18inequality_wrapperIN6hipcub16HIPCUB_304000_NS8EqualityEEESF_JS6_EEE10hipError_tPvRmT3_T4_T5_T6_T7_T9_mT8_P12ihipStream_tbDpT10_ENKUlT_T0_E_clISt17integral_constantIbLb1EES16_EEDaS11_S12_EUlS11_E_NS1_11comp_targetILNS1_3genE0ELNS1_11target_archE4294967295ELNS1_3gpuE0ELNS1_3repE0EEENS1_30default_config_static_selectorELNS0_4arch9wavefront6targetE0EEEvT1_.numbered_sgpr, 0
	.set _ZN7rocprim17ROCPRIM_400000_NS6detail17trampoline_kernelINS0_14default_configENS1_25partition_config_selectorILNS1_17partition_subalgoE8ElNS0_10empty_typeEbEEZZNS1_14partition_implILS5_8ELb0ES3_jPKlPS6_PKS6_NS0_5tupleIJPlS6_EEENSE_IJSB_SB_EEENS0_18inequality_wrapperIN6hipcub16HIPCUB_304000_NS8EqualityEEESF_JS6_EEE10hipError_tPvRmT3_T4_T5_T6_T7_T9_mT8_P12ihipStream_tbDpT10_ENKUlT_T0_E_clISt17integral_constantIbLb1EES16_EEDaS11_S12_EUlS11_E_NS1_11comp_targetILNS1_3genE0ELNS1_11target_archE4294967295ELNS1_3gpuE0ELNS1_3repE0EEENS1_30default_config_static_selectorELNS0_4arch9wavefront6targetE0EEEvT1_.num_named_barrier, 0
	.set _ZN7rocprim17ROCPRIM_400000_NS6detail17trampoline_kernelINS0_14default_configENS1_25partition_config_selectorILNS1_17partition_subalgoE8ElNS0_10empty_typeEbEEZZNS1_14partition_implILS5_8ELb0ES3_jPKlPS6_PKS6_NS0_5tupleIJPlS6_EEENSE_IJSB_SB_EEENS0_18inequality_wrapperIN6hipcub16HIPCUB_304000_NS8EqualityEEESF_JS6_EEE10hipError_tPvRmT3_T4_T5_T6_T7_T9_mT8_P12ihipStream_tbDpT10_ENKUlT_T0_E_clISt17integral_constantIbLb1EES16_EEDaS11_S12_EUlS11_E_NS1_11comp_targetILNS1_3genE0ELNS1_11target_archE4294967295ELNS1_3gpuE0ELNS1_3repE0EEENS1_30default_config_static_selectorELNS0_4arch9wavefront6targetE0EEEvT1_.private_seg_size, 0
	.set _ZN7rocprim17ROCPRIM_400000_NS6detail17trampoline_kernelINS0_14default_configENS1_25partition_config_selectorILNS1_17partition_subalgoE8ElNS0_10empty_typeEbEEZZNS1_14partition_implILS5_8ELb0ES3_jPKlPS6_PKS6_NS0_5tupleIJPlS6_EEENSE_IJSB_SB_EEENS0_18inequality_wrapperIN6hipcub16HIPCUB_304000_NS8EqualityEEESF_JS6_EEE10hipError_tPvRmT3_T4_T5_T6_T7_T9_mT8_P12ihipStream_tbDpT10_ENKUlT_T0_E_clISt17integral_constantIbLb1EES16_EEDaS11_S12_EUlS11_E_NS1_11comp_targetILNS1_3genE0ELNS1_11target_archE4294967295ELNS1_3gpuE0ELNS1_3repE0EEENS1_30default_config_static_selectorELNS0_4arch9wavefront6targetE0EEEvT1_.uses_vcc, 0
	.set _ZN7rocprim17ROCPRIM_400000_NS6detail17trampoline_kernelINS0_14default_configENS1_25partition_config_selectorILNS1_17partition_subalgoE8ElNS0_10empty_typeEbEEZZNS1_14partition_implILS5_8ELb0ES3_jPKlPS6_PKS6_NS0_5tupleIJPlS6_EEENSE_IJSB_SB_EEENS0_18inequality_wrapperIN6hipcub16HIPCUB_304000_NS8EqualityEEESF_JS6_EEE10hipError_tPvRmT3_T4_T5_T6_T7_T9_mT8_P12ihipStream_tbDpT10_ENKUlT_T0_E_clISt17integral_constantIbLb1EES16_EEDaS11_S12_EUlS11_E_NS1_11comp_targetILNS1_3genE0ELNS1_11target_archE4294967295ELNS1_3gpuE0ELNS1_3repE0EEENS1_30default_config_static_selectorELNS0_4arch9wavefront6targetE0EEEvT1_.uses_flat_scratch, 0
	.set _ZN7rocprim17ROCPRIM_400000_NS6detail17trampoline_kernelINS0_14default_configENS1_25partition_config_selectorILNS1_17partition_subalgoE8ElNS0_10empty_typeEbEEZZNS1_14partition_implILS5_8ELb0ES3_jPKlPS6_PKS6_NS0_5tupleIJPlS6_EEENSE_IJSB_SB_EEENS0_18inequality_wrapperIN6hipcub16HIPCUB_304000_NS8EqualityEEESF_JS6_EEE10hipError_tPvRmT3_T4_T5_T6_T7_T9_mT8_P12ihipStream_tbDpT10_ENKUlT_T0_E_clISt17integral_constantIbLb1EES16_EEDaS11_S12_EUlS11_E_NS1_11comp_targetILNS1_3genE0ELNS1_11target_archE4294967295ELNS1_3gpuE0ELNS1_3repE0EEENS1_30default_config_static_selectorELNS0_4arch9wavefront6targetE0EEEvT1_.has_dyn_sized_stack, 0
	.set _ZN7rocprim17ROCPRIM_400000_NS6detail17trampoline_kernelINS0_14default_configENS1_25partition_config_selectorILNS1_17partition_subalgoE8ElNS0_10empty_typeEbEEZZNS1_14partition_implILS5_8ELb0ES3_jPKlPS6_PKS6_NS0_5tupleIJPlS6_EEENSE_IJSB_SB_EEENS0_18inequality_wrapperIN6hipcub16HIPCUB_304000_NS8EqualityEEESF_JS6_EEE10hipError_tPvRmT3_T4_T5_T6_T7_T9_mT8_P12ihipStream_tbDpT10_ENKUlT_T0_E_clISt17integral_constantIbLb1EES16_EEDaS11_S12_EUlS11_E_NS1_11comp_targetILNS1_3genE0ELNS1_11target_archE4294967295ELNS1_3gpuE0ELNS1_3repE0EEENS1_30default_config_static_selectorELNS0_4arch9wavefront6targetE0EEEvT1_.has_recursion, 0
	.set _ZN7rocprim17ROCPRIM_400000_NS6detail17trampoline_kernelINS0_14default_configENS1_25partition_config_selectorILNS1_17partition_subalgoE8ElNS0_10empty_typeEbEEZZNS1_14partition_implILS5_8ELb0ES3_jPKlPS6_PKS6_NS0_5tupleIJPlS6_EEENSE_IJSB_SB_EEENS0_18inequality_wrapperIN6hipcub16HIPCUB_304000_NS8EqualityEEESF_JS6_EEE10hipError_tPvRmT3_T4_T5_T6_T7_T9_mT8_P12ihipStream_tbDpT10_ENKUlT_T0_E_clISt17integral_constantIbLb1EES16_EEDaS11_S12_EUlS11_E_NS1_11comp_targetILNS1_3genE0ELNS1_11target_archE4294967295ELNS1_3gpuE0ELNS1_3repE0EEENS1_30default_config_static_selectorELNS0_4arch9wavefront6targetE0EEEvT1_.has_indirect_call, 0
	.section	.AMDGPU.csdata,"",@progbits
; Kernel info:
; codeLenInByte = 0
; TotalNumSgprs: 0
; NumVgprs: 0
; ScratchSize: 0
; MemoryBound: 0
; FloatMode: 240
; IeeeMode: 1
; LDSByteSize: 0 bytes/workgroup (compile time only)
; SGPRBlocks: 0
; VGPRBlocks: 0
; NumSGPRsForWavesPerEU: 1
; NumVGPRsForWavesPerEU: 1
; Occupancy: 16
; WaveLimiterHint : 0
; COMPUTE_PGM_RSRC2:SCRATCH_EN: 0
; COMPUTE_PGM_RSRC2:USER_SGPR: 6
; COMPUTE_PGM_RSRC2:TRAP_HANDLER: 0
; COMPUTE_PGM_RSRC2:TGID_X_EN: 1
; COMPUTE_PGM_RSRC2:TGID_Y_EN: 0
; COMPUTE_PGM_RSRC2:TGID_Z_EN: 0
; COMPUTE_PGM_RSRC2:TIDIG_COMP_CNT: 0
	.section	.text._ZN7rocprim17ROCPRIM_400000_NS6detail17trampoline_kernelINS0_14default_configENS1_25partition_config_selectorILNS1_17partition_subalgoE8ElNS0_10empty_typeEbEEZZNS1_14partition_implILS5_8ELb0ES3_jPKlPS6_PKS6_NS0_5tupleIJPlS6_EEENSE_IJSB_SB_EEENS0_18inequality_wrapperIN6hipcub16HIPCUB_304000_NS8EqualityEEESF_JS6_EEE10hipError_tPvRmT3_T4_T5_T6_T7_T9_mT8_P12ihipStream_tbDpT10_ENKUlT_T0_E_clISt17integral_constantIbLb1EES16_EEDaS11_S12_EUlS11_E_NS1_11comp_targetILNS1_3genE5ELNS1_11target_archE942ELNS1_3gpuE9ELNS1_3repE0EEENS1_30default_config_static_selectorELNS0_4arch9wavefront6targetE0EEEvT1_,"axG",@progbits,_ZN7rocprim17ROCPRIM_400000_NS6detail17trampoline_kernelINS0_14default_configENS1_25partition_config_selectorILNS1_17partition_subalgoE8ElNS0_10empty_typeEbEEZZNS1_14partition_implILS5_8ELb0ES3_jPKlPS6_PKS6_NS0_5tupleIJPlS6_EEENSE_IJSB_SB_EEENS0_18inequality_wrapperIN6hipcub16HIPCUB_304000_NS8EqualityEEESF_JS6_EEE10hipError_tPvRmT3_T4_T5_T6_T7_T9_mT8_P12ihipStream_tbDpT10_ENKUlT_T0_E_clISt17integral_constantIbLb1EES16_EEDaS11_S12_EUlS11_E_NS1_11comp_targetILNS1_3genE5ELNS1_11target_archE942ELNS1_3gpuE9ELNS1_3repE0EEENS1_30default_config_static_selectorELNS0_4arch9wavefront6targetE0EEEvT1_,comdat
	.protected	_ZN7rocprim17ROCPRIM_400000_NS6detail17trampoline_kernelINS0_14default_configENS1_25partition_config_selectorILNS1_17partition_subalgoE8ElNS0_10empty_typeEbEEZZNS1_14partition_implILS5_8ELb0ES3_jPKlPS6_PKS6_NS0_5tupleIJPlS6_EEENSE_IJSB_SB_EEENS0_18inequality_wrapperIN6hipcub16HIPCUB_304000_NS8EqualityEEESF_JS6_EEE10hipError_tPvRmT3_T4_T5_T6_T7_T9_mT8_P12ihipStream_tbDpT10_ENKUlT_T0_E_clISt17integral_constantIbLb1EES16_EEDaS11_S12_EUlS11_E_NS1_11comp_targetILNS1_3genE5ELNS1_11target_archE942ELNS1_3gpuE9ELNS1_3repE0EEENS1_30default_config_static_selectorELNS0_4arch9wavefront6targetE0EEEvT1_ ; -- Begin function _ZN7rocprim17ROCPRIM_400000_NS6detail17trampoline_kernelINS0_14default_configENS1_25partition_config_selectorILNS1_17partition_subalgoE8ElNS0_10empty_typeEbEEZZNS1_14partition_implILS5_8ELb0ES3_jPKlPS6_PKS6_NS0_5tupleIJPlS6_EEENSE_IJSB_SB_EEENS0_18inequality_wrapperIN6hipcub16HIPCUB_304000_NS8EqualityEEESF_JS6_EEE10hipError_tPvRmT3_T4_T5_T6_T7_T9_mT8_P12ihipStream_tbDpT10_ENKUlT_T0_E_clISt17integral_constantIbLb1EES16_EEDaS11_S12_EUlS11_E_NS1_11comp_targetILNS1_3genE5ELNS1_11target_archE942ELNS1_3gpuE9ELNS1_3repE0EEENS1_30default_config_static_selectorELNS0_4arch9wavefront6targetE0EEEvT1_
	.globl	_ZN7rocprim17ROCPRIM_400000_NS6detail17trampoline_kernelINS0_14default_configENS1_25partition_config_selectorILNS1_17partition_subalgoE8ElNS0_10empty_typeEbEEZZNS1_14partition_implILS5_8ELb0ES3_jPKlPS6_PKS6_NS0_5tupleIJPlS6_EEENSE_IJSB_SB_EEENS0_18inequality_wrapperIN6hipcub16HIPCUB_304000_NS8EqualityEEESF_JS6_EEE10hipError_tPvRmT3_T4_T5_T6_T7_T9_mT8_P12ihipStream_tbDpT10_ENKUlT_T0_E_clISt17integral_constantIbLb1EES16_EEDaS11_S12_EUlS11_E_NS1_11comp_targetILNS1_3genE5ELNS1_11target_archE942ELNS1_3gpuE9ELNS1_3repE0EEENS1_30default_config_static_selectorELNS0_4arch9wavefront6targetE0EEEvT1_
	.p2align	8
	.type	_ZN7rocprim17ROCPRIM_400000_NS6detail17trampoline_kernelINS0_14default_configENS1_25partition_config_selectorILNS1_17partition_subalgoE8ElNS0_10empty_typeEbEEZZNS1_14partition_implILS5_8ELb0ES3_jPKlPS6_PKS6_NS0_5tupleIJPlS6_EEENSE_IJSB_SB_EEENS0_18inequality_wrapperIN6hipcub16HIPCUB_304000_NS8EqualityEEESF_JS6_EEE10hipError_tPvRmT3_T4_T5_T6_T7_T9_mT8_P12ihipStream_tbDpT10_ENKUlT_T0_E_clISt17integral_constantIbLb1EES16_EEDaS11_S12_EUlS11_E_NS1_11comp_targetILNS1_3genE5ELNS1_11target_archE942ELNS1_3gpuE9ELNS1_3repE0EEENS1_30default_config_static_selectorELNS0_4arch9wavefront6targetE0EEEvT1_,@function
_ZN7rocprim17ROCPRIM_400000_NS6detail17trampoline_kernelINS0_14default_configENS1_25partition_config_selectorILNS1_17partition_subalgoE8ElNS0_10empty_typeEbEEZZNS1_14partition_implILS5_8ELb0ES3_jPKlPS6_PKS6_NS0_5tupleIJPlS6_EEENSE_IJSB_SB_EEENS0_18inequality_wrapperIN6hipcub16HIPCUB_304000_NS8EqualityEEESF_JS6_EEE10hipError_tPvRmT3_T4_T5_T6_T7_T9_mT8_P12ihipStream_tbDpT10_ENKUlT_T0_E_clISt17integral_constantIbLb1EES16_EEDaS11_S12_EUlS11_E_NS1_11comp_targetILNS1_3genE5ELNS1_11target_archE942ELNS1_3gpuE9ELNS1_3repE0EEENS1_30default_config_static_selectorELNS0_4arch9wavefront6targetE0EEEvT1_: ; @_ZN7rocprim17ROCPRIM_400000_NS6detail17trampoline_kernelINS0_14default_configENS1_25partition_config_selectorILNS1_17partition_subalgoE8ElNS0_10empty_typeEbEEZZNS1_14partition_implILS5_8ELb0ES3_jPKlPS6_PKS6_NS0_5tupleIJPlS6_EEENSE_IJSB_SB_EEENS0_18inequality_wrapperIN6hipcub16HIPCUB_304000_NS8EqualityEEESF_JS6_EEE10hipError_tPvRmT3_T4_T5_T6_T7_T9_mT8_P12ihipStream_tbDpT10_ENKUlT_T0_E_clISt17integral_constantIbLb1EES16_EEDaS11_S12_EUlS11_E_NS1_11comp_targetILNS1_3genE5ELNS1_11target_archE942ELNS1_3gpuE9ELNS1_3repE0EEENS1_30default_config_static_selectorELNS0_4arch9wavefront6targetE0EEEvT1_
; %bb.0:
	.section	.rodata,"a",@progbits
	.p2align	6, 0x0
	.amdhsa_kernel _ZN7rocprim17ROCPRIM_400000_NS6detail17trampoline_kernelINS0_14default_configENS1_25partition_config_selectorILNS1_17partition_subalgoE8ElNS0_10empty_typeEbEEZZNS1_14partition_implILS5_8ELb0ES3_jPKlPS6_PKS6_NS0_5tupleIJPlS6_EEENSE_IJSB_SB_EEENS0_18inequality_wrapperIN6hipcub16HIPCUB_304000_NS8EqualityEEESF_JS6_EEE10hipError_tPvRmT3_T4_T5_T6_T7_T9_mT8_P12ihipStream_tbDpT10_ENKUlT_T0_E_clISt17integral_constantIbLb1EES16_EEDaS11_S12_EUlS11_E_NS1_11comp_targetILNS1_3genE5ELNS1_11target_archE942ELNS1_3gpuE9ELNS1_3repE0EEENS1_30default_config_static_selectorELNS0_4arch9wavefront6targetE0EEEvT1_
		.amdhsa_group_segment_fixed_size 0
		.amdhsa_private_segment_fixed_size 0
		.amdhsa_kernarg_size 128
		.amdhsa_user_sgpr_count 6
		.amdhsa_user_sgpr_private_segment_buffer 1
		.amdhsa_user_sgpr_dispatch_ptr 0
		.amdhsa_user_sgpr_queue_ptr 0
		.amdhsa_user_sgpr_kernarg_segment_ptr 1
		.amdhsa_user_sgpr_dispatch_id 0
		.amdhsa_user_sgpr_flat_scratch_init 0
		.amdhsa_user_sgpr_private_segment_size 0
		.amdhsa_wavefront_size32 1
		.amdhsa_uses_dynamic_stack 0
		.amdhsa_system_sgpr_private_segment_wavefront_offset 0
		.amdhsa_system_sgpr_workgroup_id_x 1
		.amdhsa_system_sgpr_workgroup_id_y 0
		.amdhsa_system_sgpr_workgroup_id_z 0
		.amdhsa_system_sgpr_workgroup_info 0
		.amdhsa_system_vgpr_workitem_id 0
		.amdhsa_next_free_vgpr 1
		.amdhsa_next_free_sgpr 1
		.amdhsa_reserve_vcc 0
		.amdhsa_reserve_flat_scratch 0
		.amdhsa_float_round_mode_32 0
		.amdhsa_float_round_mode_16_64 0
		.amdhsa_float_denorm_mode_32 3
		.amdhsa_float_denorm_mode_16_64 3
		.amdhsa_dx10_clamp 1
		.amdhsa_ieee_mode 1
		.amdhsa_fp16_overflow 0
		.amdhsa_workgroup_processor_mode 1
		.amdhsa_memory_ordered 1
		.amdhsa_forward_progress 1
		.amdhsa_shared_vgpr_count 0
		.amdhsa_exception_fp_ieee_invalid_op 0
		.amdhsa_exception_fp_denorm_src 0
		.amdhsa_exception_fp_ieee_div_zero 0
		.amdhsa_exception_fp_ieee_overflow 0
		.amdhsa_exception_fp_ieee_underflow 0
		.amdhsa_exception_fp_ieee_inexact 0
		.amdhsa_exception_int_div_zero 0
	.end_amdhsa_kernel
	.section	.text._ZN7rocprim17ROCPRIM_400000_NS6detail17trampoline_kernelINS0_14default_configENS1_25partition_config_selectorILNS1_17partition_subalgoE8ElNS0_10empty_typeEbEEZZNS1_14partition_implILS5_8ELb0ES3_jPKlPS6_PKS6_NS0_5tupleIJPlS6_EEENSE_IJSB_SB_EEENS0_18inequality_wrapperIN6hipcub16HIPCUB_304000_NS8EqualityEEESF_JS6_EEE10hipError_tPvRmT3_T4_T5_T6_T7_T9_mT8_P12ihipStream_tbDpT10_ENKUlT_T0_E_clISt17integral_constantIbLb1EES16_EEDaS11_S12_EUlS11_E_NS1_11comp_targetILNS1_3genE5ELNS1_11target_archE942ELNS1_3gpuE9ELNS1_3repE0EEENS1_30default_config_static_selectorELNS0_4arch9wavefront6targetE0EEEvT1_,"axG",@progbits,_ZN7rocprim17ROCPRIM_400000_NS6detail17trampoline_kernelINS0_14default_configENS1_25partition_config_selectorILNS1_17partition_subalgoE8ElNS0_10empty_typeEbEEZZNS1_14partition_implILS5_8ELb0ES3_jPKlPS6_PKS6_NS0_5tupleIJPlS6_EEENSE_IJSB_SB_EEENS0_18inequality_wrapperIN6hipcub16HIPCUB_304000_NS8EqualityEEESF_JS6_EEE10hipError_tPvRmT3_T4_T5_T6_T7_T9_mT8_P12ihipStream_tbDpT10_ENKUlT_T0_E_clISt17integral_constantIbLb1EES16_EEDaS11_S12_EUlS11_E_NS1_11comp_targetILNS1_3genE5ELNS1_11target_archE942ELNS1_3gpuE9ELNS1_3repE0EEENS1_30default_config_static_selectorELNS0_4arch9wavefront6targetE0EEEvT1_,comdat
.Lfunc_end235:
	.size	_ZN7rocprim17ROCPRIM_400000_NS6detail17trampoline_kernelINS0_14default_configENS1_25partition_config_selectorILNS1_17partition_subalgoE8ElNS0_10empty_typeEbEEZZNS1_14partition_implILS5_8ELb0ES3_jPKlPS6_PKS6_NS0_5tupleIJPlS6_EEENSE_IJSB_SB_EEENS0_18inequality_wrapperIN6hipcub16HIPCUB_304000_NS8EqualityEEESF_JS6_EEE10hipError_tPvRmT3_T4_T5_T6_T7_T9_mT8_P12ihipStream_tbDpT10_ENKUlT_T0_E_clISt17integral_constantIbLb1EES16_EEDaS11_S12_EUlS11_E_NS1_11comp_targetILNS1_3genE5ELNS1_11target_archE942ELNS1_3gpuE9ELNS1_3repE0EEENS1_30default_config_static_selectorELNS0_4arch9wavefront6targetE0EEEvT1_, .Lfunc_end235-_ZN7rocprim17ROCPRIM_400000_NS6detail17trampoline_kernelINS0_14default_configENS1_25partition_config_selectorILNS1_17partition_subalgoE8ElNS0_10empty_typeEbEEZZNS1_14partition_implILS5_8ELb0ES3_jPKlPS6_PKS6_NS0_5tupleIJPlS6_EEENSE_IJSB_SB_EEENS0_18inequality_wrapperIN6hipcub16HIPCUB_304000_NS8EqualityEEESF_JS6_EEE10hipError_tPvRmT3_T4_T5_T6_T7_T9_mT8_P12ihipStream_tbDpT10_ENKUlT_T0_E_clISt17integral_constantIbLb1EES16_EEDaS11_S12_EUlS11_E_NS1_11comp_targetILNS1_3genE5ELNS1_11target_archE942ELNS1_3gpuE9ELNS1_3repE0EEENS1_30default_config_static_selectorELNS0_4arch9wavefront6targetE0EEEvT1_
                                        ; -- End function
	.set _ZN7rocprim17ROCPRIM_400000_NS6detail17trampoline_kernelINS0_14default_configENS1_25partition_config_selectorILNS1_17partition_subalgoE8ElNS0_10empty_typeEbEEZZNS1_14partition_implILS5_8ELb0ES3_jPKlPS6_PKS6_NS0_5tupleIJPlS6_EEENSE_IJSB_SB_EEENS0_18inequality_wrapperIN6hipcub16HIPCUB_304000_NS8EqualityEEESF_JS6_EEE10hipError_tPvRmT3_T4_T5_T6_T7_T9_mT8_P12ihipStream_tbDpT10_ENKUlT_T0_E_clISt17integral_constantIbLb1EES16_EEDaS11_S12_EUlS11_E_NS1_11comp_targetILNS1_3genE5ELNS1_11target_archE942ELNS1_3gpuE9ELNS1_3repE0EEENS1_30default_config_static_selectorELNS0_4arch9wavefront6targetE0EEEvT1_.num_vgpr, 0
	.set _ZN7rocprim17ROCPRIM_400000_NS6detail17trampoline_kernelINS0_14default_configENS1_25partition_config_selectorILNS1_17partition_subalgoE8ElNS0_10empty_typeEbEEZZNS1_14partition_implILS5_8ELb0ES3_jPKlPS6_PKS6_NS0_5tupleIJPlS6_EEENSE_IJSB_SB_EEENS0_18inequality_wrapperIN6hipcub16HIPCUB_304000_NS8EqualityEEESF_JS6_EEE10hipError_tPvRmT3_T4_T5_T6_T7_T9_mT8_P12ihipStream_tbDpT10_ENKUlT_T0_E_clISt17integral_constantIbLb1EES16_EEDaS11_S12_EUlS11_E_NS1_11comp_targetILNS1_3genE5ELNS1_11target_archE942ELNS1_3gpuE9ELNS1_3repE0EEENS1_30default_config_static_selectorELNS0_4arch9wavefront6targetE0EEEvT1_.num_agpr, 0
	.set _ZN7rocprim17ROCPRIM_400000_NS6detail17trampoline_kernelINS0_14default_configENS1_25partition_config_selectorILNS1_17partition_subalgoE8ElNS0_10empty_typeEbEEZZNS1_14partition_implILS5_8ELb0ES3_jPKlPS6_PKS6_NS0_5tupleIJPlS6_EEENSE_IJSB_SB_EEENS0_18inequality_wrapperIN6hipcub16HIPCUB_304000_NS8EqualityEEESF_JS6_EEE10hipError_tPvRmT3_T4_T5_T6_T7_T9_mT8_P12ihipStream_tbDpT10_ENKUlT_T0_E_clISt17integral_constantIbLb1EES16_EEDaS11_S12_EUlS11_E_NS1_11comp_targetILNS1_3genE5ELNS1_11target_archE942ELNS1_3gpuE9ELNS1_3repE0EEENS1_30default_config_static_selectorELNS0_4arch9wavefront6targetE0EEEvT1_.numbered_sgpr, 0
	.set _ZN7rocprim17ROCPRIM_400000_NS6detail17trampoline_kernelINS0_14default_configENS1_25partition_config_selectorILNS1_17partition_subalgoE8ElNS0_10empty_typeEbEEZZNS1_14partition_implILS5_8ELb0ES3_jPKlPS6_PKS6_NS0_5tupleIJPlS6_EEENSE_IJSB_SB_EEENS0_18inequality_wrapperIN6hipcub16HIPCUB_304000_NS8EqualityEEESF_JS6_EEE10hipError_tPvRmT3_T4_T5_T6_T7_T9_mT8_P12ihipStream_tbDpT10_ENKUlT_T0_E_clISt17integral_constantIbLb1EES16_EEDaS11_S12_EUlS11_E_NS1_11comp_targetILNS1_3genE5ELNS1_11target_archE942ELNS1_3gpuE9ELNS1_3repE0EEENS1_30default_config_static_selectorELNS0_4arch9wavefront6targetE0EEEvT1_.num_named_barrier, 0
	.set _ZN7rocprim17ROCPRIM_400000_NS6detail17trampoline_kernelINS0_14default_configENS1_25partition_config_selectorILNS1_17partition_subalgoE8ElNS0_10empty_typeEbEEZZNS1_14partition_implILS5_8ELb0ES3_jPKlPS6_PKS6_NS0_5tupleIJPlS6_EEENSE_IJSB_SB_EEENS0_18inequality_wrapperIN6hipcub16HIPCUB_304000_NS8EqualityEEESF_JS6_EEE10hipError_tPvRmT3_T4_T5_T6_T7_T9_mT8_P12ihipStream_tbDpT10_ENKUlT_T0_E_clISt17integral_constantIbLb1EES16_EEDaS11_S12_EUlS11_E_NS1_11comp_targetILNS1_3genE5ELNS1_11target_archE942ELNS1_3gpuE9ELNS1_3repE0EEENS1_30default_config_static_selectorELNS0_4arch9wavefront6targetE0EEEvT1_.private_seg_size, 0
	.set _ZN7rocprim17ROCPRIM_400000_NS6detail17trampoline_kernelINS0_14default_configENS1_25partition_config_selectorILNS1_17partition_subalgoE8ElNS0_10empty_typeEbEEZZNS1_14partition_implILS5_8ELb0ES3_jPKlPS6_PKS6_NS0_5tupleIJPlS6_EEENSE_IJSB_SB_EEENS0_18inequality_wrapperIN6hipcub16HIPCUB_304000_NS8EqualityEEESF_JS6_EEE10hipError_tPvRmT3_T4_T5_T6_T7_T9_mT8_P12ihipStream_tbDpT10_ENKUlT_T0_E_clISt17integral_constantIbLb1EES16_EEDaS11_S12_EUlS11_E_NS1_11comp_targetILNS1_3genE5ELNS1_11target_archE942ELNS1_3gpuE9ELNS1_3repE0EEENS1_30default_config_static_selectorELNS0_4arch9wavefront6targetE0EEEvT1_.uses_vcc, 0
	.set _ZN7rocprim17ROCPRIM_400000_NS6detail17trampoline_kernelINS0_14default_configENS1_25partition_config_selectorILNS1_17partition_subalgoE8ElNS0_10empty_typeEbEEZZNS1_14partition_implILS5_8ELb0ES3_jPKlPS6_PKS6_NS0_5tupleIJPlS6_EEENSE_IJSB_SB_EEENS0_18inequality_wrapperIN6hipcub16HIPCUB_304000_NS8EqualityEEESF_JS6_EEE10hipError_tPvRmT3_T4_T5_T6_T7_T9_mT8_P12ihipStream_tbDpT10_ENKUlT_T0_E_clISt17integral_constantIbLb1EES16_EEDaS11_S12_EUlS11_E_NS1_11comp_targetILNS1_3genE5ELNS1_11target_archE942ELNS1_3gpuE9ELNS1_3repE0EEENS1_30default_config_static_selectorELNS0_4arch9wavefront6targetE0EEEvT1_.uses_flat_scratch, 0
	.set _ZN7rocprim17ROCPRIM_400000_NS6detail17trampoline_kernelINS0_14default_configENS1_25partition_config_selectorILNS1_17partition_subalgoE8ElNS0_10empty_typeEbEEZZNS1_14partition_implILS5_8ELb0ES3_jPKlPS6_PKS6_NS0_5tupleIJPlS6_EEENSE_IJSB_SB_EEENS0_18inequality_wrapperIN6hipcub16HIPCUB_304000_NS8EqualityEEESF_JS6_EEE10hipError_tPvRmT3_T4_T5_T6_T7_T9_mT8_P12ihipStream_tbDpT10_ENKUlT_T0_E_clISt17integral_constantIbLb1EES16_EEDaS11_S12_EUlS11_E_NS1_11comp_targetILNS1_3genE5ELNS1_11target_archE942ELNS1_3gpuE9ELNS1_3repE0EEENS1_30default_config_static_selectorELNS0_4arch9wavefront6targetE0EEEvT1_.has_dyn_sized_stack, 0
	.set _ZN7rocprim17ROCPRIM_400000_NS6detail17trampoline_kernelINS0_14default_configENS1_25partition_config_selectorILNS1_17partition_subalgoE8ElNS0_10empty_typeEbEEZZNS1_14partition_implILS5_8ELb0ES3_jPKlPS6_PKS6_NS0_5tupleIJPlS6_EEENSE_IJSB_SB_EEENS0_18inequality_wrapperIN6hipcub16HIPCUB_304000_NS8EqualityEEESF_JS6_EEE10hipError_tPvRmT3_T4_T5_T6_T7_T9_mT8_P12ihipStream_tbDpT10_ENKUlT_T0_E_clISt17integral_constantIbLb1EES16_EEDaS11_S12_EUlS11_E_NS1_11comp_targetILNS1_3genE5ELNS1_11target_archE942ELNS1_3gpuE9ELNS1_3repE0EEENS1_30default_config_static_selectorELNS0_4arch9wavefront6targetE0EEEvT1_.has_recursion, 0
	.set _ZN7rocprim17ROCPRIM_400000_NS6detail17trampoline_kernelINS0_14default_configENS1_25partition_config_selectorILNS1_17partition_subalgoE8ElNS0_10empty_typeEbEEZZNS1_14partition_implILS5_8ELb0ES3_jPKlPS6_PKS6_NS0_5tupleIJPlS6_EEENSE_IJSB_SB_EEENS0_18inequality_wrapperIN6hipcub16HIPCUB_304000_NS8EqualityEEESF_JS6_EEE10hipError_tPvRmT3_T4_T5_T6_T7_T9_mT8_P12ihipStream_tbDpT10_ENKUlT_T0_E_clISt17integral_constantIbLb1EES16_EEDaS11_S12_EUlS11_E_NS1_11comp_targetILNS1_3genE5ELNS1_11target_archE942ELNS1_3gpuE9ELNS1_3repE0EEENS1_30default_config_static_selectorELNS0_4arch9wavefront6targetE0EEEvT1_.has_indirect_call, 0
	.section	.AMDGPU.csdata,"",@progbits
; Kernel info:
; codeLenInByte = 0
; TotalNumSgprs: 0
; NumVgprs: 0
; ScratchSize: 0
; MemoryBound: 0
; FloatMode: 240
; IeeeMode: 1
; LDSByteSize: 0 bytes/workgroup (compile time only)
; SGPRBlocks: 0
; VGPRBlocks: 0
; NumSGPRsForWavesPerEU: 1
; NumVGPRsForWavesPerEU: 1
; Occupancy: 16
; WaveLimiterHint : 0
; COMPUTE_PGM_RSRC2:SCRATCH_EN: 0
; COMPUTE_PGM_RSRC2:USER_SGPR: 6
; COMPUTE_PGM_RSRC2:TRAP_HANDLER: 0
; COMPUTE_PGM_RSRC2:TGID_X_EN: 1
; COMPUTE_PGM_RSRC2:TGID_Y_EN: 0
; COMPUTE_PGM_RSRC2:TGID_Z_EN: 0
; COMPUTE_PGM_RSRC2:TIDIG_COMP_CNT: 0
	.section	.text._ZN7rocprim17ROCPRIM_400000_NS6detail17trampoline_kernelINS0_14default_configENS1_25partition_config_selectorILNS1_17partition_subalgoE8ElNS0_10empty_typeEbEEZZNS1_14partition_implILS5_8ELb0ES3_jPKlPS6_PKS6_NS0_5tupleIJPlS6_EEENSE_IJSB_SB_EEENS0_18inequality_wrapperIN6hipcub16HIPCUB_304000_NS8EqualityEEESF_JS6_EEE10hipError_tPvRmT3_T4_T5_T6_T7_T9_mT8_P12ihipStream_tbDpT10_ENKUlT_T0_E_clISt17integral_constantIbLb1EES16_EEDaS11_S12_EUlS11_E_NS1_11comp_targetILNS1_3genE4ELNS1_11target_archE910ELNS1_3gpuE8ELNS1_3repE0EEENS1_30default_config_static_selectorELNS0_4arch9wavefront6targetE0EEEvT1_,"axG",@progbits,_ZN7rocprim17ROCPRIM_400000_NS6detail17trampoline_kernelINS0_14default_configENS1_25partition_config_selectorILNS1_17partition_subalgoE8ElNS0_10empty_typeEbEEZZNS1_14partition_implILS5_8ELb0ES3_jPKlPS6_PKS6_NS0_5tupleIJPlS6_EEENSE_IJSB_SB_EEENS0_18inequality_wrapperIN6hipcub16HIPCUB_304000_NS8EqualityEEESF_JS6_EEE10hipError_tPvRmT3_T4_T5_T6_T7_T9_mT8_P12ihipStream_tbDpT10_ENKUlT_T0_E_clISt17integral_constantIbLb1EES16_EEDaS11_S12_EUlS11_E_NS1_11comp_targetILNS1_3genE4ELNS1_11target_archE910ELNS1_3gpuE8ELNS1_3repE0EEENS1_30default_config_static_selectorELNS0_4arch9wavefront6targetE0EEEvT1_,comdat
	.protected	_ZN7rocprim17ROCPRIM_400000_NS6detail17trampoline_kernelINS0_14default_configENS1_25partition_config_selectorILNS1_17partition_subalgoE8ElNS0_10empty_typeEbEEZZNS1_14partition_implILS5_8ELb0ES3_jPKlPS6_PKS6_NS0_5tupleIJPlS6_EEENSE_IJSB_SB_EEENS0_18inequality_wrapperIN6hipcub16HIPCUB_304000_NS8EqualityEEESF_JS6_EEE10hipError_tPvRmT3_T4_T5_T6_T7_T9_mT8_P12ihipStream_tbDpT10_ENKUlT_T0_E_clISt17integral_constantIbLb1EES16_EEDaS11_S12_EUlS11_E_NS1_11comp_targetILNS1_3genE4ELNS1_11target_archE910ELNS1_3gpuE8ELNS1_3repE0EEENS1_30default_config_static_selectorELNS0_4arch9wavefront6targetE0EEEvT1_ ; -- Begin function _ZN7rocprim17ROCPRIM_400000_NS6detail17trampoline_kernelINS0_14default_configENS1_25partition_config_selectorILNS1_17partition_subalgoE8ElNS0_10empty_typeEbEEZZNS1_14partition_implILS5_8ELb0ES3_jPKlPS6_PKS6_NS0_5tupleIJPlS6_EEENSE_IJSB_SB_EEENS0_18inequality_wrapperIN6hipcub16HIPCUB_304000_NS8EqualityEEESF_JS6_EEE10hipError_tPvRmT3_T4_T5_T6_T7_T9_mT8_P12ihipStream_tbDpT10_ENKUlT_T0_E_clISt17integral_constantIbLb1EES16_EEDaS11_S12_EUlS11_E_NS1_11comp_targetILNS1_3genE4ELNS1_11target_archE910ELNS1_3gpuE8ELNS1_3repE0EEENS1_30default_config_static_selectorELNS0_4arch9wavefront6targetE0EEEvT1_
	.globl	_ZN7rocprim17ROCPRIM_400000_NS6detail17trampoline_kernelINS0_14default_configENS1_25partition_config_selectorILNS1_17partition_subalgoE8ElNS0_10empty_typeEbEEZZNS1_14partition_implILS5_8ELb0ES3_jPKlPS6_PKS6_NS0_5tupleIJPlS6_EEENSE_IJSB_SB_EEENS0_18inequality_wrapperIN6hipcub16HIPCUB_304000_NS8EqualityEEESF_JS6_EEE10hipError_tPvRmT3_T4_T5_T6_T7_T9_mT8_P12ihipStream_tbDpT10_ENKUlT_T0_E_clISt17integral_constantIbLb1EES16_EEDaS11_S12_EUlS11_E_NS1_11comp_targetILNS1_3genE4ELNS1_11target_archE910ELNS1_3gpuE8ELNS1_3repE0EEENS1_30default_config_static_selectorELNS0_4arch9wavefront6targetE0EEEvT1_
	.p2align	8
	.type	_ZN7rocprim17ROCPRIM_400000_NS6detail17trampoline_kernelINS0_14default_configENS1_25partition_config_selectorILNS1_17partition_subalgoE8ElNS0_10empty_typeEbEEZZNS1_14partition_implILS5_8ELb0ES3_jPKlPS6_PKS6_NS0_5tupleIJPlS6_EEENSE_IJSB_SB_EEENS0_18inequality_wrapperIN6hipcub16HIPCUB_304000_NS8EqualityEEESF_JS6_EEE10hipError_tPvRmT3_T4_T5_T6_T7_T9_mT8_P12ihipStream_tbDpT10_ENKUlT_T0_E_clISt17integral_constantIbLb1EES16_EEDaS11_S12_EUlS11_E_NS1_11comp_targetILNS1_3genE4ELNS1_11target_archE910ELNS1_3gpuE8ELNS1_3repE0EEENS1_30default_config_static_selectorELNS0_4arch9wavefront6targetE0EEEvT1_,@function
_ZN7rocprim17ROCPRIM_400000_NS6detail17trampoline_kernelINS0_14default_configENS1_25partition_config_selectorILNS1_17partition_subalgoE8ElNS0_10empty_typeEbEEZZNS1_14partition_implILS5_8ELb0ES3_jPKlPS6_PKS6_NS0_5tupleIJPlS6_EEENSE_IJSB_SB_EEENS0_18inequality_wrapperIN6hipcub16HIPCUB_304000_NS8EqualityEEESF_JS6_EEE10hipError_tPvRmT3_T4_T5_T6_T7_T9_mT8_P12ihipStream_tbDpT10_ENKUlT_T0_E_clISt17integral_constantIbLb1EES16_EEDaS11_S12_EUlS11_E_NS1_11comp_targetILNS1_3genE4ELNS1_11target_archE910ELNS1_3gpuE8ELNS1_3repE0EEENS1_30default_config_static_selectorELNS0_4arch9wavefront6targetE0EEEvT1_: ; @_ZN7rocprim17ROCPRIM_400000_NS6detail17trampoline_kernelINS0_14default_configENS1_25partition_config_selectorILNS1_17partition_subalgoE8ElNS0_10empty_typeEbEEZZNS1_14partition_implILS5_8ELb0ES3_jPKlPS6_PKS6_NS0_5tupleIJPlS6_EEENSE_IJSB_SB_EEENS0_18inequality_wrapperIN6hipcub16HIPCUB_304000_NS8EqualityEEESF_JS6_EEE10hipError_tPvRmT3_T4_T5_T6_T7_T9_mT8_P12ihipStream_tbDpT10_ENKUlT_T0_E_clISt17integral_constantIbLb1EES16_EEDaS11_S12_EUlS11_E_NS1_11comp_targetILNS1_3genE4ELNS1_11target_archE910ELNS1_3gpuE8ELNS1_3repE0EEENS1_30default_config_static_selectorELNS0_4arch9wavefront6targetE0EEEvT1_
; %bb.0:
	.section	.rodata,"a",@progbits
	.p2align	6, 0x0
	.amdhsa_kernel _ZN7rocprim17ROCPRIM_400000_NS6detail17trampoline_kernelINS0_14default_configENS1_25partition_config_selectorILNS1_17partition_subalgoE8ElNS0_10empty_typeEbEEZZNS1_14partition_implILS5_8ELb0ES3_jPKlPS6_PKS6_NS0_5tupleIJPlS6_EEENSE_IJSB_SB_EEENS0_18inequality_wrapperIN6hipcub16HIPCUB_304000_NS8EqualityEEESF_JS6_EEE10hipError_tPvRmT3_T4_T5_T6_T7_T9_mT8_P12ihipStream_tbDpT10_ENKUlT_T0_E_clISt17integral_constantIbLb1EES16_EEDaS11_S12_EUlS11_E_NS1_11comp_targetILNS1_3genE4ELNS1_11target_archE910ELNS1_3gpuE8ELNS1_3repE0EEENS1_30default_config_static_selectorELNS0_4arch9wavefront6targetE0EEEvT1_
		.amdhsa_group_segment_fixed_size 0
		.amdhsa_private_segment_fixed_size 0
		.amdhsa_kernarg_size 128
		.amdhsa_user_sgpr_count 6
		.amdhsa_user_sgpr_private_segment_buffer 1
		.amdhsa_user_sgpr_dispatch_ptr 0
		.amdhsa_user_sgpr_queue_ptr 0
		.amdhsa_user_sgpr_kernarg_segment_ptr 1
		.amdhsa_user_sgpr_dispatch_id 0
		.amdhsa_user_sgpr_flat_scratch_init 0
		.amdhsa_user_sgpr_private_segment_size 0
		.amdhsa_wavefront_size32 1
		.amdhsa_uses_dynamic_stack 0
		.amdhsa_system_sgpr_private_segment_wavefront_offset 0
		.amdhsa_system_sgpr_workgroup_id_x 1
		.amdhsa_system_sgpr_workgroup_id_y 0
		.amdhsa_system_sgpr_workgroup_id_z 0
		.amdhsa_system_sgpr_workgroup_info 0
		.amdhsa_system_vgpr_workitem_id 0
		.amdhsa_next_free_vgpr 1
		.amdhsa_next_free_sgpr 1
		.amdhsa_reserve_vcc 0
		.amdhsa_reserve_flat_scratch 0
		.amdhsa_float_round_mode_32 0
		.amdhsa_float_round_mode_16_64 0
		.amdhsa_float_denorm_mode_32 3
		.amdhsa_float_denorm_mode_16_64 3
		.amdhsa_dx10_clamp 1
		.amdhsa_ieee_mode 1
		.amdhsa_fp16_overflow 0
		.amdhsa_workgroup_processor_mode 1
		.amdhsa_memory_ordered 1
		.amdhsa_forward_progress 1
		.amdhsa_shared_vgpr_count 0
		.amdhsa_exception_fp_ieee_invalid_op 0
		.amdhsa_exception_fp_denorm_src 0
		.amdhsa_exception_fp_ieee_div_zero 0
		.amdhsa_exception_fp_ieee_overflow 0
		.amdhsa_exception_fp_ieee_underflow 0
		.amdhsa_exception_fp_ieee_inexact 0
		.amdhsa_exception_int_div_zero 0
	.end_amdhsa_kernel
	.section	.text._ZN7rocprim17ROCPRIM_400000_NS6detail17trampoline_kernelINS0_14default_configENS1_25partition_config_selectorILNS1_17partition_subalgoE8ElNS0_10empty_typeEbEEZZNS1_14partition_implILS5_8ELb0ES3_jPKlPS6_PKS6_NS0_5tupleIJPlS6_EEENSE_IJSB_SB_EEENS0_18inequality_wrapperIN6hipcub16HIPCUB_304000_NS8EqualityEEESF_JS6_EEE10hipError_tPvRmT3_T4_T5_T6_T7_T9_mT8_P12ihipStream_tbDpT10_ENKUlT_T0_E_clISt17integral_constantIbLb1EES16_EEDaS11_S12_EUlS11_E_NS1_11comp_targetILNS1_3genE4ELNS1_11target_archE910ELNS1_3gpuE8ELNS1_3repE0EEENS1_30default_config_static_selectorELNS0_4arch9wavefront6targetE0EEEvT1_,"axG",@progbits,_ZN7rocprim17ROCPRIM_400000_NS6detail17trampoline_kernelINS0_14default_configENS1_25partition_config_selectorILNS1_17partition_subalgoE8ElNS0_10empty_typeEbEEZZNS1_14partition_implILS5_8ELb0ES3_jPKlPS6_PKS6_NS0_5tupleIJPlS6_EEENSE_IJSB_SB_EEENS0_18inequality_wrapperIN6hipcub16HIPCUB_304000_NS8EqualityEEESF_JS6_EEE10hipError_tPvRmT3_T4_T5_T6_T7_T9_mT8_P12ihipStream_tbDpT10_ENKUlT_T0_E_clISt17integral_constantIbLb1EES16_EEDaS11_S12_EUlS11_E_NS1_11comp_targetILNS1_3genE4ELNS1_11target_archE910ELNS1_3gpuE8ELNS1_3repE0EEENS1_30default_config_static_selectorELNS0_4arch9wavefront6targetE0EEEvT1_,comdat
.Lfunc_end236:
	.size	_ZN7rocprim17ROCPRIM_400000_NS6detail17trampoline_kernelINS0_14default_configENS1_25partition_config_selectorILNS1_17partition_subalgoE8ElNS0_10empty_typeEbEEZZNS1_14partition_implILS5_8ELb0ES3_jPKlPS6_PKS6_NS0_5tupleIJPlS6_EEENSE_IJSB_SB_EEENS0_18inequality_wrapperIN6hipcub16HIPCUB_304000_NS8EqualityEEESF_JS6_EEE10hipError_tPvRmT3_T4_T5_T6_T7_T9_mT8_P12ihipStream_tbDpT10_ENKUlT_T0_E_clISt17integral_constantIbLb1EES16_EEDaS11_S12_EUlS11_E_NS1_11comp_targetILNS1_3genE4ELNS1_11target_archE910ELNS1_3gpuE8ELNS1_3repE0EEENS1_30default_config_static_selectorELNS0_4arch9wavefront6targetE0EEEvT1_, .Lfunc_end236-_ZN7rocprim17ROCPRIM_400000_NS6detail17trampoline_kernelINS0_14default_configENS1_25partition_config_selectorILNS1_17partition_subalgoE8ElNS0_10empty_typeEbEEZZNS1_14partition_implILS5_8ELb0ES3_jPKlPS6_PKS6_NS0_5tupleIJPlS6_EEENSE_IJSB_SB_EEENS0_18inequality_wrapperIN6hipcub16HIPCUB_304000_NS8EqualityEEESF_JS6_EEE10hipError_tPvRmT3_T4_T5_T6_T7_T9_mT8_P12ihipStream_tbDpT10_ENKUlT_T0_E_clISt17integral_constantIbLb1EES16_EEDaS11_S12_EUlS11_E_NS1_11comp_targetILNS1_3genE4ELNS1_11target_archE910ELNS1_3gpuE8ELNS1_3repE0EEENS1_30default_config_static_selectorELNS0_4arch9wavefront6targetE0EEEvT1_
                                        ; -- End function
	.set _ZN7rocprim17ROCPRIM_400000_NS6detail17trampoline_kernelINS0_14default_configENS1_25partition_config_selectorILNS1_17partition_subalgoE8ElNS0_10empty_typeEbEEZZNS1_14partition_implILS5_8ELb0ES3_jPKlPS6_PKS6_NS0_5tupleIJPlS6_EEENSE_IJSB_SB_EEENS0_18inequality_wrapperIN6hipcub16HIPCUB_304000_NS8EqualityEEESF_JS6_EEE10hipError_tPvRmT3_T4_T5_T6_T7_T9_mT8_P12ihipStream_tbDpT10_ENKUlT_T0_E_clISt17integral_constantIbLb1EES16_EEDaS11_S12_EUlS11_E_NS1_11comp_targetILNS1_3genE4ELNS1_11target_archE910ELNS1_3gpuE8ELNS1_3repE0EEENS1_30default_config_static_selectorELNS0_4arch9wavefront6targetE0EEEvT1_.num_vgpr, 0
	.set _ZN7rocprim17ROCPRIM_400000_NS6detail17trampoline_kernelINS0_14default_configENS1_25partition_config_selectorILNS1_17partition_subalgoE8ElNS0_10empty_typeEbEEZZNS1_14partition_implILS5_8ELb0ES3_jPKlPS6_PKS6_NS0_5tupleIJPlS6_EEENSE_IJSB_SB_EEENS0_18inequality_wrapperIN6hipcub16HIPCUB_304000_NS8EqualityEEESF_JS6_EEE10hipError_tPvRmT3_T4_T5_T6_T7_T9_mT8_P12ihipStream_tbDpT10_ENKUlT_T0_E_clISt17integral_constantIbLb1EES16_EEDaS11_S12_EUlS11_E_NS1_11comp_targetILNS1_3genE4ELNS1_11target_archE910ELNS1_3gpuE8ELNS1_3repE0EEENS1_30default_config_static_selectorELNS0_4arch9wavefront6targetE0EEEvT1_.num_agpr, 0
	.set _ZN7rocprim17ROCPRIM_400000_NS6detail17trampoline_kernelINS0_14default_configENS1_25partition_config_selectorILNS1_17partition_subalgoE8ElNS0_10empty_typeEbEEZZNS1_14partition_implILS5_8ELb0ES3_jPKlPS6_PKS6_NS0_5tupleIJPlS6_EEENSE_IJSB_SB_EEENS0_18inequality_wrapperIN6hipcub16HIPCUB_304000_NS8EqualityEEESF_JS6_EEE10hipError_tPvRmT3_T4_T5_T6_T7_T9_mT8_P12ihipStream_tbDpT10_ENKUlT_T0_E_clISt17integral_constantIbLb1EES16_EEDaS11_S12_EUlS11_E_NS1_11comp_targetILNS1_3genE4ELNS1_11target_archE910ELNS1_3gpuE8ELNS1_3repE0EEENS1_30default_config_static_selectorELNS0_4arch9wavefront6targetE0EEEvT1_.numbered_sgpr, 0
	.set _ZN7rocprim17ROCPRIM_400000_NS6detail17trampoline_kernelINS0_14default_configENS1_25partition_config_selectorILNS1_17partition_subalgoE8ElNS0_10empty_typeEbEEZZNS1_14partition_implILS5_8ELb0ES3_jPKlPS6_PKS6_NS0_5tupleIJPlS6_EEENSE_IJSB_SB_EEENS0_18inequality_wrapperIN6hipcub16HIPCUB_304000_NS8EqualityEEESF_JS6_EEE10hipError_tPvRmT3_T4_T5_T6_T7_T9_mT8_P12ihipStream_tbDpT10_ENKUlT_T0_E_clISt17integral_constantIbLb1EES16_EEDaS11_S12_EUlS11_E_NS1_11comp_targetILNS1_3genE4ELNS1_11target_archE910ELNS1_3gpuE8ELNS1_3repE0EEENS1_30default_config_static_selectorELNS0_4arch9wavefront6targetE0EEEvT1_.num_named_barrier, 0
	.set _ZN7rocprim17ROCPRIM_400000_NS6detail17trampoline_kernelINS0_14default_configENS1_25partition_config_selectorILNS1_17partition_subalgoE8ElNS0_10empty_typeEbEEZZNS1_14partition_implILS5_8ELb0ES3_jPKlPS6_PKS6_NS0_5tupleIJPlS6_EEENSE_IJSB_SB_EEENS0_18inequality_wrapperIN6hipcub16HIPCUB_304000_NS8EqualityEEESF_JS6_EEE10hipError_tPvRmT3_T4_T5_T6_T7_T9_mT8_P12ihipStream_tbDpT10_ENKUlT_T0_E_clISt17integral_constantIbLb1EES16_EEDaS11_S12_EUlS11_E_NS1_11comp_targetILNS1_3genE4ELNS1_11target_archE910ELNS1_3gpuE8ELNS1_3repE0EEENS1_30default_config_static_selectorELNS0_4arch9wavefront6targetE0EEEvT1_.private_seg_size, 0
	.set _ZN7rocprim17ROCPRIM_400000_NS6detail17trampoline_kernelINS0_14default_configENS1_25partition_config_selectorILNS1_17partition_subalgoE8ElNS0_10empty_typeEbEEZZNS1_14partition_implILS5_8ELb0ES3_jPKlPS6_PKS6_NS0_5tupleIJPlS6_EEENSE_IJSB_SB_EEENS0_18inequality_wrapperIN6hipcub16HIPCUB_304000_NS8EqualityEEESF_JS6_EEE10hipError_tPvRmT3_T4_T5_T6_T7_T9_mT8_P12ihipStream_tbDpT10_ENKUlT_T0_E_clISt17integral_constantIbLb1EES16_EEDaS11_S12_EUlS11_E_NS1_11comp_targetILNS1_3genE4ELNS1_11target_archE910ELNS1_3gpuE8ELNS1_3repE0EEENS1_30default_config_static_selectorELNS0_4arch9wavefront6targetE0EEEvT1_.uses_vcc, 0
	.set _ZN7rocprim17ROCPRIM_400000_NS6detail17trampoline_kernelINS0_14default_configENS1_25partition_config_selectorILNS1_17partition_subalgoE8ElNS0_10empty_typeEbEEZZNS1_14partition_implILS5_8ELb0ES3_jPKlPS6_PKS6_NS0_5tupleIJPlS6_EEENSE_IJSB_SB_EEENS0_18inequality_wrapperIN6hipcub16HIPCUB_304000_NS8EqualityEEESF_JS6_EEE10hipError_tPvRmT3_T4_T5_T6_T7_T9_mT8_P12ihipStream_tbDpT10_ENKUlT_T0_E_clISt17integral_constantIbLb1EES16_EEDaS11_S12_EUlS11_E_NS1_11comp_targetILNS1_3genE4ELNS1_11target_archE910ELNS1_3gpuE8ELNS1_3repE0EEENS1_30default_config_static_selectorELNS0_4arch9wavefront6targetE0EEEvT1_.uses_flat_scratch, 0
	.set _ZN7rocprim17ROCPRIM_400000_NS6detail17trampoline_kernelINS0_14default_configENS1_25partition_config_selectorILNS1_17partition_subalgoE8ElNS0_10empty_typeEbEEZZNS1_14partition_implILS5_8ELb0ES3_jPKlPS6_PKS6_NS0_5tupleIJPlS6_EEENSE_IJSB_SB_EEENS0_18inequality_wrapperIN6hipcub16HIPCUB_304000_NS8EqualityEEESF_JS6_EEE10hipError_tPvRmT3_T4_T5_T6_T7_T9_mT8_P12ihipStream_tbDpT10_ENKUlT_T0_E_clISt17integral_constantIbLb1EES16_EEDaS11_S12_EUlS11_E_NS1_11comp_targetILNS1_3genE4ELNS1_11target_archE910ELNS1_3gpuE8ELNS1_3repE0EEENS1_30default_config_static_selectorELNS0_4arch9wavefront6targetE0EEEvT1_.has_dyn_sized_stack, 0
	.set _ZN7rocprim17ROCPRIM_400000_NS6detail17trampoline_kernelINS0_14default_configENS1_25partition_config_selectorILNS1_17partition_subalgoE8ElNS0_10empty_typeEbEEZZNS1_14partition_implILS5_8ELb0ES3_jPKlPS6_PKS6_NS0_5tupleIJPlS6_EEENSE_IJSB_SB_EEENS0_18inequality_wrapperIN6hipcub16HIPCUB_304000_NS8EqualityEEESF_JS6_EEE10hipError_tPvRmT3_T4_T5_T6_T7_T9_mT8_P12ihipStream_tbDpT10_ENKUlT_T0_E_clISt17integral_constantIbLb1EES16_EEDaS11_S12_EUlS11_E_NS1_11comp_targetILNS1_3genE4ELNS1_11target_archE910ELNS1_3gpuE8ELNS1_3repE0EEENS1_30default_config_static_selectorELNS0_4arch9wavefront6targetE0EEEvT1_.has_recursion, 0
	.set _ZN7rocprim17ROCPRIM_400000_NS6detail17trampoline_kernelINS0_14default_configENS1_25partition_config_selectorILNS1_17partition_subalgoE8ElNS0_10empty_typeEbEEZZNS1_14partition_implILS5_8ELb0ES3_jPKlPS6_PKS6_NS0_5tupleIJPlS6_EEENSE_IJSB_SB_EEENS0_18inequality_wrapperIN6hipcub16HIPCUB_304000_NS8EqualityEEESF_JS6_EEE10hipError_tPvRmT3_T4_T5_T6_T7_T9_mT8_P12ihipStream_tbDpT10_ENKUlT_T0_E_clISt17integral_constantIbLb1EES16_EEDaS11_S12_EUlS11_E_NS1_11comp_targetILNS1_3genE4ELNS1_11target_archE910ELNS1_3gpuE8ELNS1_3repE0EEENS1_30default_config_static_selectorELNS0_4arch9wavefront6targetE0EEEvT1_.has_indirect_call, 0
	.section	.AMDGPU.csdata,"",@progbits
; Kernel info:
; codeLenInByte = 0
; TotalNumSgprs: 0
; NumVgprs: 0
; ScratchSize: 0
; MemoryBound: 0
; FloatMode: 240
; IeeeMode: 1
; LDSByteSize: 0 bytes/workgroup (compile time only)
; SGPRBlocks: 0
; VGPRBlocks: 0
; NumSGPRsForWavesPerEU: 1
; NumVGPRsForWavesPerEU: 1
; Occupancy: 16
; WaveLimiterHint : 0
; COMPUTE_PGM_RSRC2:SCRATCH_EN: 0
; COMPUTE_PGM_RSRC2:USER_SGPR: 6
; COMPUTE_PGM_RSRC2:TRAP_HANDLER: 0
; COMPUTE_PGM_RSRC2:TGID_X_EN: 1
; COMPUTE_PGM_RSRC2:TGID_Y_EN: 0
; COMPUTE_PGM_RSRC2:TGID_Z_EN: 0
; COMPUTE_PGM_RSRC2:TIDIG_COMP_CNT: 0
	.section	.text._ZN7rocprim17ROCPRIM_400000_NS6detail17trampoline_kernelINS0_14default_configENS1_25partition_config_selectorILNS1_17partition_subalgoE8ElNS0_10empty_typeEbEEZZNS1_14partition_implILS5_8ELb0ES3_jPKlPS6_PKS6_NS0_5tupleIJPlS6_EEENSE_IJSB_SB_EEENS0_18inequality_wrapperIN6hipcub16HIPCUB_304000_NS8EqualityEEESF_JS6_EEE10hipError_tPvRmT3_T4_T5_T6_T7_T9_mT8_P12ihipStream_tbDpT10_ENKUlT_T0_E_clISt17integral_constantIbLb1EES16_EEDaS11_S12_EUlS11_E_NS1_11comp_targetILNS1_3genE3ELNS1_11target_archE908ELNS1_3gpuE7ELNS1_3repE0EEENS1_30default_config_static_selectorELNS0_4arch9wavefront6targetE0EEEvT1_,"axG",@progbits,_ZN7rocprim17ROCPRIM_400000_NS6detail17trampoline_kernelINS0_14default_configENS1_25partition_config_selectorILNS1_17partition_subalgoE8ElNS0_10empty_typeEbEEZZNS1_14partition_implILS5_8ELb0ES3_jPKlPS6_PKS6_NS0_5tupleIJPlS6_EEENSE_IJSB_SB_EEENS0_18inequality_wrapperIN6hipcub16HIPCUB_304000_NS8EqualityEEESF_JS6_EEE10hipError_tPvRmT3_T4_T5_T6_T7_T9_mT8_P12ihipStream_tbDpT10_ENKUlT_T0_E_clISt17integral_constantIbLb1EES16_EEDaS11_S12_EUlS11_E_NS1_11comp_targetILNS1_3genE3ELNS1_11target_archE908ELNS1_3gpuE7ELNS1_3repE0EEENS1_30default_config_static_selectorELNS0_4arch9wavefront6targetE0EEEvT1_,comdat
	.protected	_ZN7rocprim17ROCPRIM_400000_NS6detail17trampoline_kernelINS0_14default_configENS1_25partition_config_selectorILNS1_17partition_subalgoE8ElNS0_10empty_typeEbEEZZNS1_14partition_implILS5_8ELb0ES3_jPKlPS6_PKS6_NS0_5tupleIJPlS6_EEENSE_IJSB_SB_EEENS0_18inequality_wrapperIN6hipcub16HIPCUB_304000_NS8EqualityEEESF_JS6_EEE10hipError_tPvRmT3_T4_T5_T6_T7_T9_mT8_P12ihipStream_tbDpT10_ENKUlT_T0_E_clISt17integral_constantIbLb1EES16_EEDaS11_S12_EUlS11_E_NS1_11comp_targetILNS1_3genE3ELNS1_11target_archE908ELNS1_3gpuE7ELNS1_3repE0EEENS1_30default_config_static_selectorELNS0_4arch9wavefront6targetE0EEEvT1_ ; -- Begin function _ZN7rocprim17ROCPRIM_400000_NS6detail17trampoline_kernelINS0_14default_configENS1_25partition_config_selectorILNS1_17partition_subalgoE8ElNS0_10empty_typeEbEEZZNS1_14partition_implILS5_8ELb0ES3_jPKlPS6_PKS6_NS0_5tupleIJPlS6_EEENSE_IJSB_SB_EEENS0_18inequality_wrapperIN6hipcub16HIPCUB_304000_NS8EqualityEEESF_JS6_EEE10hipError_tPvRmT3_T4_T5_T6_T7_T9_mT8_P12ihipStream_tbDpT10_ENKUlT_T0_E_clISt17integral_constantIbLb1EES16_EEDaS11_S12_EUlS11_E_NS1_11comp_targetILNS1_3genE3ELNS1_11target_archE908ELNS1_3gpuE7ELNS1_3repE0EEENS1_30default_config_static_selectorELNS0_4arch9wavefront6targetE0EEEvT1_
	.globl	_ZN7rocprim17ROCPRIM_400000_NS6detail17trampoline_kernelINS0_14default_configENS1_25partition_config_selectorILNS1_17partition_subalgoE8ElNS0_10empty_typeEbEEZZNS1_14partition_implILS5_8ELb0ES3_jPKlPS6_PKS6_NS0_5tupleIJPlS6_EEENSE_IJSB_SB_EEENS0_18inequality_wrapperIN6hipcub16HIPCUB_304000_NS8EqualityEEESF_JS6_EEE10hipError_tPvRmT3_T4_T5_T6_T7_T9_mT8_P12ihipStream_tbDpT10_ENKUlT_T0_E_clISt17integral_constantIbLb1EES16_EEDaS11_S12_EUlS11_E_NS1_11comp_targetILNS1_3genE3ELNS1_11target_archE908ELNS1_3gpuE7ELNS1_3repE0EEENS1_30default_config_static_selectorELNS0_4arch9wavefront6targetE0EEEvT1_
	.p2align	8
	.type	_ZN7rocprim17ROCPRIM_400000_NS6detail17trampoline_kernelINS0_14default_configENS1_25partition_config_selectorILNS1_17partition_subalgoE8ElNS0_10empty_typeEbEEZZNS1_14partition_implILS5_8ELb0ES3_jPKlPS6_PKS6_NS0_5tupleIJPlS6_EEENSE_IJSB_SB_EEENS0_18inequality_wrapperIN6hipcub16HIPCUB_304000_NS8EqualityEEESF_JS6_EEE10hipError_tPvRmT3_T4_T5_T6_T7_T9_mT8_P12ihipStream_tbDpT10_ENKUlT_T0_E_clISt17integral_constantIbLb1EES16_EEDaS11_S12_EUlS11_E_NS1_11comp_targetILNS1_3genE3ELNS1_11target_archE908ELNS1_3gpuE7ELNS1_3repE0EEENS1_30default_config_static_selectorELNS0_4arch9wavefront6targetE0EEEvT1_,@function
_ZN7rocprim17ROCPRIM_400000_NS6detail17trampoline_kernelINS0_14default_configENS1_25partition_config_selectorILNS1_17partition_subalgoE8ElNS0_10empty_typeEbEEZZNS1_14partition_implILS5_8ELb0ES3_jPKlPS6_PKS6_NS0_5tupleIJPlS6_EEENSE_IJSB_SB_EEENS0_18inequality_wrapperIN6hipcub16HIPCUB_304000_NS8EqualityEEESF_JS6_EEE10hipError_tPvRmT3_T4_T5_T6_T7_T9_mT8_P12ihipStream_tbDpT10_ENKUlT_T0_E_clISt17integral_constantIbLb1EES16_EEDaS11_S12_EUlS11_E_NS1_11comp_targetILNS1_3genE3ELNS1_11target_archE908ELNS1_3gpuE7ELNS1_3repE0EEENS1_30default_config_static_selectorELNS0_4arch9wavefront6targetE0EEEvT1_: ; @_ZN7rocprim17ROCPRIM_400000_NS6detail17trampoline_kernelINS0_14default_configENS1_25partition_config_selectorILNS1_17partition_subalgoE8ElNS0_10empty_typeEbEEZZNS1_14partition_implILS5_8ELb0ES3_jPKlPS6_PKS6_NS0_5tupleIJPlS6_EEENSE_IJSB_SB_EEENS0_18inequality_wrapperIN6hipcub16HIPCUB_304000_NS8EqualityEEESF_JS6_EEE10hipError_tPvRmT3_T4_T5_T6_T7_T9_mT8_P12ihipStream_tbDpT10_ENKUlT_T0_E_clISt17integral_constantIbLb1EES16_EEDaS11_S12_EUlS11_E_NS1_11comp_targetILNS1_3genE3ELNS1_11target_archE908ELNS1_3gpuE7ELNS1_3repE0EEENS1_30default_config_static_selectorELNS0_4arch9wavefront6targetE0EEEvT1_
; %bb.0:
	.section	.rodata,"a",@progbits
	.p2align	6, 0x0
	.amdhsa_kernel _ZN7rocprim17ROCPRIM_400000_NS6detail17trampoline_kernelINS0_14default_configENS1_25partition_config_selectorILNS1_17partition_subalgoE8ElNS0_10empty_typeEbEEZZNS1_14partition_implILS5_8ELb0ES3_jPKlPS6_PKS6_NS0_5tupleIJPlS6_EEENSE_IJSB_SB_EEENS0_18inequality_wrapperIN6hipcub16HIPCUB_304000_NS8EqualityEEESF_JS6_EEE10hipError_tPvRmT3_T4_T5_T6_T7_T9_mT8_P12ihipStream_tbDpT10_ENKUlT_T0_E_clISt17integral_constantIbLb1EES16_EEDaS11_S12_EUlS11_E_NS1_11comp_targetILNS1_3genE3ELNS1_11target_archE908ELNS1_3gpuE7ELNS1_3repE0EEENS1_30default_config_static_selectorELNS0_4arch9wavefront6targetE0EEEvT1_
		.amdhsa_group_segment_fixed_size 0
		.amdhsa_private_segment_fixed_size 0
		.amdhsa_kernarg_size 128
		.amdhsa_user_sgpr_count 6
		.amdhsa_user_sgpr_private_segment_buffer 1
		.amdhsa_user_sgpr_dispatch_ptr 0
		.amdhsa_user_sgpr_queue_ptr 0
		.amdhsa_user_sgpr_kernarg_segment_ptr 1
		.amdhsa_user_sgpr_dispatch_id 0
		.amdhsa_user_sgpr_flat_scratch_init 0
		.amdhsa_user_sgpr_private_segment_size 0
		.amdhsa_wavefront_size32 1
		.amdhsa_uses_dynamic_stack 0
		.amdhsa_system_sgpr_private_segment_wavefront_offset 0
		.amdhsa_system_sgpr_workgroup_id_x 1
		.amdhsa_system_sgpr_workgroup_id_y 0
		.amdhsa_system_sgpr_workgroup_id_z 0
		.amdhsa_system_sgpr_workgroup_info 0
		.amdhsa_system_vgpr_workitem_id 0
		.amdhsa_next_free_vgpr 1
		.amdhsa_next_free_sgpr 1
		.amdhsa_reserve_vcc 0
		.amdhsa_reserve_flat_scratch 0
		.amdhsa_float_round_mode_32 0
		.amdhsa_float_round_mode_16_64 0
		.amdhsa_float_denorm_mode_32 3
		.amdhsa_float_denorm_mode_16_64 3
		.amdhsa_dx10_clamp 1
		.amdhsa_ieee_mode 1
		.amdhsa_fp16_overflow 0
		.amdhsa_workgroup_processor_mode 1
		.amdhsa_memory_ordered 1
		.amdhsa_forward_progress 1
		.amdhsa_shared_vgpr_count 0
		.amdhsa_exception_fp_ieee_invalid_op 0
		.amdhsa_exception_fp_denorm_src 0
		.amdhsa_exception_fp_ieee_div_zero 0
		.amdhsa_exception_fp_ieee_overflow 0
		.amdhsa_exception_fp_ieee_underflow 0
		.amdhsa_exception_fp_ieee_inexact 0
		.amdhsa_exception_int_div_zero 0
	.end_amdhsa_kernel
	.section	.text._ZN7rocprim17ROCPRIM_400000_NS6detail17trampoline_kernelINS0_14default_configENS1_25partition_config_selectorILNS1_17partition_subalgoE8ElNS0_10empty_typeEbEEZZNS1_14partition_implILS5_8ELb0ES3_jPKlPS6_PKS6_NS0_5tupleIJPlS6_EEENSE_IJSB_SB_EEENS0_18inequality_wrapperIN6hipcub16HIPCUB_304000_NS8EqualityEEESF_JS6_EEE10hipError_tPvRmT3_T4_T5_T6_T7_T9_mT8_P12ihipStream_tbDpT10_ENKUlT_T0_E_clISt17integral_constantIbLb1EES16_EEDaS11_S12_EUlS11_E_NS1_11comp_targetILNS1_3genE3ELNS1_11target_archE908ELNS1_3gpuE7ELNS1_3repE0EEENS1_30default_config_static_selectorELNS0_4arch9wavefront6targetE0EEEvT1_,"axG",@progbits,_ZN7rocprim17ROCPRIM_400000_NS6detail17trampoline_kernelINS0_14default_configENS1_25partition_config_selectorILNS1_17partition_subalgoE8ElNS0_10empty_typeEbEEZZNS1_14partition_implILS5_8ELb0ES3_jPKlPS6_PKS6_NS0_5tupleIJPlS6_EEENSE_IJSB_SB_EEENS0_18inequality_wrapperIN6hipcub16HIPCUB_304000_NS8EqualityEEESF_JS6_EEE10hipError_tPvRmT3_T4_T5_T6_T7_T9_mT8_P12ihipStream_tbDpT10_ENKUlT_T0_E_clISt17integral_constantIbLb1EES16_EEDaS11_S12_EUlS11_E_NS1_11comp_targetILNS1_3genE3ELNS1_11target_archE908ELNS1_3gpuE7ELNS1_3repE0EEENS1_30default_config_static_selectorELNS0_4arch9wavefront6targetE0EEEvT1_,comdat
.Lfunc_end237:
	.size	_ZN7rocprim17ROCPRIM_400000_NS6detail17trampoline_kernelINS0_14default_configENS1_25partition_config_selectorILNS1_17partition_subalgoE8ElNS0_10empty_typeEbEEZZNS1_14partition_implILS5_8ELb0ES3_jPKlPS6_PKS6_NS0_5tupleIJPlS6_EEENSE_IJSB_SB_EEENS0_18inequality_wrapperIN6hipcub16HIPCUB_304000_NS8EqualityEEESF_JS6_EEE10hipError_tPvRmT3_T4_T5_T6_T7_T9_mT8_P12ihipStream_tbDpT10_ENKUlT_T0_E_clISt17integral_constantIbLb1EES16_EEDaS11_S12_EUlS11_E_NS1_11comp_targetILNS1_3genE3ELNS1_11target_archE908ELNS1_3gpuE7ELNS1_3repE0EEENS1_30default_config_static_selectorELNS0_4arch9wavefront6targetE0EEEvT1_, .Lfunc_end237-_ZN7rocprim17ROCPRIM_400000_NS6detail17trampoline_kernelINS0_14default_configENS1_25partition_config_selectorILNS1_17partition_subalgoE8ElNS0_10empty_typeEbEEZZNS1_14partition_implILS5_8ELb0ES3_jPKlPS6_PKS6_NS0_5tupleIJPlS6_EEENSE_IJSB_SB_EEENS0_18inequality_wrapperIN6hipcub16HIPCUB_304000_NS8EqualityEEESF_JS6_EEE10hipError_tPvRmT3_T4_T5_T6_T7_T9_mT8_P12ihipStream_tbDpT10_ENKUlT_T0_E_clISt17integral_constantIbLb1EES16_EEDaS11_S12_EUlS11_E_NS1_11comp_targetILNS1_3genE3ELNS1_11target_archE908ELNS1_3gpuE7ELNS1_3repE0EEENS1_30default_config_static_selectorELNS0_4arch9wavefront6targetE0EEEvT1_
                                        ; -- End function
	.set _ZN7rocprim17ROCPRIM_400000_NS6detail17trampoline_kernelINS0_14default_configENS1_25partition_config_selectorILNS1_17partition_subalgoE8ElNS0_10empty_typeEbEEZZNS1_14partition_implILS5_8ELb0ES3_jPKlPS6_PKS6_NS0_5tupleIJPlS6_EEENSE_IJSB_SB_EEENS0_18inequality_wrapperIN6hipcub16HIPCUB_304000_NS8EqualityEEESF_JS6_EEE10hipError_tPvRmT3_T4_T5_T6_T7_T9_mT8_P12ihipStream_tbDpT10_ENKUlT_T0_E_clISt17integral_constantIbLb1EES16_EEDaS11_S12_EUlS11_E_NS1_11comp_targetILNS1_3genE3ELNS1_11target_archE908ELNS1_3gpuE7ELNS1_3repE0EEENS1_30default_config_static_selectorELNS0_4arch9wavefront6targetE0EEEvT1_.num_vgpr, 0
	.set _ZN7rocprim17ROCPRIM_400000_NS6detail17trampoline_kernelINS0_14default_configENS1_25partition_config_selectorILNS1_17partition_subalgoE8ElNS0_10empty_typeEbEEZZNS1_14partition_implILS5_8ELb0ES3_jPKlPS6_PKS6_NS0_5tupleIJPlS6_EEENSE_IJSB_SB_EEENS0_18inequality_wrapperIN6hipcub16HIPCUB_304000_NS8EqualityEEESF_JS6_EEE10hipError_tPvRmT3_T4_T5_T6_T7_T9_mT8_P12ihipStream_tbDpT10_ENKUlT_T0_E_clISt17integral_constantIbLb1EES16_EEDaS11_S12_EUlS11_E_NS1_11comp_targetILNS1_3genE3ELNS1_11target_archE908ELNS1_3gpuE7ELNS1_3repE0EEENS1_30default_config_static_selectorELNS0_4arch9wavefront6targetE0EEEvT1_.num_agpr, 0
	.set _ZN7rocprim17ROCPRIM_400000_NS6detail17trampoline_kernelINS0_14default_configENS1_25partition_config_selectorILNS1_17partition_subalgoE8ElNS0_10empty_typeEbEEZZNS1_14partition_implILS5_8ELb0ES3_jPKlPS6_PKS6_NS0_5tupleIJPlS6_EEENSE_IJSB_SB_EEENS0_18inequality_wrapperIN6hipcub16HIPCUB_304000_NS8EqualityEEESF_JS6_EEE10hipError_tPvRmT3_T4_T5_T6_T7_T9_mT8_P12ihipStream_tbDpT10_ENKUlT_T0_E_clISt17integral_constantIbLb1EES16_EEDaS11_S12_EUlS11_E_NS1_11comp_targetILNS1_3genE3ELNS1_11target_archE908ELNS1_3gpuE7ELNS1_3repE0EEENS1_30default_config_static_selectorELNS0_4arch9wavefront6targetE0EEEvT1_.numbered_sgpr, 0
	.set _ZN7rocprim17ROCPRIM_400000_NS6detail17trampoline_kernelINS0_14default_configENS1_25partition_config_selectorILNS1_17partition_subalgoE8ElNS0_10empty_typeEbEEZZNS1_14partition_implILS5_8ELb0ES3_jPKlPS6_PKS6_NS0_5tupleIJPlS6_EEENSE_IJSB_SB_EEENS0_18inequality_wrapperIN6hipcub16HIPCUB_304000_NS8EqualityEEESF_JS6_EEE10hipError_tPvRmT3_T4_T5_T6_T7_T9_mT8_P12ihipStream_tbDpT10_ENKUlT_T0_E_clISt17integral_constantIbLb1EES16_EEDaS11_S12_EUlS11_E_NS1_11comp_targetILNS1_3genE3ELNS1_11target_archE908ELNS1_3gpuE7ELNS1_3repE0EEENS1_30default_config_static_selectorELNS0_4arch9wavefront6targetE0EEEvT1_.num_named_barrier, 0
	.set _ZN7rocprim17ROCPRIM_400000_NS6detail17trampoline_kernelINS0_14default_configENS1_25partition_config_selectorILNS1_17partition_subalgoE8ElNS0_10empty_typeEbEEZZNS1_14partition_implILS5_8ELb0ES3_jPKlPS6_PKS6_NS0_5tupleIJPlS6_EEENSE_IJSB_SB_EEENS0_18inequality_wrapperIN6hipcub16HIPCUB_304000_NS8EqualityEEESF_JS6_EEE10hipError_tPvRmT3_T4_T5_T6_T7_T9_mT8_P12ihipStream_tbDpT10_ENKUlT_T0_E_clISt17integral_constantIbLb1EES16_EEDaS11_S12_EUlS11_E_NS1_11comp_targetILNS1_3genE3ELNS1_11target_archE908ELNS1_3gpuE7ELNS1_3repE0EEENS1_30default_config_static_selectorELNS0_4arch9wavefront6targetE0EEEvT1_.private_seg_size, 0
	.set _ZN7rocprim17ROCPRIM_400000_NS6detail17trampoline_kernelINS0_14default_configENS1_25partition_config_selectorILNS1_17partition_subalgoE8ElNS0_10empty_typeEbEEZZNS1_14partition_implILS5_8ELb0ES3_jPKlPS6_PKS6_NS0_5tupleIJPlS6_EEENSE_IJSB_SB_EEENS0_18inequality_wrapperIN6hipcub16HIPCUB_304000_NS8EqualityEEESF_JS6_EEE10hipError_tPvRmT3_T4_T5_T6_T7_T9_mT8_P12ihipStream_tbDpT10_ENKUlT_T0_E_clISt17integral_constantIbLb1EES16_EEDaS11_S12_EUlS11_E_NS1_11comp_targetILNS1_3genE3ELNS1_11target_archE908ELNS1_3gpuE7ELNS1_3repE0EEENS1_30default_config_static_selectorELNS0_4arch9wavefront6targetE0EEEvT1_.uses_vcc, 0
	.set _ZN7rocprim17ROCPRIM_400000_NS6detail17trampoline_kernelINS0_14default_configENS1_25partition_config_selectorILNS1_17partition_subalgoE8ElNS0_10empty_typeEbEEZZNS1_14partition_implILS5_8ELb0ES3_jPKlPS6_PKS6_NS0_5tupleIJPlS6_EEENSE_IJSB_SB_EEENS0_18inequality_wrapperIN6hipcub16HIPCUB_304000_NS8EqualityEEESF_JS6_EEE10hipError_tPvRmT3_T4_T5_T6_T7_T9_mT8_P12ihipStream_tbDpT10_ENKUlT_T0_E_clISt17integral_constantIbLb1EES16_EEDaS11_S12_EUlS11_E_NS1_11comp_targetILNS1_3genE3ELNS1_11target_archE908ELNS1_3gpuE7ELNS1_3repE0EEENS1_30default_config_static_selectorELNS0_4arch9wavefront6targetE0EEEvT1_.uses_flat_scratch, 0
	.set _ZN7rocprim17ROCPRIM_400000_NS6detail17trampoline_kernelINS0_14default_configENS1_25partition_config_selectorILNS1_17partition_subalgoE8ElNS0_10empty_typeEbEEZZNS1_14partition_implILS5_8ELb0ES3_jPKlPS6_PKS6_NS0_5tupleIJPlS6_EEENSE_IJSB_SB_EEENS0_18inequality_wrapperIN6hipcub16HIPCUB_304000_NS8EqualityEEESF_JS6_EEE10hipError_tPvRmT3_T4_T5_T6_T7_T9_mT8_P12ihipStream_tbDpT10_ENKUlT_T0_E_clISt17integral_constantIbLb1EES16_EEDaS11_S12_EUlS11_E_NS1_11comp_targetILNS1_3genE3ELNS1_11target_archE908ELNS1_3gpuE7ELNS1_3repE0EEENS1_30default_config_static_selectorELNS0_4arch9wavefront6targetE0EEEvT1_.has_dyn_sized_stack, 0
	.set _ZN7rocprim17ROCPRIM_400000_NS6detail17trampoline_kernelINS0_14default_configENS1_25partition_config_selectorILNS1_17partition_subalgoE8ElNS0_10empty_typeEbEEZZNS1_14partition_implILS5_8ELb0ES3_jPKlPS6_PKS6_NS0_5tupleIJPlS6_EEENSE_IJSB_SB_EEENS0_18inequality_wrapperIN6hipcub16HIPCUB_304000_NS8EqualityEEESF_JS6_EEE10hipError_tPvRmT3_T4_T5_T6_T7_T9_mT8_P12ihipStream_tbDpT10_ENKUlT_T0_E_clISt17integral_constantIbLb1EES16_EEDaS11_S12_EUlS11_E_NS1_11comp_targetILNS1_3genE3ELNS1_11target_archE908ELNS1_3gpuE7ELNS1_3repE0EEENS1_30default_config_static_selectorELNS0_4arch9wavefront6targetE0EEEvT1_.has_recursion, 0
	.set _ZN7rocprim17ROCPRIM_400000_NS6detail17trampoline_kernelINS0_14default_configENS1_25partition_config_selectorILNS1_17partition_subalgoE8ElNS0_10empty_typeEbEEZZNS1_14partition_implILS5_8ELb0ES3_jPKlPS6_PKS6_NS0_5tupleIJPlS6_EEENSE_IJSB_SB_EEENS0_18inequality_wrapperIN6hipcub16HIPCUB_304000_NS8EqualityEEESF_JS6_EEE10hipError_tPvRmT3_T4_T5_T6_T7_T9_mT8_P12ihipStream_tbDpT10_ENKUlT_T0_E_clISt17integral_constantIbLb1EES16_EEDaS11_S12_EUlS11_E_NS1_11comp_targetILNS1_3genE3ELNS1_11target_archE908ELNS1_3gpuE7ELNS1_3repE0EEENS1_30default_config_static_selectorELNS0_4arch9wavefront6targetE0EEEvT1_.has_indirect_call, 0
	.section	.AMDGPU.csdata,"",@progbits
; Kernel info:
; codeLenInByte = 0
; TotalNumSgprs: 0
; NumVgprs: 0
; ScratchSize: 0
; MemoryBound: 0
; FloatMode: 240
; IeeeMode: 1
; LDSByteSize: 0 bytes/workgroup (compile time only)
; SGPRBlocks: 0
; VGPRBlocks: 0
; NumSGPRsForWavesPerEU: 1
; NumVGPRsForWavesPerEU: 1
; Occupancy: 16
; WaveLimiterHint : 0
; COMPUTE_PGM_RSRC2:SCRATCH_EN: 0
; COMPUTE_PGM_RSRC2:USER_SGPR: 6
; COMPUTE_PGM_RSRC2:TRAP_HANDLER: 0
; COMPUTE_PGM_RSRC2:TGID_X_EN: 1
; COMPUTE_PGM_RSRC2:TGID_Y_EN: 0
; COMPUTE_PGM_RSRC2:TGID_Z_EN: 0
; COMPUTE_PGM_RSRC2:TIDIG_COMP_CNT: 0
	.section	.text._ZN7rocprim17ROCPRIM_400000_NS6detail17trampoline_kernelINS0_14default_configENS1_25partition_config_selectorILNS1_17partition_subalgoE8ElNS0_10empty_typeEbEEZZNS1_14partition_implILS5_8ELb0ES3_jPKlPS6_PKS6_NS0_5tupleIJPlS6_EEENSE_IJSB_SB_EEENS0_18inequality_wrapperIN6hipcub16HIPCUB_304000_NS8EqualityEEESF_JS6_EEE10hipError_tPvRmT3_T4_T5_T6_T7_T9_mT8_P12ihipStream_tbDpT10_ENKUlT_T0_E_clISt17integral_constantIbLb1EES16_EEDaS11_S12_EUlS11_E_NS1_11comp_targetILNS1_3genE2ELNS1_11target_archE906ELNS1_3gpuE6ELNS1_3repE0EEENS1_30default_config_static_selectorELNS0_4arch9wavefront6targetE0EEEvT1_,"axG",@progbits,_ZN7rocprim17ROCPRIM_400000_NS6detail17trampoline_kernelINS0_14default_configENS1_25partition_config_selectorILNS1_17partition_subalgoE8ElNS0_10empty_typeEbEEZZNS1_14partition_implILS5_8ELb0ES3_jPKlPS6_PKS6_NS0_5tupleIJPlS6_EEENSE_IJSB_SB_EEENS0_18inequality_wrapperIN6hipcub16HIPCUB_304000_NS8EqualityEEESF_JS6_EEE10hipError_tPvRmT3_T4_T5_T6_T7_T9_mT8_P12ihipStream_tbDpT10_ENKUlT_T0_E_clISt17integral_constantIbLb1EES16_EEDaS11_S12_EUlS11_E_NS1_11comp_targetILNS1_3genE2ELNS1_11target_archE906ELNS1_3gpuE6ELNS1_3repE0EEENS1_30default_config_static_selectorELNS0_4arch9wavefront6targetE0EEEvT1_,comdat
	.protected	_ZN7rocprim17ROCPRIM_400000_NS6detail17trampoline_kernelINS0_14default_configENS1_25partition_config_selectorILNS1_17partition_subalgoE8ElNS0_10empty_typeEbEEZZNS1_14partition_implILS5_8ELb0ES3_jPKlPS6_PKS6_NS0_5tupleIJPlS6_EEENSE_IJSB_SB_EEENS0_18inequality_wrapperIN6hipcub16HIPCUB_304000_NS8EqualityEEESF_JS6_EEE10hipError_tPvRmT3_T4_T5_T6_T7_T9_mT8_P12ihipStream_tbDpT10_ENKUlT_T0_E_clISt17integral_constantIbLb1EES16_EEDaS11_S12_EUlS11_E_NS1_11comp_targetILNS1_3genE2ELNS1_11target_archE906ELNS1_3gpuE6ELNS1_3repE0EEENS1_30default_config_static_selectorELNS0_4arch9wavefront6targetE0EEEvT1_ ; -- Begin function _ZN7rocprim17ROCPRIM_400000_NS6detail17trampoline_kernelINS0_14default_configENS1_25partition_config_selectorILNS1_17partition_subalgoE8ElNS0_10empty_typeEbEEZZNS1_14partition_implILS5_8ELb0ES3_jPKlPS6_PKS6_NS0_5tupleIJPlS6_EEENSE_IJSB_SB_EEENS0_18inequality_wrapperIN6hipcub16HIPCUB_304000_NS8EqualityEEESF_JS6_EEE10hipError_tPvRmT3_T4_T5_T6_T7_T9_mT8_P12ihipStream_tbDpT10_ENKUlT_T0_E_clISt17integral_constantIbLb1EES16_EEDaS11_S12_EUlS11_E_NS1_11comp_targetILNS1_3genE2ELNS1_11target_archE906ELNS1_3gpuE6ELNS1_3repE0EEENS1_30default_config_static_selectorELNS0_4arch9wavefront6targetE0EEEvT1_
	.globl	_ZN7rocprim17ROCPRIM_400000_NS6detail17trampoline_kernelINS0_14default_configENS1_25partition_config_selectorILNS1_17partition_subalgoE8ElNS0_10empty_typeEbEEZZNS1_14partition_implILS5_8ELb0ES3_jPKlPS6_PKS6_NS0_5tupleIJPlS6_EEENSE_IJSB_SB_EEENS0_18inequality_wrapperIN6hipcub16HIPCUB_304000_NS8EqualityEEESF_JS6_EEE10hipError_tPvRmT3_T4_T5_T6_T7_T9_mT8_P12ihipStream_tbDpT10_ENKUlT_T0_E_clISt17integral_constantIbLb1EES16_EEDaS11_S12_EUlS11_E_NS1_11comp_targetILNS1_3genE2ELNS1_11target_archE906ELNS1_3gpuE6ELNS1_3repE0EEENS1_30default_config_static_selectorELNS0_4arch9wavefront6targetE0EEEvT1_
	.p2align	8
	.type	_ZN7rocprim17ROCPRIM_400000_NS6detail17trampoline_kernelINS0_14default_configENS1_25partition_config_selectorILNS1_17partition_subalgoE8ElNS0_10empty_typeEbEEZZNS1_14partition_implILS5_8ELb0ES3_jPKlPS6_PKS6_NS0_5tupleIJPlS6_EEENSE_IJSB_SB_EEENS0_18inequality_wrapperIN6hipcub16HIPCUB_304000_NS8EqualityEEESF_JS6_EEE10hipError_tPvRmT3_T4_T5_T6_T7_T9_mT8_P12ihipStream_tbDpT10_ENKUlT_T0_E_clISt17integral_constantIbLb1EES16_EEDaS11_S12_EUlS11_E_NS1_11comp_targetILNS1_3genE2ELNS1_11target_archE906ELNS1_3gpuE6ELNS1_3repE0EEENS1_30default_config_static_selectorELNS0_4arch9wavefront6targetE0EEEvT1_,@function
_ZN7rocprim17ROCPRIM_400000_NS6detail17trampoline_kernelINS0_14default_configENS1_25partition_config_selectorILNS1_17partition_subalgoE8ElNS0_10empty_typeEbEEZZNS1_14partition_implILS5_8ELb0ES3_jPKlPS6_PKS6_NS0_5tupleIJPlS6_EEENSE_IJSB_SB_EEENS0_18inequality_wrapperIN6hipcub16HIPCUB_304000_NS8EqualityEEESF_JS6_EEE10hipError_tPvRmT3_T4_T5_T6_T7_T9_mT8_P12ihipStream_tbDpT10_ENKUlT_T0_E_clISt17integral_constantIbLb1EES16_EEDaS11_S12_EUlS11_E_NS1_11comp_targetILNS1_3genE2ELNS1_11target_archE906ELNS1_3gpuE6ELNS1_3repE0EEENS1_30default_config_static_selectorELNS0_4arch9wavefront6targetE0EEEvT1_: ; @_ZN7rocprim17ROCPRIM_400000_NS6detail17trampoline_kernelINS0_14default_configENS1_25partition_config_selectorILNS1_17partition_subalgoE8ElNS0_10empty_typeEbEEZZNS1_14partition_implILS5_8ELb0ES3_jPKlPS6_PKS6_NS0_5tupleIJPlS6_EEENSE_IJSB_SB_EEENS0_18inequality_wrapperIN6hipcub16HIPCUB_304000_NS8EqualityEEESF_JS6_EEE10hipError_tPvRmT3_T4_T5_T6_T7_T9_mT8_P12ihipStream_tbDpT10_ENKUlT_T0_E_clISt17integral_constantIbLb1EES16_EEDaS11_S12_EUlS11_E_NS1_11comp_targetILNS1_3genE2ELNS1_11target_archE906ELNS1_3gpuE6ELNS1_3repE0EEENS1_30default_config_static_selectorELNS0_4arch9wavefront6targetE0EEEvT1_
; %bb.0:
	.section	.rodata,"a",@progbits
	.p2align	6, 0x0
	.amdhsa_kernel _ZN7rocprim17ROCPRIM_400000_NS6detail17trampoline_kernelINS0_14default_configENS1_25partition_config_selectorILNS1_17partition_subalgoE8ElNS0_10empty_typeEbEEZZNS1_14partition_implILS5_8ELb0ES3_jPKlPS6_PKS6_NS0_5tupleIJPlS6_EEENSE_IJSB_SB_EEENS0_18inequality_wrapperIN6hipcub16HIPCUB_304000_NS8EqualityEEESF_JS6_EEE10hipError_tPvRmT3_T4_T5_T6_T7_T9_mT8_P12ihipStream_tbDpT10_ENKUlT_T0_E_clISt17integral_constantIbLb1EES16_EEDaS11_S12_EUlS11_E_NS1_11comp_targetILNS1_3genE2ELNS1_11target_archE906ELNS1_3gpuE6ELNS1_3repE0EEENS1_30default_config_static_selectorELNS0_4arch9wavefront6targetE0EEEvT1_
		.amdhsa_group_segment_fixed_size 0
		.amdhsa_private_segment_fixed_size 0
		.amdhsa_kernarg_size 128
		.amdhsa_user_sgpr_count 6
		.amdhsa_user_sgpr_private_segment_buffer 1
		.amdhsa_user_sgpr_dispatch_ptr 0
		.amdhsa_user_sgpr_queue_ptr 0
		.amdhsa_user_sgpr_kernarg_segment_ptr 1
		.amdhsa_user_sgpr_dispatch_id 0
		.amdhsa_user_sgpr_flat_scratch_init 0
		.amdhsa_user_sgpr_private_segment_size 0
		.amdhsa_wavefront_size32 1
		.amdhsa_uses_dynamic_stack 0
		.amdhsa_system_sgpr_private_segment_wavefront_offset 0
		.amdhsa_system_sgpr_workgroup_id_x 1
		.amdhsa_system_sgpr_workgroup_id_y 0
		.amdhsa_system_sgpr_workgroup_id_z 0
		.amdhsa_system_sgpr_workgroup_info 0
		.amdhsa_system_vgpr_workitem_id 0
		.amdhsa_next_free_vgpr 1
		.amdhsa_next_free_sgpr 1
		.amdhsa_reserve_vcc 0
		.amdhsa_reserve_flat_scratch 0
		.amdhsa_float_round_mode_32 0
		.amdhsa_float_round_mode_16_64 0
		.amdhsa_float_denorm_mode_32 3
		.amdhsa_float_denorm_mode_16_64 3
		.amdhsa_dx10_clamp 1
		.amdhsa_ieee_mode 1
		.amdhsa_fp16_overflow 0
		.amdhsa_workgroup_processor_mode 1
		.amdhsa_memory_ordered 1
		.amdhsa_forward_progress 1
		.amdhsa_shared_vgpr_count 0
		.amdhsa_exception_fp_ieee_invalid_op 0
		.amdhsa_exception_fp_denorm_src 0
		.amdhsa_exception_fp_ieee_div_zero 0
		.amdhsa_exception_fp_ieee_overflow 0
		.amdhsa_exception_fp_ieee_underflow 0
		.amdhsa_exception_fp_ieee_inexact 0
		.amdhsa_exception_int_div_zero 0
	.end_amdhsa_kernel
	.section	.text._ZN7rocprim17ROCPRIM_400000_NS6detail17trampoline_kernelINS0_14default_configENS1_25partition_config_selectorILNS1_17partition_subalgoE8ElNS0_10empty_typeEbEEZZNS1_14partition_implILS5_8ELb0ES3_jPKlPS6_PKS6_NS0_5tupleIJPlS6_EEENSE_IJSB_SB_EEENS0_18inequality_wrapperIN6hipcub16HIPCUB_304000_NS8EqualityEEESF_JS6_EEE10hipError_tPvRmT3_T4_T5_T6_T7_T9_mT8_P12ihipStream_tbDpT10_ENKUlT_T0_E_clISt17integral_constantIbLb1EES16_EEDaS11_S12_EUlS11_E_NS1_11comp_targetILNS1_3genE2ELNS1_11target_archE906ELNS1_3gpuE6ELNS1_3repE0EEENS1_30default_config_static_selectorELNS0_4arch9wavefront6targetE0EEEvT1_,"axG",@progbits,_ZN7rocprim17ROCPRIM_400000_NS6detail17trampoline_kernelINS0_14default_configENS1_25partition_config_selectorILNS1_17partition_subalgoE8ElNS0_10empty_typeEbEEZZNS1_14partition_implILS5_8ELb0ES3_jPKlPS6_PKS6_NS0_5tupleIJPlS6_EEENSE_IJSB_SB_EEENS0_18inequality_wrapperIN6hipcub16HIPCUB_304000_NS8EqualityEEESF_JS6_EEE10hipError_tPvRmT3_T4_T5_T6_T7_T9_mT8_P12ihipStream_tbDpT10_ENKUlT_T0_E_clISt17integral_constantIbLb1EES16_EEDaS11_S12_EUlS11_E_NS1_11comp_targetILNS1_3genE2ELNS1_11target_archE906ELNS1_3gpuE6ELNS1_3repE0EEENS1_30default_config_static_selectorELNS0_4arch9wavefront6targetE0EEEvT1_,comdat
.Lfunc_end238:
	.size	_ZN7rocprim17ROCPRIM_400000_NS6detail17trampoline_kernelINS0_14default_configENS1_25partition_config_selectorILNS1_17partition_subalgoE8ElNS0_10empty_typeEbEEZZNS1_14partition_implILS5_8ELb0ES3_jPKlPS6_PKS6_NS0_5tupleIJPlS6_EEENSE_IJSB_SB_EEENS0_18inequality_wrapperIN6hipcub16HIPCUB_304000_NS8EqualityEEESF_JS6_EEE10hipError_tPvRmT3_T4_T5_T6_T7_T9_mT8_P12ihipStream_tbDpT10_ENKUlT_T0_E_clISt17integral_constantIbLb1EES16_EEDaS11_S12_EUlS11_E_NS1_11comp_targetILNS1_3genE2ELNS1_11target_archE906ELNS1_3gpuE6ELNS1_3repE0EEENS1_30default_config_static_selectorELNS0_4arch9wavefront6targetE0EEEvT1_, .Lfunc_end238-_ZN7rocprim17ROCPRIM_400000_NS6detail17trampoline_kernelINS0_14default_configENS1_25partition_config_selectorILNS1_17partition_subalgoE8ElNS0_10empty_typeEbEEZZNS1_14partition_implILS5_8ELb0ES3_jPKlPS6_PKS6_NS0_5tupleIJPlS6_EEENSE_IJSB_SB_EEENS0_18inequality_wrapperIN6hipcub16HIPCUB_304000_NS8EqualityEEESF_JS6_EEE10hipError_tPvRmT3_T4_T5_T6_T7_T9_mT8_P12ihipStream_tbDpT10_ENKUlT_T0_E_clISt17integral_constantIbLb1EES16_EEDaS11_S12_EUlS11_E_NS1_11comp_targetILNS1_3genE2ELNS1_11target_archE906ELNS1_3gpuE6ELNS1_3repE0EEENS1_30default_config_static_selectorELNS0_4arch9wavefront6targetE0EEEvT1_
                                        ; -- End function
	.set _ZN7rocprim17ROCPRIM_400000_NS6detail17trampoline_kernelINS0_14default_configENS1_25partition_config_selectorILNS1_17partition_subalgoE8ElNS0_10empty_typeEbEEZZNS1_14partition_implILS5_8ELb0ES3_jPKlPS6_PKS6_NS0_5tupleIJPlS6_EEENSE_IJSB_SB_EEENS0_18inequality_wrapperIN6hipcub16HIPCUB_304000_NS8EqualityEEESF_JS6_EEE10hipError_tPvRmT3_T4_T5_T6_T7_T9_mT8_P12ihipStream_tbDpT10_ENKUlT_T0_E_clISt17integral_constantIbLb1EES16_EEDaS11_S12_EUlS11_E_NS1_11comp_targetILNS1_3genE2ELNS1_11target_archE906ELNS1_3gpuE6ELNS1_3repE0EEENS1_30default_config_static_selectorELNS0_4arch9wavefront6targetE0EEEvT1_.num_vgpr, 0
	.set _ZN7rocprim17ROCPRIM_400000_NS6detail17trampoline_kernelINS0_14default_configENS1_25partition_config_selectorILNS1_17partition_subalgoE8ElNS0_10empty_typeEbEEZZNS1_14partition_implILS5_8ELb0ES3_jPKlPS6_PKS6_NS0_5tupleIJPlS6_EEENSE_IJSB_SB_EEENS0_18inequality_wrapperIN6hipcub16HIPCUB_304000_NS8EqualityEEESF_JS6_EEE10hipError_tPvRmT3_T4_T5_T6_T7_T9_mT8_P12ihipStream_tbDpT10_ENKUlT_T0_E_clISt17integral_constantIbLb1EES16_EEDaS11_S12_EUlS11_E_NS1_11comp_targetILNS1_3genE2ELNS1_11target_archE906ELNS1_3gpuE6ELNS1_3repE0EEENS1_30default_config_static_selectorELNS0_4arch9wavefront6targetE0EEEvT1_.num_agpr, 0
	.set _ZN7rocprim17ROCPRIM_400000_NS6detail17trampoline_kernelINS0_14default_configENS1_25partition_config_selectorILNS1_17partition_subalgoE8ElNS0_10empty_typeEbEEZZNS1_14partition_implILS5_8ELb0ES3_jPKlPS6_PKS6_NS0_5tupleIJPlS6_EEENSE_IJSB_SB_EEENS0_18inequality_wrapperIN6hipcub16HIPCUB_304000_NS8EqualityEEESF_JS6_EEE10hipError_tPvRmT3_T4_T5_T6_T7_T9_mT8_P12ihipStream_tbDpT10_ENKUlT_T0_E_clISt17integral_constantIbLb1EES16_EEDaS11_S12_EUlS11_E_NS1_11comp_targetILNS1_3genE2ELNS1_11target_archE906ELNS1_3gpuE6ELNS1_3repE0EEENS1_30default_config_static_selectorELNS0_4arch9wavefront6targetE0EEEvT1_.numbered_sgpr, 0
	.set _ZN7rocprim17ROCPRIM_400000_NS6detail17trampoline_kernelINS0_14default_configENS1_25partition_config_selectorILNS1_17partition_subalgoE8ElNS0_10empty_typeEbEEZZNS1_14partition_implILS5_8ELb0ES3_jPKlPS6_PKS6_NS0_5tupleIJPlS6_EEENSE_IJSB_SB_EEENS0_18inequality_wrapperIN6hipcub16HIPCUB_304000_NS8EqualityEEESF_JS6_EEE10hipError_tPvRmT3_T4_T5_T6_T7_T9_mT8_P12ihipStream_tbDpT10_ENKUlT_T0_E_clISt17integral_constantIbLb1EES16_EEDaS11_S12_EUlS11_E_NS1_11comp_targetILNS1_3genE2ELNS1_11target_archE906ELNS1_3gpuE6ELNS1_3repE0EEENS1_30default_config_static_selectorELNS0_4arch9wavefront6targetE0EEEvT1_.num_named_barrier, 0
	.set _ZN7rocprim17ROCPRIM_400000_NS6detail17trampoline_kernelINS0_14default_configENS1_25partition_config_selectorILNS1_17partition_subalgoE8ElNS0_10empty_typeEbEEZZNS1_14partition_implILS5_8ELb0ES3_jPKlPS6_PKS6_NS0_5tupleIJPlS6_EEENSE_IJSB_SB_EEENS0_18inequality_wrapperIN6hipcub16HIPCUB_304000_NS8EqualityEEESF_JS6_EEE10hipError_tPvRmT3_T4_T5_T6_T7_T9_mT8_P12ihipStream_tbDpT10_ENKUlT_T0_E_clISt17integral_constantIbLb1EES16_EEDaS11_S12_EUlS11_E_NS1_11comp_targetILNS1_3genE2ELNS1_11target_archE906ELNS1_3gpuE6ELNS1_3repE0EEENS1_30default_config_static_selectorELNS0_4arch9wavefront6targetE0EEEvT1_.private_seg_size, 0
	.set _ZN7rocprim17ROCPRIM_400000_NS6detail17trampoline_kernelINS0_14default_configENS1_25partition_config_selectorILNS1_17partition_subalgoE8ElNS0_10empty_typeEbEEZZNS1_14partition_implILS5_8ELb0ES3_jPKlPS6_PKS6_NS0_5tupleIJPlS6_EEENSE_IJSB_SB_EEENS0_18inequality_wrapperIN6hipcub16HIPCUB_304000_NS8EqualityEEESF_JS6_EEE10hipError_tPvRmT3_T4_T5_T6_T7_T9_mT8_P12ihipStream_tbDpT10_ENKUlT_T0_E_clISt17integral_constantIbLb1EES16_EEDaS11_S12_EUlS11_E_NS1_11comp_targetILNS1_3genE2ELNS1_11target_archE906ELNS1_3gpuE6ELNS1_3repE0EEENS1_30default_config_static_selectorELNS0_4arch9wavefront6targetE0EEEvT1_.uses_vcc, 0
	.set _ZN7rocprim17ROCPRIM_400000_NS6detail17trampoline_kernelINS0_14default_configENS1_25partition_config_selectorILNS1_17partition_subalgoE8ElNS0_10empty_typeEbEEZZNS1_14partition_implILS5_8ELb0ES3_jPKlPS6_PKS6_NS0_5tupleIJPlS6_EEENSE_IJSB_SB_EEENS0_18inequality_wrapperIN6hipcub16HIPCUB_304000_NS8EqualityEEESF_JS6_EEE10hipError_tPvRmT3_T4_T5_T6_T7_T9_mT8_P12ihipStream_tbDpT10_ENKUlT_T0_E_clISt17integral_constantIbLb1EES16_EEDaS11_S12_EUlS11_E_NS1_11comp_targetILNS1_3genE2ELNS1_11target_archE906ELNS1_3gpuE6ELNS1_3repE0EEENS1_30default_config_static_selectorELNS0_4arch9wavefront6targetE0EEEvT1_.uses_flat_scratch, 0
	.set _ZN7rocprim17ROCPRIM_400000_NS6detail17trampoline_kernelINS0_14default_configENS1_25partition_config_selectorILNS1_17partition_subalgoE8ElNS0_10empty_typeEbEEZZNS1_14partition_implILS5_8ELb0ES3_jPKlPS6_PKS6_NS0_5tupleIJPlS6_EEENSE_IJSB_SB_EEENS0_18inequality_wrapperIN6hipcub16HIPCUB_304000_NS8EqualityEEESF_JS6_EEE10hipError_tPvRmT3_T4_T5_T6_T7_T9_mT8_P12ihipStream_tbDpT10_ENKUlT_T0_E_clISt17integral_constantIbLb1EES16_EEDaS11_S12_EUlS11_E_NS1_11comp_targetILNS1_3genE2ELNS1_11target_archE906ELNS1_3gpuE6ELNS1_3repE0EEENS1_30default_config_static_selectorELNS0_4arch9wavefront6targetE0EEEvT1_.has_dyn_sized_stack, 0
	.set _ZN7rocprim17ROCPRIM_400000_NS6detail17trampoline_kernelINS0_14default_configENS1_25partition_config_selectorILNS1_17partition_subalgoE8ElNS0_10empty_typeEbEEZZNS1_14partition_implILS5_8ELb0ES3_jPKlPS6_PKS6_NS0_5tupleIJPlS6_EEENSE_IJSB_SB_EEENS0_18inequality_wrapperIN6hipcub16HIPCUB_304000_NS8EqualityEEESF_JS6_EEE10hipError_tPvRmT3_T4_T5_T6_T7_T9_mT8_P12ihipStream_tbDpT10_ENKUlT_T0_E_clISt17integral_constantIbLb1EES16_EEDaS11_S12_EUlS11_E_NS1_11comp_targetILNS1_3genE2ELNS1_11target_archE906ELNS1_3gpuE6ELNS1_3repE0EEENS1_30default_config_static_selectorELNS0_4arch9wavefront6targetE0EEEvT1_.has_recursion, 0
	.set _ZN7rocprim17ROCPRIM_400000_NS6detail17trampoline_kernelINS0_14default_configENS1_25partition_config_selectorILNS1_17partition_subalgoE8ElNS0_10empty_typeEbEEZZNS1_14partition_implILS5_8ELb0ES3_jPKlPS6_PKS6_NS0_5tupleIJPlS6_EEENSE_IJSB_SB_EEENS0_18inequality_wrapperIN6hipcub16HIPCUB_304000_NS8EqualityEEESF_JS6_EEE10hipError_tPvRmT3_T4_T5_T6_T7_T9_mT8_P12ihipStream_tbDpT10_ENKUlT_T0_E_clISt17integral_constantIbLb1EES16_EEDaS11_S12_EUlS11_E_NS1_11comp_targetILNS1_3genE2ELNS1_11target_archE906ELNS1_3gpuE6ELNS1_3repE0EEENS1_30default_config_static_selectorELNS0_4arch9wavefront6targetE0EEEvT1_.has_indirect_call, 0
	.section	.AMDGPU.csdata,"",@progbits
; Kernel info:
; codeLenInByte = 0
; TotalNumSgprs: 0
; NumVgprs: 0
; ScratchSize: 0
; MemoryBound: 0
; FloatMode: 240
; IeeeMode: 1
; LDSByteSize: 0 bytes/workgroup (compile time only)
; SGPRBlocks: 0
; VGPRBlocks: 0
; NumSGPRsForWavesPerEU: 1
; NumVGPRsForWavesPerEU: 1
; Occupancy: 16
; WaveLimiterHint : 0
; COMPUTE_PGM_RSRC2:SCRATCH_EN: 0
; COMPUTE_PGM_RSRC2:USER_SGPR: 6
; COMPUTE_PGM_RSRC2:TRAP_HANDLER: 0
; COMPUTE_PGM_RSRC2:TGID_X_EN: 1
; COMPUTE_PGM_RSRC2:TGID_Y_EN: 0
; COMPUTE_PGM_RSRC2:TGID_Z_EN: 0
; COMPUTE_PGM_RSRC2:TIDIG_COMP_CNT: 0
	.section	.text._ZN7rocprim17ROCPRIM_400000_NS6detail17trampoline_kernelINS0_14default_configENS1_25partition_config_selectorILNS1_17partition_subalgoE8ElNS0_10empty_typeEbEEZZNS1_14partition_implILS5_8ELb0ES3_jPKlPS6_PKS6_NS0_5tupleIJPlS6_EEENSE_IJSB_SB_EEENS0_18inequality_wrapperIN6hipcub16HIPCUB_304000_NS8EqualityEEESF_JS6_EEE10hipError_tPvRmT3_T4_T5_T6_T7_T9_mT8_P12ihipStream_tbDpT10_ENKUlT_T0_E_clISt17integral_constantIbLb1EES16_EEDaS11_S12_EUlS11_E_NS1_11comp_targetILNS1_3genE10ELNS1_11target_archE1200ELNS1_3gpuE4ELNS1_3repE0EEENS1_30default_config_static_selectorELNS0_4arch9wavefront6targetE0EEEvT1_,"axG",@progbits,_ZN7rocprim17ROCPRIM_400000_NS6detail17trampoline_kernelINS0_14default_configENS1_25partition_config_selectorILNS1_17partition_subalgoE8ElNS0_10empty_typeEbEEZZNS1_14partition_implILS5_8ELb0ES3_jPKlPS6_PKS6_NS0_5tupleIJPlS6_EEENSE_IJSB_SB_EEENS0_18inequality_wrapperIN6hipcub16HIPCUB_304000_NS8EqualityEEESF_JS6_EEE10hipError_tPvRmT3_T4_T5_T6_T7_T9_mT8_P12ihipStream_tbDpT10_ENKUlT_T0_E_clISt17integral_constantIbLb1EES16_EEDaS11_S12_EUlS11_E_NS1_11comp_targetILNS1_3genE10ELNS1_11target_archE1200ELNS1_3gpuE4ELNS1_3repE0EEENS1_30default_config_static_selectorELNS0_4arch9wavefront6targetE0EEEvT1_,comdat
	.protected	_ZN7rocprim17ROCPRIM_400000_NS6detail17trampoline_kernelINS0_14default_configENS1_25partition_config_selectorILNS1_17partition_subalgoE8ElNS0_10empty_typeEbEEZZNS1_14partition_implILS5_8ELb0ES3_jPKlPS6_PKS6_NS0_5tupleIJPlS6_EEENSE_IJSB_SB_EEENS0_18inequality_wrapperIN6hipcub16HIPCUB_304000_NS8EqualityEEESF_JS6_EEE10hipError_tPvRmT3_T4_T5_T6_T7_T9_mT8_P12ihipStream_tbDpT10_ENKUlT_T0_E_clISt17integral_constantIbLb1EES16_EEDaS11_S12_EUlS11_E_NS1_11comp_targetILNS1_3genE10ELNS1_11target_archE1200ELNS1_3gpuE4ELNS1_3repE0EEENS1_30default_config_static_selectorELNS0_4arch9wavefront6targetE0EEEvT1_ ; -- Begin function _ZN7rocprim17ROCPRIM_400000_NS6detail17trampoline_kernelINS0_14default_configENS1_25partition_config_selectorILNS1_17partition_subalgoE8ElNS0_10empty_typeEbEEZZNS1_14partition_implILS5_8ELb0ES3_jPKlPS6_PKS6_NS0_5tupleIJPlS6_EEENSE_IJSB_SB_EEENS0_18inequality_wrapperIN6hipcub16HIPCUB_304000_NS8EqualityEEESF_JS6_EEE10hipError_tPvRmT3_T4_T5_T6_T7_T9_mT8_P12ihipStream_tbDpT10_ENKUlT_T0_E_clISt17integral_constantIbLb1EES16_EEDaS11_S12_EUlS11_E_NS1_11comp_targetILNS1_3genE10ELNS1_11target_archE1200ELNS1_3gpuE4ELNS1_3repE0EEENS1_30default_config_static_selectorELNS0_4arch9wavefront6targetE0EEEvT1_
	.globl	_ZN7rocprim17ROCPRIM_400000_NS6detail17trampoline_kernelINS0_14default_configENS1_25partition_config_selectorILNS1_17partition_subalgoE8ElNS0_10empty_typeEbEEZZNS1_14partition_implILS5_8ELb0ES3_jPKlPS6_PKS6_NS0_5tupleIJPlS6_EEENSE_IJSB_SB_EEENS0_18inequality_wrapperIN6hipcub16HIPCUB_304000_NS8EqualityEEESF_JS6_EEE10hipError_tPvRmT3_T4_T5_T6_T7_T9_mT8_P12ihipStream_tbDpT10_ENKUlT_T0_E_clISt17integral_constantIbLb1EES16_EEDaS11_S12_EUlS11_E_NS1_11comp_targetILNS1_3genE10ELNS1_11target_archE1200ELNS1_3gpuE4ELNS1_3repE0EEENS1_30default_config_static_selectorELNS0_4arch9wavefront6targetE0EEEvT1_
	.p2align	8
	.type	_ZN7rocprim17ROCPRIM_400000_NS6detail17trampoline_kernelINS0_14default_configENS1_25partition_config_selectorILNS1_17partition_subalgoE8ElNS0_10empty_typeEbEEZZNS1_14partition_implILS5_8ELb0ES3_jPKlPS6_PKS6_NS0_5tupleIJPlS6_EEENSE_IJSB_SB_EEENS0_18inequality_wrapperIN6hipcub16HIPCUB_304000_NS8EqualityEEESF_JS6_EEE10hipError_tPvRmT3_T4_T5_T6_T7_T9_mT8_P12ihipStream_tbDpT10_ENKUlT_T0_E_clISt17integral_constantIbLb1EES16_EEDaS11_S12_EUlS11_E_NS1_11comp_targetILNS1_3genE10ELNS1_11target_archE1200ELNS1_3gpuE4ELNS1_3repE0EEENS1_30default_config_static_selectorELNS0_4arch9wavefront6targetE0EEEvT1_,@function
_ZN7rocprim17ROCPRIM_400000_NS6detail17trampoline_kernelINS0_14default_configENS1_25partition_config_selectorILNS1_17partition_subalgoE8ElNS0_10empty_typeEbEEZZNS1_14partition_implILS5_8ELb0ES3_jPKlPS6_PKS6_NS0_5tupleIJPlS6_EEENSE_IJSB_SB_EEENS0_18inequality_wrapperIN6hipcub16HIPCUB_304000_NS8EqualityEEESF_JS6_EEE10hipError_tPvRmT3_T4_T5_T6_T7_T9_mT8_P12ihipStream_tbDpT10_ENKUlT_T0_E_clISt17integral_constantIbLb1EES16_EEDaS11_S12_EUlS11_E_NS1_11comp_targetILNS1_3genE10ELNS1_11target_archE1200ELNS1_3gpuE4ELNS1_3repE0EEENS1_30default_config_static_selectorELNS0_4arch9wavefront6targetE0EEEvT1_: ; @_ZN7rocprim17ROCPRIM_400000_NS6detail17trampoline_kernelINS0_14default_configENS1_25partition_config_selectorILNS1_17partition_subalgoE8ElNS0_10empty_typeEbEEZZNS1_14partition_implILS5_8ELb0ES3_jPKlPS6_PKS6_NS0_5tupleIJPlS6_EEENSE_IJSB_SB_EEENS0_18inequality_wrapperIN6hipcub16HIPCUB_304000_NS8EqualityEEESF_JS6_EEE10hipError_tPvRmT3_T4_T5_T6_T7_T9_mT8_P12ihipStream_tbDpT10_ENKUlT_T0_E_clISt17integral_constantIbLb1EES16_EEDaS11_S12_EUlS11_E_NS1_11comp_targetILNS1_3genE10ELNS1_11target_archE1200ELNS1_3gpuE4ELNS1_3repE0EEENS1_30default_config_static_selectorELNS0_4arch9wavefront6targetE0EEEvT1_
; %bb.0:
	.section	.rodata,"a",@progbits
	.p2align	6, 0x0
	.amdhsa_kernel _ZN7rocprim17ROCPRIM_400000_NS6detail17trampoline_kernelINS0_14default_configENS1_25partition_config_selectorILNS1_17partition_subalgoE8ElNS0_10empty_typeEbEEZZNS1_14partition_implILS5_8ELb0ES3_jPKlPS6_PKS6_NS0_5tupleIJPlS6_EEENSE_IJSB_SB_EEENS0_18inequality_wrapperIN6hipcub16HIPCUB_304000_NS8EqualityEEESF_JS6_EEE10hipError_tPvRmT3_T4_T5_T6_T7_T9_mT8_P12ihipStream_tbDpT10_ENKUlT_T0_E_clISt17integral_constantIbLb1EES16_EEDaS11_S12_EUlS11_E_NS1_11comp_targetILNS1_3genE10ELNS1_11target_archE1200ELNS1_3gpuE4ELNS1_3repE0EEENS1_30default_config_static_selectorELNS0_4arch9wavefront6targetE0EEEvT1_
		.amdhsa_group_segment_fixed_size 0
		.amdhsa_private_segment_fixed_size 0
		.amdhsa_kernarg_size 128
		.amdhsa_user_sgpr_count 6
		.amdhsa_user_sgpr_private_segment_buffer 1
		.amdhsa_user_sgpr_dispatch_ptr 0
		.amdhsa_user_sgpr_queue_ptr 0
		.amdhsa_user_sgpr_kernarg_segment_ptr 1
		.amdhsa_user_sgpr_dispatch_id 0
		.amdhsa_user_sgpr_flat_scratch_init 0
		.amdhsa_user_sgpr_private_segment_size 0
		.amdhsa_wavefront_size32 1
		.amdhsa_uses_dynamic_stack 0
		.amdhsa_system_sgpr_private_segment_wavefront_offset 0
		.amdhsa_system_sgpr_workgroup_id_x 1
		.amdhsa_system_sgpr_workgroup_id_y 0
		.amdhsa_system_sgpr_workgroup_id_z 0
		.amdhsa_system_sgpr_workgroup_info 0
		.amdhsa_system_vgpr_workitem_id 0
		.amdhsa_next_free_vgpr 1
		.amdhsa_next_free_sgpr 1
		.amdhsa_reserve_vcc 0
		.amdhsa_reserve_flat_scratch 0
		.amdhsa_float_round_mode_32 0
		.amdhsa_float_round_mode_16_64 0
		.amdhsa_float_denorm_mode_32 3
		.amdhsa_float_denorm_mode_16_64 3
		.amdhsa_dx10_clamp 1
		.amdhsa_ieee_mode 1
		.amdhsa_fp16_overflow 0
		.amdhsa_workgroup_processor_mode 1
		.amdhsa_memory_ordered 1
		.amdhsa_forward_progress 1
		.amdhsa_shared_vgpr_count 0
		.amdhsa_exception_fp_ieee_invalid_op 0
		.amdhsa_exception_fp_denorm_src 0
		.amdhsa_exception_fp_ieee_div_zero 0
		.amdhsa_exception_fp_ieee_overflow 0
		.amdhsa_exception_fp_ieee_underflow 0
		.amdhsa_exception_fp_ieee_inexact 0
		.amdhsa_exception_int_div_zero 0
	.end_amdhsa_kernel
	.section	.text._ZN7rocprim17ROCPRIM_400000_NS6detail17trampoline_kernelINS0_14default_configENS1_25partition_config_selectorILNS1_17partition_subalgoE8ElNS0_10empty_typeEbEEZZNS1_14partition_implILS5_8ELb0ES3_jPKlPS6_PKS6_NS0_5tupleIJPlS6_EEENSE_IJSB_SB_EEENS0_18inequality_wrapperIN6hipcub16HIPCUB_304000_NS8EqualityEEESF_JS6_EEE10hipError_tPvRmT3_T4_T5_T6_T7_T9_mT8_P12ihipStream_tbDpT10_ENKUlT_T0_E_clISt17integral_constantIbLb1EES16_EEDaS11_S12_EUlS11_E_NS1_11comp_targetILNS1_3genE10ELNS1_11target_archE1200ELNS1_3gpuE4ELNS1_3repE0EEENS1_30default_config_static_selectorELNS0_4arch9wavefront6targetE0EEEvT1_,"axG",@progbits,_ZN7rocprim17ROCPRIM_400000_NS6detail17trampoline_kernelINS0_14default_configENS1_25partition_config_selectorILNS1_17partition_subalgoE8ElNS0_10empty_typeEbEEZZNS1_14partition_implILS5_8ELb0ES3_jPKlPS6_PKS6_NS0_5tupleIJPlS6_EEENSE_IJSB_SB_EEENS0_18inequality_wrapperIN6hipcub16HIPCUB_304000_NS8EqualityEEESF_JS6_EEE10hipError_tPvRmT3_T4_T5_T6_T7_T9_mT8_P12ihipStream_tbDpT10_ENKUlT_T0_E_clISt17integral_constantIbLb1EES16_EEDaS11_S12_EUlS11_E_NS1_11comp_targetILNS1_3genE10ELNS1_11target_archE1200ELNS1_3gpuE4ELNS1_3repE0EEENS1_30default_config_static_selectorELNS0_4arch9wavefront6targetE0EEEvT1_,comdat
.Lfunc_end239:
	.size	_ZN7rocprim17ROCPRIM_400000_NS6detail17trampoline_kernelINS0_14default_configENS1_25partition_config_selectorILNS1_17partition_subalgoE8ElNS0_10empty_typeEbEEZZNS1_14partition_implILS5_8ELb0ES3_jPKlPS6_PKS6_NS0_5tupleIJPlS6_EEENSE_IJSB_SB_EEENS0_18inequality_wrapperIN6hipcub16HIPCUB_304000_NS8EqualityEEESF_JS6_EEE10hipError_tPvRmT3_T4_T5_T6_T7_T9_mT8_P12ihipStream_tbDpT10_ENKUlT_T0_E_clISt17integral_constantIbLb1EES16_EEDaS11_S12_EUlS11_E_NS1_11comp_targetILNS1_3genE10ELNS1_11target_archE1200ELNS1_3gpuE4ELNS1_3repE0EEENS1_30default_config_static_selectorELNS0_4arch9wavefront6targetE0EEEvT1_, .Lfunc_end239-_ZN7rocprim17ROCPRIM_400000_NS6detail17trampoline_kernelINS0_14default_configENS1_25partition_config_selectorILNS1_17partition_subalgoE8ElNS0_10empty_typeEbEEZZNS1_14partition_implILS5_8ELb0ES3_jPKlPS6_PKS6_NS0_5tupleIJPlS6_EEENSE_IJSB_SB_EEENS0_18inequality_wrapperIN6hipcub16HIPCUB_304000_NS8EqualityEEESF_JS6_EEE10hipError_tPvRmT3_T4_T5_T6_T7_T9_mT8_P12ihipStream_tbDpT10_ENKUlT_T0_E_clISt17integral_constantIbLb1EES16_EEDaS11_S12_EUlS11_E_NS1_11comp_targetILNS1_3genE10ELNS1_11target_archE1200ELNS1_3gpuE4ELNS1_3repE0EEENS1_30default_config_static_selectorELNS0_4arch9wavefront6targetE0EEEvT1_
                                        ; -- End function
	.set _ZN7rocprim17ROCPRIM_400000_NS6detail17trampoline_kernelINS0_14default_configENS1_25partition_config_selectorILNS1_17partition_subalgoE8ElNS0_10empty_typeEbEEZZNS1_14partition_implILS5_8ELb0ES3_jPKlPS6_PKS6_NS0_5tupleIJPlS6_EEENSE_IJSB_SB_EEENS0_18inequality_wrapperIN6hipcub16HIPCUB_304000_NS8EqualityEEESF_JS6_EEE10hipError_tPvRmT3_T4_T5_T6_T7_T9_mT8_P12ihipStream_tbDpT10_ENKUlT_T0_E_clISt17integral_constantIbLb1EES16_EEDaS11_S12_EUlS11_E_NS1_11comp_targetILNS1_3genE10ELNS1_11target_archE1200ELNS1_3gpuE4ELNS1_3repE0EEENS1_30default_config_static_selectorELNS0_4arch9wavefront6targetE0EEEvT1_.num_vgpr, 0
	.set _ZN7rocprim17ROCPRIM_400000_NS6detail17trampoline_kernelINS0_14default_configENS1_25partition_config_selectorILNS1_17partition_subalgoE8ElNS0_10empty_typeEbEEZZNS1_14partition_implILS5_8ELb0ES3_jPKlPS6_PKS6_NS0_5tupleIJPlS6_EEENSE_IJSB_SB_EEENS0_18inequality_wrapperIN6hipcub16HIPCUB_304000_NS8EqualityEEESF_JS6_EEE10hipError_tPvRmT3_T4_T5_T6_T7_T9_mT8_P12ihipStream_tbDpT10_ENKUlT_T0_E_clISt17integral_constantIbLb1EES16_EEDaS11_S12_EUlS11_E_NS1_11comp_targetILNS1_3genE10ELNS1_11target_archE1200ELNS1_3gpuE4ELNS1_3repE0EEENS1_30default_config_static_selectorELNS0_4arch9wavefront6targetE0EEEvT1_.num_agpr, 0
	.set _ZN7rocprim17ROCPRIM_400000_NS6detail17trampoline_kernelINS0_14default_configENS1_25partition_config_selectorILNS1_17partition_subalgoE8ElNS0_10empty_typeEbEEZZNS1_14partition_implILS5_8ELb0ES3_jPKlPS6_PKS6_NS0_5tupleIJPlS6_EEENSE_IJSB_SB_EEENS0_18inequality_wrapperIN6hipcub16HIPCUB_304000_NS8EqualityEEESF_JS6_EEE10hipError_tPvRmT3_T4_T5_T6_T7_T9_mT8_P12ihipStream_tbDpT10_ENKUlT_T0_E_clISt17integral_constantIbLb1EES16_EEDaS11_S12_EUlS11_E_NS1_11comp_targetILNS1_3genE10ELNS1_11target_archE1200ELNS1_3gpuE4ELNS1_3repE0EEENS1_30default_config_static_selectorELNS0_4arch9wavefront6targetE0EEEvT1_.numbered_sgpr, 0
	.set _ZN7rocprim17ROCPRIM_400000_NS6detail17trampoline_kernelINS0_14default_configENS1_25partition_config_selectorILNS1_17partition_subalgoE8ElNS0_10empty_typeEbEEZZNS1_14partition_implILS5_8ELb0ES3_jPKlPS6_PKS6_NS0_5tupleIJPlS6_EEENSE_IJSB_SB_EEENS0_18inequality_wrapperIN6hipcub16HIPCUB_304000_NS8EqualityEEESF_JS6_EEE10hipError_tPvRmT3_T4_T5_T6_T7_T9_mT8_P12ihipStream_tbDpT10_ENKUlT_T0_E_clISt17integral_constantIbLb1EES16_EEDaS11_S12_EUlS11_E_NS1_11comp_targetILNS1_3genE10ELNS1_11target_archE1200ELNS1_3gpuE4ELNS1_3repE0EEENS1_30default_config_static_selectorELNS0_4arch9wavefront6targetE0EEEvT1_.num_named_barrier, 0
	.set _ZN7rocprim17ROCPRIM_400000_NS6detail17trampoline_kernelINS0_14default_configENS1_25partition_config_selectorILNS1_17partition_subalgoE8ElNS0_10empty_typeEbEEZZNS1_14partition_implILS5_8ELb0ES3_jPKlPS6_PKS6_NS0_5tupleIJPlS6_EEENSE_IJSB_SB_EEENS0_18inequality_wrapperIN6hipcub16HIPCUB_304000_NS8EqualityEEESF_JS6_EEE10hipError_tPvRmT3_T4_T5_T6_T7_T9_mT8_P12ihipStream_tbDpT10_ENKUlT_T0_E_clISt17integral_constantIbLb1EES16_EEDaS11_S12_EUlS11_E_NS1_11comp_targetILNS1_3genE10ELNS1_11target_archE1200ELNS1_3gpuE4ELNS1_3repE0EEENS1_30default_config_static_selectorELNS0_4arch9wavefront6targetE0EEEvT1_.private_seg_size, 0
	.set _ZN7rocprim17ROCPRIM_400000_NS6detail17trampoline_kernelINS0_14default_configENS1_25partition_config_selectorILNS1_17partition_subalgoE8ElNS0_10empty_typeEbEEZZNS1_14partition_implILS5_8ELb0ES3_jPKlPS6_PKS6_NS0_5tupleIJPlS6_EEENSE_IJSB_SB_EEENS0_18inequality_wrapperIN6hipcub16HIPCUB_304000_NS8EqualityEEESF_JS6_EEE10hipError_tPvRmT3_T4_T5_T6_T7_T9_mT8_P12ihipStream_tbDpT10_ENKUlT_T0_E_clISt17integral_constantIbLb1EES16_EEDaS11_S12_EUlS11_E_NS1_11comp_targetILNS1_3genE10ELNS1_11target_archE1200ELNS1_3gpuE4ELNS1_3repE0EEENS1_30default_config_static_selectorELNS0_4arch9wavefront6targetE0EEEvT1_.uses_vcc, 0
	.set _ZN7rocprim17ROCPRIM_400000_NS6detail17trampoline_kernelINS0_14default_configENS1_25partition_config_selectorILNS1_17partition_subalgoE8ElNS0_10empty_typeEbEEZZNS1_14partition_implILS5_8ELb0ES3_jPKlPS6_PKS6_NS0_5tupleIJPlS6_EEENSE_IJSB_SB_EEENS0_18inequality_wrapperIN6hipcub16HIPCUB_304000_NS8EqualityEEESF_JS6_EEE10hipError_tPvRmT3_T4_T5_T6_T7_T9_mT8_P12ihipStream_tbDpT10_ENKUlT_T0_E_clISt17integral_constantIbLb1EES16_EEDaS11_S12_EUlS11_E_NS1_11comp_targetILNS1_3genE10ELNS1_11target_archE1200ELNS1_3gpuE4ELNS1_3repE0EEENS1_30default_config_static_selectorELNS0_4arch9wavefront6targetE0EEEvT1_.uses_flat_scratch, 0
	.set _ZN7rocprim17ROCPRIM_400000_NS6detail17trampoline_kernelINS0_14default_configENS1_25partition_config_selectorILNS1_17partition_subalgoE8ElNS0_10empty_typeEbEEZZNS1_14partition_implILS5_8ELb0ES3_jPKlPS6_PKS6_NS0_5tupleIJPlS6_EEENSE_IJSB_SB_EEENS0_18inequality_wrapperIN6hipcub16HIPCUB_304000_NS8EqualityEEESF_JS6_EEE10hipError_tPvRmT3_T4_T5_T6_T7_T9_mT8_P12ihipStream_tbDpT10_ENKUlT_T0_E_clISt17integral_constantIbLb1EES16_EEDaS11_S12_EUlS11_E_NS1_11comp_targetILNS1_3genE10ELNS1_11target_archE1200ELNS1_3gpuE4ELNS1_3repE0EEENS1_30default_config_static_selectorELNS0_4arch9wavefront6targetE0EEEvT1_.has_dyn_sized_stack, 0
	.set _ZN7rocprim17ROCPRIM_400000_NS6detail17trampoline_kernelINS0_14default_configENS1_25partition_config_selectorILNS1_17partition_subalgoE8ElNS0_10empty_typeEbEEZZNS1_14partition_implILS5_8ELb0ES3_jPKlPS6_PKS6_NS0_5tupleIJPlS6_EEENSE_IJSB_SB_EEENS0_18inequality_wrapperIN6hipcub16HIPCUB_304000_NS8EqualityEEESF_JS6_EEE10hipError_tPvRmT3_T4_T5_T6_T7_T9_mT8_P12ihipStream_tbDpT10_ENKUlT_T0_E_clISt17integral_constantIbLb1EES16_EEDaS11_S12_EUlS11_E_NS1_11comp_targetILNS1_3genE10ELNS1_11target_archE1200ELNS1_3gpuE4ELNS1_3repE0EEENS1_30default_config_static_selectorELNS0_4arch9wavefront6targetE0EEEvT1_.has_recursion, 0
	.set _ZN7rocprim17ROCPRIM_400000_NS6detail17trampoline_kernelINS0_14default_configENS1_25partition_config_selectorILNS1_17partition_subalgoE8ElNS0_10empty_typeEbEEZZNS1_14partition_implILS5_8ELb0ES3_jPKlPS6_PKS6_NS0_5tupleIJPlS6_EEENSE_IJSB_SB_EEENS0_18inequality_wrapperIN6hipcub16HIPCUB_304000_NS8EqualityEEESF_JS6_EEE10hipError_tPvRmT3_T4_T5_T6_T7_T9_mT8_P12ihipStream_tbDpT10_ENKUlT_T0_E_clISt17integral_constantIbLb1EES16_EEDaS11_S12_EUlS11_E_NS1_11comp_targetILNS1_3genE10ELNS1_11target_archE1200ELNS1_3gpuE4ELNS1_3repE0EEENS1_30default_config_static_selectorELNS0_4arch9wavefront6targetE0EEEvT1_.has_indirect_call, 0
	.section	.AMDGPU.csdata,"",@progbits
; Kernel info:
; codeLenInByte = 0
; TotalNumSgprs: 0
; NumVgprs: 0
; ScratchSize: 0
; MemoryBound: 0
; FloatMode: 240
; IeeeMode: 1
; LDSByteSize: 0 bytes/workgroup (compile time only)
; SGPRBlocks: 0
; VGPRBlocks: 0
; NumSGPRsForWavesPerEU: 1
; NumVGPRsForWavesPerEU: 1
; Occupancy: 16
; WaveLimiterHint : 0
; COMPUTE_PGM_RSRC2:SCRATCH_EN: 0
; COMPUTE_PGM_RSRC2:USER_SGPR: 6
; COMPUTE_PGM_RSRC2:TRAP_HANDLER: 0
; COMPUTE_PGM_RSRC2:TGID_X_EN: 1
; COMPUTE_PGM_RSRC2:TGID_Y_EN: 0
; COMPUTE_PGM_RSRC2:TGID_Z_EN: 0
; COMPUTE_PGM_RSRC2:TIDIG_COMP_CNT: 0
	.section	.text._ZN7rocprim17ROCPRIM_400000_NS6detail17trampoline_kernelINS0_14default_configENS1_25partition_config_selectorILNS1_17partition_subalgoE8ElNS0_10empty_typeEbEEZZNS1_14partition_implILS5_8ELb0ES3_jPKlPS6_PKS6_NS0_5tupleIJPlS6_EEENSE_IJSB_SB_EEENS0_18inequality_wrapperIN6hipcub16HIPCUB_304000_NS8EqualityEEESF_JS6_EEE10hipError_tPvRmT3_T4_T5_T6_T7_T9_mT8_P12ihipStream_tbDpT10_ENKUlT_T0_E_clISt17integral_constantIbLb1EES16_EEDaS11_S12_EUlS11_E_NS1_11comp_targetILNS1_3genE9ELNS1_11target_archE1100ELNS1_3gpuE3ELNS1_3repE0EEENS1_30default_config_static_selectorELNS0_4arch9wavefront6targetE0EEEvT1_,"axG",@progbits,_ZN7rocprim17ROCPRIM_400000_NS6detail17trampoline_kernelINS0_14default_configENS1_25partition_config_selectorILNS1_17partition_subalgoE8ElNS0_10empty_typeEbEEZZNS1_14partition_implILS5_8ELb0ES3_jPKlPS6_PKS6_NS0_5tupleIJPlS6_EEENSE_IJSB_SB_EEENS0_18inequality_wrapperIN6hipcub16HIPCUB_304000_NS8EqualityEEESF_JS6_EEE10hipError_tPvRmT3_T4_T5_T6_T7_T9_mT8_P12ihipStream_tbDpT10_ENKUlT_T0_E_clISt17integral_constantIbLb1EES16_EEDaS11_S12_EUlS11_E_NS1_11comp_targetILNS1_3genE9ELNS1_11target_archE1100ELNS1_3gpuE3ELNS1_3repE0EEENS1_30default_config_static_selectorELNS0_4arch9wavefront6targetE0EEEvT1_,comdat
	.protected	_ZN7rocprim17ROCPRIM_400000_NS6detail17trampoline_kernelINS0_14default_configENS1_25partition_config_selectorILNS1_17partition_subalgoE8ElNS0_10empty_typeEbEEZZNS1_14partition_implILS5_8ELb0ES3_jPKlPS6_PKS6_NS0_5tupleIJPlS6_EEENSE_IJSB_SB_EEENS0_18inequality_wrapperIN6hipcub16HIPCUB_304000_NS8EqualityEEESF_JS6_EEE10hipError_tPvRmT3_T4_T5_T6_T7_T9_mT8_P12ihipStream_tbDpT10_ENKUlT_T0_E_clISt17integral_constantIbLb1EES16_EEDaS11_S12_EUlS11_E_NS1_11comp_targetILNS1_3genE9ELNS1_11target_archE1100ELNS1_3gpuE3ELNS1_3repE0EEENS1_30default_config_static_selectorELNS0_4arch9wavefront6targetE0EEEvT1_ ; -- Begin function _ZN7rocprim17ROCPRIM_400000_NS6detail17trampoline_kernelINS0_14default_configENS1_25partition_config_selectorILNS1_17partition_subalgoE8ElNS0_10empty_typeEbEEZZNS1_14partition_implILS5_8ELb0ES3_jPKlPS6_PKS6_NS0_5tupleIJPlS6_EEENSE_IJSB_SB_EEENS0_18inequality_wrapperIN6hipcub16HIPCUB_304000_NS8EqualityEEESF_JS6_EEE10hipError_tPvRmT3_T4_T5_T6_T7_T9_mT8_P12ihipStream_tbDpT10_ENKUlT_T0_E_clISt17integral_constantIbLb1EES16_EEDaS11_S12_EUlS11_E_NS1_11comp_targetILNS1_3genE9ELNS1_11target_archE1100ELNS1_3gpuE3ELNS1_3repE0EEENS1_30default_config_static_selectorELNS0_4arch9wavefront6targetE0EEEvT1_
	.globl	_ZN7rocprim17ROCPRIM_400000_NS6detail17trampoline_kernelINS0_14default_configENS1_25partition_config_selectorILNS1_17partition_subalgoE8ElNS0_10empty_typeEbEEZZNS1_14partition_implILS5_8ELb0ES3_jPKlPS6_PKS6_NS0_5tupleIJPlS6_EEENSE_IJSB_SB_EEENS0_18inequality_wrapperIN6hipcub16HIPCUB_304000_NS8EqualityEEESF_JS6_EEE10hipError_tPvRmT3_T4_T5_T6_T7_T9_mT8_P12ihipStream_tbDpT10_ENKUlT_T0_E_clISt17integral_constantIbLb1EES16_EEDaS11_S12_EUlS11_E_NS1_11comp_targetILNS1_3genE9ELNS1_11target_archE1100ELNS1_3gpuE3ELNS1_3repE0EEENS1_30default_config_static_selectorELNS0_4arch9wavefront6targetE0EEEvT1_
	.p2align	8
	.type	_ZN7rocprim17ROCPRIM_400000_NS6detail17trampoline_kernelINS0_14default_configENS1_25partition_config_selectorILNS1_17partition_subalgoE8ElNS0_10empty_typeEbEEZZNS1_14partition_implILS5_8ELb0ES3_jPKlPS6_PKS6_NS0_5tupleIJPlS6_EEENSE_IJSB_SB_EEENS0_18inequality_wrapperIN6hipcub16HIPCUB_304000_NS8EqualityEEESF_JS6_EEE10hipError_tPvRmT3_T4_T5_T6_T7_T9_mT8_P12ihipStream_tbDpT10_ENKUlT_T0_E_clISt17integral_constantIbLb1EES16_EEDaS11_S12_EUlS11_E_NS1_11comp_targetILNS1_3genE9ELNS1_11target_archE1100ELNS1_3gpuE3ELNS1_3repE0EEENS1_30default_config_static_selectorELNS0_4arch9wavefront6targetE0EEEvT1_,@function
_ZN7rocprim17ROCPRIM_400000_NS6detail17trampoline_kernelINS0_14default_configENS1_25partition_config_selectorILNS1_17partition_subalgoE8ElNS0_10empty_typeEbEEZZNS1_14partition_implILS5_8ELb0ES3_jPKlPS6_PKS6_NS0_5tupleIJPlS6_EEENSE_IJSB_SB_EEENS0_18inequality_wrapperIN6hipcub16HIPCUB_304000_NS8EqualityEEESF_JS6_EEE10hipError_tPvRmT3_T4_T5_T6_T7_T9_mT8_P12ihipStream_tbDpT10_ENKUlT_T0_E_clISt17integral_constantIbLb1EES16_EEDaS11_S12_EUlS11_E_NS1_11comp_targetILNS1_3genE9ELNS1_11target_archE1100ELNS1_3gpuE3ELNS1_3repE0EEENS1_30default_config_static_selectorELNS0_4arch9wavefront6targetE0EEEvT1_: ; @_ZN7rocprim17ROCPRIM_400000_NS6detail17trampoline_kernelINS0_14default_configENS1_25partition_config_selectorILNS1_17partition_subalgoE8ElNS0_10empty_typeEbEEZZNS1_14partition_implILS5_8ELb0ES3_jPKlPS6_PKS6_NS0_5tupleIJPlS6_EEENSE_IJSB_SB_EEENS0_18inequality_wrapperIN6hipcub16HIPCUB_304000_NS8EqualityEEESF_JS6_EEE10hipError_tPvRmT3_T4_T5_T6_T7_T9_mT8_P12ihipStream_tbDpT10_ENKUlT_T0_E_clISt17integral_constantIbLb1EES16_EEDaS11_S12_EUlS11_E_NS1_11comp_targetILNS1_3genE9ELNS1_11target_archE1100ELNS1_3gpuE3ELNS1_3repE0EEENS1_30default_config_static_selectorELNS0_4arch9wavefront6targetE0EEEvT1_
; %bb.0:
	.section	.rodata,"a",@progbits
	.p2align	6, 0x0
	.amdhsa_kernel _ZN7rocprim17ROCPRIM_400000_NS6detail17trampoline_kernelINS0_14default_configENS1_25partition_config_selectorILNS1_17partition_subalgoE8ElNS0_10empty_typeEbEEZZNS1_14partition_implILS5_8ELb0ES3_jPKlPS6_PKS6_NS0_5tupleIJPlS6_EEENSE_IJSB_SB_EEENS0_18inequality_wrapperIN6hipcub16HIPCUB_304000_NS8EqualityEEESF_JS6_EEE10hipError_tPvRmT3_T4_T5_T6_T7_T9_mT8_P12ihipStream_tbDpT10_ENKUlT_T0_E_clISt17integral_constantIbLb1EES16_EEDaS11_S12_EUlS11_E_NS1_11comp_targetILNS1_3genE9ELNS1_11target_archE1100ELNS1_3gpuE3ELNS1_3repE0EEENS1_30default_config_static_selectorELNS0_4arch9wavefront6targetE0EEEvT1_
		.amdhsa_group_segment_fixed_size 0
		.amdhsa_private_segment_fixed_size 0
		.amdhsa_kernarg_size 128
		.amdhsa_user_sgpr_count 6
		.amdhsa_user_sgpr_private_segment_buffer 1
		.amdhsa_user_sgpr_dispatch_ptr 0
		.amdhsa_user_sgpr_queue_ptr 0
		.amdhsa_user_sgpr_kernarg_segment_ptr 1
		.amdhsa_user_sgpr_dispatch_id 0
		.amdhsa_user_sgpr_flat_scratch_init 0
		.amdhsa_user_sgpr_private_segment_size 0
		.amdhsa_wavefront_size32 1
		.amdhsa_uses_dynamic_stack 0
		.amdhsa_system_sgpr_private_segment_wavefront_offset 0
		.amdhsa_system_sgpr_workgroup_id_x 1
		.amdhsa_system_sgpr_workgroup_id_y 0
		.amdhsa_system_sgpr_workgroup_id_z 0
		.amdhsa_system_sgpr_workgroup_info 0
		.amdhsa_system_vgpr_workitem_id 0
		.amdhsa_next_free_vgpr 1
		.amdhsa_next_free_sgpr 1
		.amdhsa_reserve_vcc 0
		.amdhsa_reserve_flat_scratch 0
		.amdhsa_float_round_mode_32 0
		.amdhsa_float_round_mode_16_64 0
		.amdhsa_float_denorm_mode_32 3
		.amdhsa_float_denorm_mode_16_64 3
		.amdhsa_dx10_clamp 1
		.amdhsa_ieee_mode 1
		.amdhsa_fp16_overflow 0
		.amdhsa_workgroup_processor_mode 1
		.amdhsa_memory_ordered 1
		.amdhsa_forward_progress 1
		.amdhsa_shared_vgpr_count 0
		.amdhsa_exception_fp_ieee_invalid_op 0
		.amdhsa_exception_fp_denorm_src 0
		.amdhsa_exception_fp_ieee_div_zero 0
		.amdhsa_exception_fp_ieee_overflow 0
		.amdhsa_exception_fp_ieee_underflow 0
		.amdhsa_exception_fp_ieee_inexact 0
		.amdhsa_exception_int_div_zero 0
	.end_amdhsa_kernel
	.section	.text._ZN7rocprim17ROCPRIM_400000_NS6detail17trampoline_kernelINS0_14default_configENS1_25partition_config_selectorILNS1_17partition_subalgoE8ElNS0_10empty_typeEbEEZZNS1_14partition_implILS5_8ELb0ES3_jPKlPS6_PKS6_NS0_5tupleIJPlS6_EEENSE_IJSB_SB_EEENS0_18inequality_wrapperIN6hipcub16HIPCUB_304000_NS8EqualityEEESF_JS6_EEE10hipError_tPvRmT3_T4_T5_T6_T7_T9_mT8_P12ihipStream_tbDpT10_ENKUlT_T0_E_clISt17integral_constantIbLb1EES16_EEDaS11_S12_EUlS11_E_NS1_11comp_targetILNS1_3genE9ELNS1_11target_archE1100ELNS1_3gpuE3ELNS1_3repE0EEENS1_30default_config_static_selectorELNS0_4arch9wavefront6targetE0EEEvT1_,"axG",@progbits,_ZN7rocprim17ROCPRIM_400000_NS6detail17trampoline_kernelINS0_14default_configENS1_25partition_config_selectorILNS1_17partition_subalgoE8ElNS0_10empty_typeEbEEZZNS1_14partition_implILS5_8ELb0ES3_jPKlPS6_PKS6_NS0_5tupleIJPlS6_EEENSE_IJSB_SB_EEENS0_18inequality_wrapperIN6hipcub16HIPCUB_304000_NS8EqualityEEESF_JS6_EEE10hipError_tPvRmT3_T4_T5_T6_T7_T9_mT8_P12ihipStream_tbDpT10_ENKUlT_T0_E_clISt17integral_constantIbLb1EES16_EEDaS11_S12_EUlS11_E_NS1_11comp_targetILNS1_3genE9ELNS1_11target_archE1100ELNS1_3gpuE3ELNS1_3repE0EEENS1_30default_config_static_selectorELNS0_4arch9wavefront6targetE0EEEvT1_,comdat
.Lfunc_end240:
	.size	_ZN7rocprim17ROCPRIM_400000_NS6detail17trampoline_kernelINS0_14default_configENS1_25partition_config_selectorILNS1_17partition_subalgoE8ElNS0_10empty_typeEbEEZZNS1_14partition_implILS5_8ELb0ES3_jPKlPS6_PKS6_NS0_5tupleIJPlS6_EEENSE_IJSB_SB_EEENS0_18inequality_wrapperIN6hipcub16HIPCUB_304000_NS8EqualityEEESF_JS6_EEE10hipError_tPvRmT3_T4_T5_T6_T7_T9_mT8_P12ihipStream_tbDpT10_ENKUlT_T0_E_clISt17integral_constantIbLb1EES16_EEDaS11_S12_EUlS11_E_NS1_11comp_targetILNS1_3genE9ELNS1_11target_archE1100ELNS1_3gpuE3ELNS1_3repE0EEENS1_30default_config_static_selectorELNS0_4arch9wavefront6targetE0EEEvT1_, .Lfunc_end240-_ZN7rocprim17ROCPRIM_400000_NS6detail17trampoline_kernelINS0_14default_configENS1_25partition_config_selectorILNS1_17partition_subalgoE8ElNS0_10empty_typeEbEEZZNS1_14partition_implILS5_8ELb0ES3_jPKlPS6_PKS6_NS0_5tupleIJPlS6_EEENSE_IJSB_SB_EEENS0_18inequality_wrapperIN6hipcub16HIPCUB_304000_NS8EqualityEEESF_JS6_EEE10hipError_tPvRmT3_T4_T5_T6_T7_T9_mT8_P12ihipStream_tbDpT10_ENKUlT_T0_E_clISt17integral_constantIbLb1EES16_EEDaS11_S12_EUlS11_E_NS1_11comp_targetILNS1_3genE9ELNS1_11target_archE1100ELNS1_3gpuE3ELNS1_3repE0EEENS1_30default_config_static_selectorELNS0_4arch9wavefront6targetE0EEEvT1_
                                        ; -- End function
	.set _ZN7rocprim17ROCPRIM_400000_NS6detail17trampoline_kernelINS0_14default_configENS1_25partition_config_selectorILNS1_17partition_subalgoE8ElNS0_10empty_typeEbEEZZNS1_14partition_implILS5_8ELb0ES3_jPKlPS6_PKS6_NS0_5tupleIJPlS6_EEENSE_IJSB_SB_EEENS0_18inequality_wrapperIN6hipcub16HIPCUB_304000_NS8EqualityEEESF_JS6_EEE10hipError_tPvRmT3_T4_T5_T6_T7_T9_mT8_P12ihipStream_tbDpT10_ENKUlT_T0_E_clISt17integral_constantIbLb1EES16_EEDaS11_S12_EUlS11_E_NS1_11comp_targetILNS1_3genE9ELNS1_11target_archE1100ELNS1_3gpuE3ELNS1_3repE0EEENS1_30default_config_static_selectorELNS0_4arch9wavefront6targetE0EEEvT1_.num_vgpr, 0
	.set _ZN7rocprim17ROCPRIM_400000_NS6detail17trampoline_kernelINS0_14default_configENS1_25partition_config_selectorILNS1_17partition_subalgoE8ElNS0_10empty_typeEbEEZZNS1_14partition_implILS5_8ELb0ES3_jPKlPS6_PKS6_NS0_5tupleIJPlS6_EEENSE_IJSB_SB_EEENS0_18inequality_wrapperIN6hipcub16HIPCUB_304000_NS8EqualityEEESF_JS6_EEE10hipError_tPvRmT3_T4_T5_T6_T7_T9_mT8_P12ihipStream_tbDpT10_ENKUlT_T0_E_clISt17integral_constantIbLb1EES16_EEDaS11_S12_EUlS11_E_NS1_11comp_targetILNS1_3genE9ELNS1_11target_archE1100ELNS1_3gpuE3ELNS1_3repE0EEENS1_30default_config_static_selectorELNS0_4arch9wavefront6targetE0EEEvT1_.num_agpr, 0
	.set _ZN7rocprim17ROCPRIM_400000_NS6detail17trampoline_kernelINS0_14default_configENS1_25partition_config_selectorILNS1_17partition_subalgoE8ElNS0_10empty_typeEbEEZZNS1_14partition_implILS5_8ELb0ES3_jPKlPS6_PKS6_NS0_5tupleIJPlS6_EEENSE_IJSB_SB_EEENS0_18inequality_wrapperIN6hipcub16HIPCUB_304000_NS8EqualityEEESF_JS6_EEE10hipError_tPvRmT3_T4_T5_T6_T7_T9_mT8_P12ihipStream_tbDpT10_ENKUlT_T0_E_clISt17integral_constantIbLb1EES16_EEDaS11_S12_EUlS11_E_NS1_11comp_targetILNS1_3genE9ELNS1_11target_archE1100ELNS1_3gpuE3ELNS1_3repE0EEENS1_30default_config_static_selectorELNS0_4arch9wavefront6targetE0EEEvT1_.numbered_sgpr, 0
	.set _ZN7rocprim17ROCPRIM_400000_NS6detail17trampoline_kernelINS0_14default_configENS1_25partition_config_selectorILNS1_17partition_subalgoE8ElNS0_10empty_typeEbEEZZNS1_14partition_implILS5_8ELb0ES3_jPKlPS6_PKS6_NS0_5tupleIJPlS6_EEENSE_IJSB_SB_EEENS0_18inequality_wrapperIN6hipcub16HIPCUB_304000_NS8EqualityEEESF_JS6_EEE10hipError_tPvRmT3_T4_T5_T6_T7_T9_mT8_P12ihipStream_tbDpT10_ENKUlT_T0_E_clISt17integral_constantIbLb1EES16_EEDaS11_S12_EUlS11_E_NS1_11comp_targetILNS1_3genE9ELNS1_11target_archE1100ELNS1_3gpuE3ELNS1_3repE0EEENS1_30default_config_static_selectorELNS0_4arch9wavefront6targetE0EEEvT1_.num_named_barrier, 0
	.set _ZN7rocprim17ROCPRIM_400000_NS6detail17trampoline_kernelINS0_14default_configENS1_25partition_config_selectorILNS1_17partition_subalgoE8ElNS0_10empty_typeEbEEZZNS1_14partition_implILS5_8ELb0ES3_jPKlPS6_PKS6_NS0_5tupleIJPlS6_EEENSE_IJSB_SB_EEENS0_18inequality_wrapperIN6hipcub16HIPCUB_304000_NS8EqualityEEESF_JS6_EEE10hipError_tPvRmT3_T4_T5_T6_T7_T9_mT8_P12ihipStream_tbDpT10_ENKUlT_T0_E_clISt17integral_constantIbLb1EES16_EEDaS11_S12_EUlS11_E_NS1_11comp_targetILNS1_3genE9ELNS1_11target_archE1100ELNS1_3gpuE3ELNS1_3repE0EEENS1_30default_config_static_selectorELNS0_4arch9wavefront6targetE0EEEvT1_.private_seg_size, 0
	.set _ZN7rocprim17ROCPRIM_400000_NS6detail17trampoline_kernelINS0_14default_configENS1_25partition_config_selectorILNS1_17partition_subalgoE8ElNS0_10empty_typeEbEEZZNS1_14partition_implILS5_8ELb0ES3_jPKlPS6_PKS6_NS0_5tupleIJPlS6_EEENSE_IJSB_SB_EEENS0_18inequality_wrapperIN6hipcub16HIPCUB_304000_NS8EqualityEEESF_JS6_EEE10hipError_tPvRmT3_T4_T5_T6_T7_T9_mT8_P12ihipStream_tbDpT10_ENKUlT_T0_E_clISt17integral_constantIbLb1EES16_EEDaS11_S12_EUlS11_E_NS1_11comp_targetILNS1_3genE9ELNS1_11target_archE1100ELNS1_3gpuE3ELNS1_3repE0EEENS1_30default_config_static_selectorELNS0_4arch9wavefront6targetE0EEEvT1_.uses_vcc, 0
	.set _ZN7rocprim17ROCPRIM_400000_NS6detail17trampoline_kernelINS0_14default_configENS1_25partition_config_selectorILNS1_17partition_subalgoE8ElNS0_10empty_typeEbEEZZNS1_14partition_implILS5_8ELb0ES3_jPKlPS6_PKS6_NS0_5tupleIJPlS6_EEENSE_IJSB_SB_EEENS0_18inequality_wrapperIN6hipcub16HIPCUB_304000_NS8EqualityEEESF_JS6_EEE10hipError_tPvRmT3_T4_T5_T6_T7_T9_mT8_P12ihipStream_tbDpT10_ENKUlT_T0_E_clISt17integral_constantIbLb1EES16_EEDaS11_S12_EUlS11_E_NS1_11comp_targetILNS1_3genE9ELNS1_11target_archE1100ELNS1_3gpuE3ELNS1_3repE0EEENS1_30default_config_static_selectorELNS0_4arch9wavefront6targetE0EEEvT1_.uses_flat_scratch, 0
	.set _ZN7rocprim17ROCPRIM_400000_NS6detail17trampoline_kernelINS0_14default_configENS1_25partition_config_selectorILNS1_17partition_subalgoE8ElNS0_10empty_typeEbEEZZNS1_14partition_implILS5_8ELb0ES3_jPKlPS6_PKS6_NS0_5tupleIJPlS6_EEENSE_IJSB_SB_EEENS0_18inequality_wrapperIN6hipcub16HIPCUB_304000_NS8EqualityEEESF_JS6_EEE10hipError_tPvRmT3_T4_T5_T6_T7_T9_mT8_P12ihipStream_tbDpT10_ENKUlT_T0_E_clISt17integral_constantIbLb1EES16_EEDaS11_S12_EUlS11_E_NS1_11comp_targetILNS1_3genE9ELNS1_11target_archE1100ELNS1_3gpuE3ELNS1_3repE0EEENS1_30default_config_static_selectorELNS0_4arch9wavefront6targetE0EEEvT1_.has_dyn_sized_stack, 0
	.set _ZN7rocprim17ROCPRIM_400000_NS6detail17trampoline_kernelINS0_14default_configENS1_25partition_config_selectorILNS1_17partition_subalgoE8ElNS0_10empty_typeEbEEZZNS1_14partition_implILS5_8ELb0ES3_jPKlPS6_PKS6_NS0_5tupleIJPlS6_EEENSE_IJSB_SB_EEENS0_18inequality_wrapperIN6hipcub16HIPCUB_304000_NS8EqualityEEESF_JS6_EEE10hipError_tPvRmT3_T4_T5_T6_T7_T9_mT8_P12ihipStream_tbDpT10_ENKUlT_T0_E_clISt17integral_constantIbLb1EES16_EEDaS11_S12_EUlS11_E_NS1_11comp_targetILNS1_3genE9ELNS1_11target_archE1100ELNS1_3gpuE3ELNS1_3repE0EEENS1_30default_config_static_selectorELNS0_4arch9wavefront6targetE0EEEvT1_.has_recursion, 0
	.set _ZN7rocprim17ROCPRIM_400000_NS6detail17trampoline_kernelINS0_14default_configENS1_25partition_config_selectorILNS1_17partition_subalgoE8ElNS0_10empty_typeEbEEZZNS1_14partition_implILS5_8ELb0ES3_jPKlPS6_PKS6_NS0_5tupleIJPlS6_EEENSE_IJSB_SB_EEENS0_18inequality_wrapperIN6hipcub16HIPCUB_304000_NS8EqualityEEESF_JS6_EEE10hipError_tPvRmT3_T4_T5_T6_T7_T9_mT8_P12ihipStream_tbDpT10_ENKUlT_T0_E_clISt17integral_constantIbLb1EES16_EEDaS11_S12_EUlS11_E_NS1_11comp_targetILNS1_3genE9ELNS1_11target_archE1100ELNS1_3gpuE3ELNS1_3repE0EEENS1_30default_config_static_selectorELNS0_4arch9wavefront6targetE0EEEvT1_.has_indirect_call, 0
	.section	.AMDGPU.csdata,"",@progbits
; Kernel info:
; codeLenInByte = 0
; TotalNumSgprs: 0
; NumVgprs: 0
; ScratchSize: 0
; MemoryBound: 0
; FloatMode: 240
; IeeeMode: 1
; LDSByteSize: 0 bytes/workgroup (compile time only)
; SGPRBlocks: 0
; VGPRBlocks: 0
; NumSGPRsForWavesPerEU: 1
; NumVGPRsForWavesPerEU: 1
; Occupancy: 16
; WaveLimiterHint : 0
; COMPUTE_PGM_RSRC2:SCRATCH_EN: 0
; COMPUTE_PGM_RSRC2:USER_SGPR: 6
; COMPUTE_PGM_RSRC2:TRAP_HANDLER: 0
; COMPUTE_PGM_RSRC2:TGID_X_EN: 1
; COMPUTE_PGM_RSRC2:TGID_Y_EN: 0
; COMPUTE_PGM_RSRC2:TGID_Z_EN: 0
; COMPUTE_PGM_RSRC2:TIDIG_COMP_CNT: 0
	.section	.text._ZN7rocprim17ROCPRIM_400000_NS6detail17trampoline_kernelINS0_14default_configENS1_25partition_config_selectorILNS1_17partition_subalgoE8ElNS0_10empty_typeEbEEZZNS1_14partition_implILS5_8ELb0ES3_jPKlPS6_PKS6_NS0_5tupleIJPlS6_EEENSE_IJSB_SB_EEENS0_18inequality_wrapperIN6hipcub16HIPCUB_304000_NS8EqualityEEESF_JS6_EEE10hipError_tPvRmT3_T4_T5_T6_T7_T9_mT8_P12ihipStream_tbDpT10_ENKUlT_T0_E_clISt17integral_constantIbLb1EES16_EEDaS11_S12_EUlS11_E_NS1_11comp_targetILNS1_3genE8ELNS1_11target_archE1030ELNS1_3gpuE2ELNS1_3repE0EEENS1_30default_config_static_selectorELNS0_4arch9wavefront6targetE0EEEvT1_,"axG",@progbits,_ZN7rocprim17ROCPRIM_400000_NS6detail17trampoline_kernelINS0_14default_configENS1_25partition_config_selectorILNS1_17partition_subalgoE8ElNS0_10empty_typeEbEEZZNS1_14partition_implILS5_8ELb0ES3_jPKlPS6_PKS6_NS0_5tupleIJPlS6_EEENSE_IJSB_SB_EEENS0_18inequality_wrapperIN6hipcub16HIPCUB_304000_NS8EqualityEEESF_JS6_EEE10hipError_tPvRmT3_T4_T5_T6_T7_T9_mT8_P12ihipStream_tbDpT10_ENKUlT_T0_E_clISt17integral_constantIbLb1EES16_EEDaS11_S12_EUlS11_E_NS1_11comp_targetILNS1_3genE8ELNS1_11target_archE1030ELNS1_3gpuE2ELNS1_3repE0EEENS1_30default_config_static_selectorELNS0_4arch9wavefront6targetE0EEEvT1_,comdat
	.protected	_ZN7rocprim17ROCPRIM_400000_NS6detail17trampoline_kernelINS0_14default_configENS1_25partition_config_selectorILNS1_17partition_subalgoE8ElNS0_10empty_typeEbEEZZNS1_14partition_implILS5_8ELb0ES3_jPKlPS6_PKS6_NS0_5tupleIJPlS6_EEENSE_IJSB_SB_EEENS0_18inequality_wrapperIN6hipcub16HIPCUB_304000_NS8EqualityEEESF_JS6_EEE10hipError_tPvRmT3_T4_T5_T6_T7_T9_mT8_P12ihipStream_tbDpT10_ENKUlT_T0_E_clISt17integral_constantIbLb1EES16_EEDaS11_S12_EUlS11_E_NS1_11comp_targetILNS1_3genE8ELNS1_11target_archE1030ELNS1_3gpuE2ELNS1_3repE0EEENS1_30default_config_static_selectorELNS0_4arch9wavefront6targetE0EEEvT1_ ; -- Begin function _ZN7rocprim17ROCPRIM_400000_NS6detail17trampoline_kernelINS0_14default_configENS1_25partition_config_selectorILNS1_17partition_subalgoE8ElNS0_10empty_typeEbEEZZNS1_14partition_implILS5_8ELb0ES3_jPKlPS6_PKS6_NS0_5tupleIJPlS6_EEENSE_IJSB_SB_EEENS0_18inequality_wrapperIN6hipcub16HIPCUB_304000_NS8EqualityEEESF_JS6_EEE10hipError_tPvRmT3_T4_T5_T6_T7_T9_mT8_P12ihipStream_tbDpT10_ENKUlT_T0_E_clISt17integral_constantIbLb1EES16_EEDaS11_S12_EUlS11_E_NS1_11comp_targetILNS1_3genE8ELNS1_11target_archE1030ELNS1_3gpuE2ELNS1_3repE0EEENS1_30default_config_static_selectorELNS0_4arch9wavefront6targetE0EEEvT1_
	.globl	_ZN7rocprim17ROCPRIM_400000_NS6detail17trampoline_kernelINS0_14default_configENS1_25partition_config_selectorILNS1_17partition_subalgoE8ElNS0_10empty_typeEbEEZZNS1_14partition_implILS5_8ELb0ES3_jPKlPS6_PKS6_NS0_5tupleIJPlS6_EEENSE_IJSB_SB_EEENS0_18inequality_wrapperIN6hipcub16HIPCUB_304000_NS8EqualityEEESF_JS6_EEE10hipError_tPvRmT3_T4_T5_T6_T7_T9_mT8_P12ihipStream_tbDpT10_ENKUlT_T0_E_clISt17integral_constantIbLb1EES16_EEDaS11_S12_EUlS11_E_NS1_11comp_targetILNS1_3genE8ELNS1_11target_archE1030ELNS1_3gpuE2ELNS1_3repE0EEENS1_30default_config_static_selectorELNS0_4arch9wavefront6targetE0EEEvT1_
	.p2align	8
	.type	_ZN7rocprim17ROCPRIM_400000_NS6detail17trampoline_kernelINS0_14default_configENS1_25partition_config_selectorILNS1_17partition_subalgoE8ElNS0_10empty_typeEbEEZZNS1_14partition_implILS5_8ELb0ES3_jPKlPS6_PKS6_NS0_5tupleIJPlS6_EEENSE_IJSB_SB_EEENS0_18inequality_wrapperIN6hipcub16HIPCUB_304000_NS8EqualityEEESF_JS6_EEE10hipError_tPvRmT3_T4_T5_T6_T7_T9_mT8_P12ihipStream_tbDpT10_ENKUlT_T0_E_clISt17integral_constantIbLb1EES16_EEDaS11_S12_EUlS11_E_NS1_11comp_targetILNS1_3genE8ELNS1_11target_archE1030ELNS1_3gpuE2ELNS1_3repE0EEENS1_30default_config_static_selectorELNS0_4arch9wavefront6targetE0EEEvT1_,@function
_ZN7rocprim17ROCPRIM_400000_NS6detail17trampoline_kernelINS0_14default_configENS1_25partition_config_selectorILNS1_17partition_subalgoE8ElNS0_10empty_typeEbEEZZNS1_14partition_implILS5_8ELb0ES3_jPKlPS6_PKS6_NS0_5tupleIJPlS6_EEENSE_IJSB_SB_EEENS0_18inequality_wrapperIN6hipcub16HIPCUB_304000_NS8EqualityEEESF_JS6_EEE10hipError_tPvRmT3_T4_T5_T6_T7_T9_mT8_P12ihipStream_tbDpT10_ENKUlT_T0_E_clISt17integral_constantIbLb1EES16_EEDaS11_S12_EUlS11_E_NS1_11comp_targetILNS1_3genE8ELNS1_11target_archE1030ELNS1_3gpuE2ELNS1_3repE0EEENS1_30default_config_static_selectorELNS0_4arch9wavefront6targetE0EEEvT1_: ; @_ZN7rocprim17ROCPRIM_400000_NS6detail17trampoline_kernelINS0_14default_configENS1_25partition_config_selectorILNS1_17partition_subalgoE8ElNS0_10empty_typeEbEEZZNS1_14partition_implILS5_8ELb0ES3_jPKlPS6_PKS6_NS0_5tupleIJPlS6_EEENSE_IJSB_SB_EEENS0_18inequality_wrapperIN6hipcub16HIPCUB_304000_NS8EqualityEEESF_JS6_EEE10hipError_tPvRmT3_T4_T5_T6_T7_T9_mT8_P12ihipStream_tbDpT10_ENKUlT_T0_E_clISt17integral_constantIbLb1EES16_EEDaS11_S12_EUlS11_E_NS1_11comp_targetILNS1_3genE8ELNS1_11target_archE1030ELNS1_3gpuE2ELNS1_3repE0EEENS1_30default_config_static_selectorELNS0_4arch9wavefront6targetE0EEEvT1_
; %bb.0:
	s_endpgm
	.section	.rodata,"a",@progbits
	.p2align	6, 0x0
	.amdhsa_kernel _ZN7rocprim17ROCPRIM_400000_NS6detail17trampoline_kernelINS0_14default_configENS1_25partition_config_selectorILNS1_17partition_subalgoE8ElNS0_10empty_typeEbEEZZNS1_14partition_implILS5_8ELb0ES3_jPKlPS6_PKS6_NS0_5tupleIJPlS6_EEENSE_IJSB_SB_EEENS0_18inequality_wrapperIN6hipcub16HIPCUB_304000_NS8EqualityEEESF_JS6_EEE10hipError_tPvRmT3_T4_T5_T6_T7_T9_mT8_P12ihipStream_tbDpT10_ENKUlT_T0_E_clISt17integral_constantIbLb1EES16_EEDaS11_S12_EUlS11_E_NS1_11comp_targetILNS1_3genE8ELNS1_11target_archE1030ELNS1_3gpuE2ELNS1_3repE0EEENS1_30default_config_static_selectorELNS0_4arch9wavefront6targetE0EEEvT1_
		.amdhsa_group_segment_fixed_size 0
		.amdhsa_private_segment_fixed_size 0
		.amdhsa_kernarg_size 128
		.amdhsa_user_sgpr_count 6
		.amdhsa_user_sgpr_private_segment_buffer 1
		.amdhsa_user_sgpr_dispatch_ptr 0
		.amdhsa_user_sgpr_queue_ptr 0
		.amdhsa_user_sgpr_kernarg_segment_ptr 1
		.amdhsa_user_sgpr_dispatch_id 0
		.amdhsa_user_sgpr_flat_scratch_init 0
		.amdhsa_user_sgpr_private_segment_size 0
		.amdhsa_wavefront_size32 1
		.amdhsa_uses_dynamic_stack 0
		.amdhsa_system_sgpr_private_segment_wavefront_offset 0
		.amdhsa_system_sgpr_workgroup_id_x 1
		.amdhsa_system_sgpr_workgroup_id_y 0
		.amdhsa_system_sgpr_workgroup_id_z 0
		.amdhsa_system_sgpr_workgroup_info 0
		.amdhsa_system_vgpr_workitem_id 0
		.amdhsa_next_free_vgpr 1
		.amdhsa_next_free_sgpr 1
		.amdhsa_reserve_vcc 0
		.amdhsa_reserve_flat_scratch 0
		.amdhsa_float_round_mode_32 0
		.amdhsa_float_round_mode_16_64 0
		.amdhsa_float_denorm_mode_32 3
		.amdhsa_float_denorm_mode_16_64 3
		.amdhsa_dx10_clamp 1
		.amdhsa_ieee_mode 1
		.amdhsa_fp16_overflow 0
		.amdhsa_workgroup_processor_mode 1
		.amdhsa_memory_ordered 1
		.amdhsa_forward_progress 1
		.amdhsa_shared_vgpr_count 0
		.amdhsa_exception_fp_ieee_invalid_op 0
		.amdhsa_exception_fp_denorm_src 0
		.amdhsa_exception_fp_ieee_div_zero 0
		.amdhsa_exception_fp_ieee_overflow 0
		.amdhsa_exception_fp_ieee_underflow 0
		.amdhsa_exception_fp_ieee_inexact 0
		.amdhsa_exception_int_div_zero 0
	.end_amdhsa_kernel
	.section	.text._ZN7rocprim17ROCPRIM_400000_NS6detail17trampoline_kernelINS0_14default_configENS1_25partition_config_selectorILNS1_17partition_subalgoE8ElNS0_10empty_typeEbEEZZNS1_14partition_implILS5_8ELb0ES3_jPKlPS6_PKS6_NS0_5tupleIJPlS6_EEENSE_IJSB_SB_EEENS0_18inequality_wrapperIN6hipcub16HIPCUB_304000_NS8EqualityEEESF_JS6_EEE10hipError_tPvRmT3_T4_T5_T6_T7_T9_mT8_P12ihipStream_tbDpT10_ENKUlT_T0_E_clISt17integral_constantIbLb1EES16_EEDaS11_S12_EUlS11_E_NS1_11comp_targetILNS1_3genE8ELNS1_11target_archE1030ELNS1_3gpuE2ELNS1_3repE0EEENS1_30default_config_static_selectorELNS0_4arch9wavefront6targetE0EEEvT1_,"axG",@progbits,_ZN7rocprim17ROCPRIM_400000_NS6detail17trampoline_kernelINS0_14default_configENS1_25partition_config_selectorILNS1_17partition_subalgoE8ElNS0_10empty_typeEbEEZZNS1_14partition_implILS5_8ELb0ES3_jPKlPS6_PKS6_NS0_5tupleIJPlS6_EEENSE_IJSB_SB_EEENS0_18inequality_wrapperIN6hipcub16HIPCUB_304000_NS8EqualityEEESF_JS6_EEE10hipError_tPvRmT3_T4_T5_T6_T7_T9_mT8_P12ihipStream_tbDpT10_ENKUlT_T0_E_clISt17integral_constantIbLb1EES16_EEDaS11_S12_EUlS11_E_NS1_11comp_targetILNS1_3genE8ELNS1_11target_archE1030ELNS1_3gpuE2ELNS1_3repE0EEENS1_30default_config_static_selectorELNS0_4arch9wavefront6targetE0EEEvT1_,comdat
.Lfunc_end241:
	.size	_ZN7rocprim17ROCPRIM_400000_NS6detail17trampoline_kernelINS0_14default_configENS1_25partition_config_selectorILNS1_17partition_subalgoE8ElNS0_10empty_typeEbEEZZNS1_14partition_implILS5_8ELb0ES3_jPKlPS6_PKS6_NS0_5tupleIJPlS6_EEENSE_IJSB_SB_EEENS0_18inequality_wrapperIN6hipcub16HIPCUB_304000_NS8EqualityEEESF_JS6_EEE10hipError_tPvRmT3_T4_T5_T6_T7_T9_mT8_P12ihipStream_tbDpT10_ENKUlT_T0_E_clISt17integral_constantIbLb1EES16_EEDaS11_S12_EUlS11_E_NS1_11comp_targetILNS1_3genE8ELNS1_11target_archE1030ELNS1_3gpuE2ELNS1_3repE0EEENS1_30default_config_static_selectorELNS0_4arch9wavefront6targetE0EEEvT1_, .Lfunc_end241-_ZN7rocprim17ROCPRIM_400000_NS6detail17trampoline_kernelINS0_14default_configENS1_25partition_config_selectorILNS1_17partition_subalgoE8ElNS0_10empty_typeEbEEZZNS1_14partition_implILS5_8ELb0ES3_jPKlPS6_PKS6_NS0_5tupleIJPlS6_EEENSE_IJSB_SB_EEENS0_18inequality_wrapperIN6hipcub16HIPCUB_304000_NS8EqualityEEESF_JS6_EEE10hipError_tPvRmT3_T4_T5_T6_T7_T9_mT8_P12ihipStream_tbDpT10_ENKUlT_T0_E_clISt17integral_constantIbLb1EES16_EEDaS11_S12_EUlS11_E_NS1_11comp_targetILNS1_3genE8ELNS1_11target_archE1030ELNS1_3gpuE2ELNS1_3repE0EEENS1_30default_config_static_selectorELNS0_4arch9wavefront6targetE0EEEvT1_
                                        ; -- End function
	.set _ZN7rocprim17ROCPRIM_400000_NS6detail17trampoline_kernelINS0_14default_configENS1_25partition_config_selectorILNS1_17partition_subalgoE8ElNS0_10empty_typeEbEEZZNS1_14partition_implILS5_8ELb0ES3_jPKlPS6_PKS6_NS0_5tupleIJPlS6_EEENSE_IJSB_SB_EEENS0_18inequality_wrapperIN6hipcub16HIPCUB_304000_NS8EqualityEEESF_JS6_EEE10hipError_tPvRmT3_T4_T5_T6_T7_T9_mT8_P12ihipStream_tbDpT10_ENKUlT_T0_E_clISt17integral_constantIbLb1EES16_EEDaS11_S12_EUlS11_E_NS1_11comp_targetILNS1_3genE8ELNS1_11target_archE1030ELNS1_3gpuE2ELNS1_3repE0EEENS1_30default_config_static_selectorELNS0_4arch9wavefront6targetE0EEEvT1_.num_vgpr, 0
	.set _ZN7rocprim17ROCPRIM_400000_NS6detail17trampoline_kernelINS0_14default_configENS1_25partition_config_selectorILNS1_17partition_subalgoE8ElNS0_10empty_typeEbEEZZNS1_14partition_implILS5_8ELb0ES3_jPKlPS6_PKS6_NS0_5tupleIJPlS6_EEENSE_IJSB_SB_EEENS0_18inequality_wrapperIN6hipcub16HIPCUB_304000_NS8EqualityEEESF_JS6_EEE10hipError_tPvRmT3_T4_T5_T6_T7_T9_mT8_P12ihipStream_tbDpT10_ENKUlT_T0_E_clISt17integral_constantIbLb1EES16_EEDaS11_S12_EUlS11_E_NS1_11comp_targetILNS1_3genE8ELNS1_11target_archE1030ELNS1_3gpuE2ELNS1_3repE0EEENS1_30default_config_static_selectorELNS0_4arch9wavefront6targetE0EEEvT1_.num_agpr, 0
	.set _ZN7rocprim17ROCPRIM_400000_NS6detail17trampoline_kernelINS0_14default_configENS1_25partition_config_selectorILNS1_17partition_subalgoE8ElNS0_10empty_typeEbEEZZNS1_14partition_implILS5_8ELb0ES3_jPKlPS6_PKS6_NS0_5tupleIJPlS6_EEENSE_IJSB_SB_EEENS0_18inequality_wrapperIN6hipcub16HIPCUB_304000_NS8EqualityEEESF_JS6_EEE10hipError_tPvRmT3_T4_T5_T6_T7_T9_mT8_P12ihipStream_tbDpT10_ENKUlT_T0_E_clISt17integral_constantIbLb1EES16_EEDaS11_S12_EUlS11_E_NS1_11comp_targetILNS1_3genE8ELNS1_11target_archE1030ELNS1_3gpuE2ELNS1_3repE0EEENS1_30default_config_static_selectorELNS0_4arch9wavefront6targetE0EEEvT1_.numbered_sgpr, 0
	.set _ZN7rocprim17ROCPRIM_400000_NS6detail17trampoline_kernelINS0_14default_configENS1_25partition_config_selectorILNS1_17partition_subalgoE8ElNS0_10empty_typeEbEEZZNS1_14partition_implILS5_8ELb0ES3_jPKlPS6_PKS6_NS0_5tupleIJPlS6_EEENSE_IJSB_SB_EEENS0_18inequality_wrapperIN6hipcub16HIPCUB_304000_NS8EqualityEEESF_JS6_EEE10hipError_tPvRmT3_T4_T5_T6_T7_T9_mT8_P12ihipStream_tbDpT10_ENKUlT_T0_E_clISt17integral_constantIbLb1EES16_EEDaS11_S12_EUlS11_E_NS1_11comp_targetILNS1_3genE8ELNS1_11target_archE1030ELNS1_3gpuE2ELNS1_3repE0EEENS1_30default_config_static_selectorELNS0_4arch9wavefront6targetE0EEEvT1_.num_named_barrier, 0
	.set _ZN7rocprim17ROCPRIM_400000_NS6detail17trampoline_kernelINS0_14default_configENS1_25partition_config_selectorILNS1_17partition_subalgoE8ElNS0_10empty_typeEbEEZZNS1_14partition_implILS5_8ELb0ES3_jPKlPS6_PKS6_NS0_5tupleIJPlS6_EEENSE_IJSB_SB_EEENS0_18inequality_wrapperIN6hipcub16HIPCUB_304000_NS8EqualityEEESF_JS6_EEE10hipError_tPvRmT3_T4_T5_T6_T7_T9_mT8_P12ihipStream_tbDpT10_ENKUlT_T0_E_clISt17integral_constantIbLb1EES16_EEDaS11_S12_EUlS11_E_NS1_11comp_targetILNS1_3genE8ELNS1_11target_archE1030ELNS1_3gpuE2ELNS1_3repE0EEENS1_30default_config_static_selectorELNS0_4arch9wavefront6targetE0EEEvT1_.private_seg_size, 0
	.set _ZN7rocprim17ROCPRIM_400000_NS6detail17trampoline_kernelINS0_14default_configENS1_25partition_config_selectorILNS1_17partition_subalgoE8ElNS0_10empty_typeEbEEZZNS1_14partition_implILS5_8ELb0ES3_jPKlPS6_PKS6_NS0_5tupleIJPlS6_EEENSE_IJSB_SB_EEENS0_18inequality_wrapperIN6hipcub16HIPCUB_304000_NS8EqualityEEESF_JS6_EEE10hipError_tPvRmT3_T4_T5_T6_T7_T9_mT8_P12ihipStream_tbDpT10_ENKUlT_T0_E_clISt17integral_constantIbLb1EES16_EEDaS11_S12_EUlS11_E_NS1_11comp_targetILNS1_3genE8ELNS1_11target_archE1030ELNS1_3gpuE2ELNS1_3repE0EEENS1_30default_config_static_selectorELNS0_4arch9wavefront6targetE0EEEvT1_.uses_vcc, 0
	.set _ZN7rocprim17ROCPRIM_400000_NS6detail17trampoline_kernelINS0_14default_configENS1_25partition_config_selectorILNS1_17partition_subalgoE8ElNS0_10empty_typeEbEEZZNS1_14partition_implILS5_8ELb0ES3_jPKlPS6_PKS6_NS0_5tupleIJPlS6_EEENSE_IJSB_SB_EEENS0_18inequality_wrapperIN6hipcub16HIPCUB_304000_NS8EqualityEEESF_JS6_EEE10hipError_tPvRmT3_T4_T5_T6_T7_T9_mT8_P12ihipStream_tbDpT10_ENKUlT_T0_E_clISt17integral_constantIbLb1EES16_EEDaS11_S12_EUlS11_E_NS1_11comp_targetILNS1_3genE8ELNS1_11target_archE1030ELNS1_3gpuE2ELNS1_3repE0EEENS1_30default_config_static_selectorELNS0_4arch9wavefront6targetE0EEEvT1_.uses_flat_scratch, 0
	.set _ZN7rocprim17ROCPRIM_400000_NS6detail17trampoline_kernelINS0_14default_configENS1_25partition_config_selectorILNS1_17partition_subalgoE8ElNS0_10empty_typeEbEEZZNS1_14partition_implILS5_8ELb0ES3_jPKlPS6_PKS6_NS0_5tupleIJPlS6_EEENSE_IJSB_SB_EEENS0_18inequality_wrapperIN6hipcub16HIPCUB_304000_NS8EqualityEEESF_JS6_EEE10hipError_tPvRmT3_T4_T5_T6_T7_T9_mT8_P12ihipStream_tbDpT10_ENKUlT_T0_E_clISt17integral_constantIbLb1EES16_EEDaS11_S12_EUlS11_E_NS1_11comp_targetILNS1_3genE8ELNS1_11target_archE1030ELNS1_3gpuE2ELNS1_3repE0EEENS1_30default_config_static_selectorELNS0_4arch9wavefront6targetE0EEEvT1_.has_dyn_sized_stack, 0
	.set _ZN7rocprim17ROCPRIM_400000_NS6detail17trampoline_kernelINS0_14default_configENS1_25partition_config_selectorILNS1_17partition_subalgoE8ElNS0_10empty_typeEbEEZZNS1_14partition_implILS5_8ELb0ES3_jPKlPS6_PKS6_NS0_5tupleIJPlS6_EEENSE_IJSB_SB_EEENS0_18inequality_wrapperIN6hipcub16HIPCUB_304000_NS8EqualityEEESF_JS6_EEE10hipError_tPvRmT3_T4_T5_T6_T7_T9_mT8_P12ihipStream_tbDpT10_ENKUlT_T0_E_clISt17integral_constantIbLb1EES16_EEDaS11_S12_EUlS11_E_NS1_11comp_targetILNS1_3genE8ELNS1_11target_archE1030ELNS1_3gpuE2ELNS1_3repE0EEENS1_30default_config_static_selectorELNS0_4arch9wavefront6targetE0EEEvT1_.has_recursion, 0
	.set _ZN7rocprim17ROCPRIM_400000_NS6detail17trampoline_kernelINS0_14default_configENS1_25partition_config_selectorILNS1_17partition_subalgoE8ElNS0_10empty_typeEbEEZZNS1_14partition_implILS5_8ELb0ES3_jPKlPS6_PKS6_NS0_5tupleIJPlS6_EEENSE_IJSB_SB_EEENS0_18inequality_wrapperIN6hipcub16HIPCUB_304000_NS8EqualityEEESF_JS6_EEE10hipError_tPvRmT3_T4_T5_T6_T7_T9_mT8_P12ihipStream_tbDpT10_ENKUlT_T0_E_clISt17integral_constantIbLb1EES16_EEDaS11_S12_EUlS11_E_NS1_11comp_targetILNS1_3genE8ELNS1_11target_archE1030ELNS1_3gpuE2ELNS1_3repE0EEENS1_30default_config_static_selectorELNS0_4arch9wavefront6targetE0EEEvT1_.has_indirect_call, 0
	.section	.AMDGPU.csdata,"",@progbits
; Kernel info:
; codeLenInByte = 4
; TotalNumSgprs: 0
; NumVgprs: 0
; ScratchSize: 0
; MemoryBound: 0
; FloatMode: 240
; IeeeMode: 1
; LDSByteSize: 0 bytes/workgroup (compile time only)
; SGPRBlocks: 0
; VGPRBlocks: 0
; NumSGPRsForWavesPerEU: 1
; NumVGPRsForWavesPerEU: 1
; Occupancy: 16
; WaveLimiterHint : 0
; COMPUTE_PGM_RSRC2:SCRATCH_EN: 0
; COMPUTE_PGM_RSRC2:USER_SGPR: 6
; COMPUTE_PGM_RSRC2:TRAP_HANDLER: 0
; COMPUTE_PGM_RSRC2:TGID_X_EN: 1
; COMPUTE_PGM_RSRC2:TGID_Y_EN: 0
; COMPUTE_PGM_RSRC2:TGID_Z_EN: 0
; COMPUTE_PGM_RSRC2:TIDIG_COMP_CNT: 0
	.section	.text._ZN7rocprim17ROCPRIM_400000_NS6detail17trampoline_kernelINS0_14default_configENS1_25partition_config_selectorILNS1_17partition_subalgoE8ElNS0_10empty_typeEbEEZZNS1_14partition_implILS5_8ELb0ES3_jPKlPS6_PKS6_NS0_5tupleIJPlS6_EEENSE_IJSB_SB_EEENS0_18inequality_wrapperIN6hipcub16HIPCUB_304000_NS8EqualityEEESF_JS6_EEE10hipError_tPvRmT3_T4_T5_T6_T7_T9_mT8_P12ihipStream_tbDpT10_ENKUlT_T0_E_clISt17integral_constantIbLb1EES15_IbLb0EEEEDaS11_S12_EUlS11_E_NS1_11comp_targetILNS1_3genE0ELNS1_11target_archE4294967295ELNS1_3gpuE0ELNS1_3repE0EEENS1_30default_config_static_selectorELNS0_4arch9wavefront6targetE0EEEvT1_,"axG",@progbits,_ZN7rocprim17ROCPRIM_400000_NS6detail17trampoline_kernelINS0_14default_configENS1_25partition_config_selectorILNS1_17partition_subalgoE8ElNS0_10empty_typeEbEEZZNS1_14partition_implILS5_8ELb0ES3_jPKlPS6_PKS6_NS0_5tupleIJPlS6_EEENSE_IJSB_SB_EEENS0_18inequality_wrapperIN6hipcub16HIPCUB_304000_NS8EqualityEEESF_JS6_EEE10hipError_tPvRmT3_T4_T5_T6_T7_T9_mT8_P12ihipStream_tbDpT10_ENKUlT_T0_E_clISt17integral_constantIbLb1EES15_IbLb0EEEEDaS11_S12_EUlS11_E_NS1_11comp_targetILNS1_3genE0ELNS1_11target_archE4294967295ELNS1_3gpuE0ELNS1_3repE0EEENS1_30default_config_static_selectorELNS0_4arch9wavefront6targetE0EEEvT1_,comdat
	.protected	_ZN7rocprim17ROCPRIM_400000_NS6detail17trampoline_kernelINS0_14default_configENS1_25partition_config_selectorILNS1_17partition_subalgoE8ElNS0_10empty_typeEbEEZZNS1_14partition_implILS5_8ELb0ES3_jPKlPS6_PKS6_NS0_5tupleIJPlS6_EEENSE_IJSB_SB_EEENS0_18inequality_wrapperIN6hipcub16HIPCUB_304000_NS8EqualityEEESF_JS6_EEE10hipError_tPvRmT3_T4_T5_T6_T7_T9_mT8_P12ihipStream_tbDpT10_ENKUlT_T0_E_clISt17integral_constantIbLb1EES15_IbLb0EEEEDaS11_S12_EUlS11_E_NS1_11comp_targetILNS1_3genE0ELNS1_11target_archE4294967295ELNS1_3gpuE0ELNS1_3repE0EEENS1_30default_config_static_selectorELNS0_4arch9wavefront6targetE0EEEvT1_ ; -- Begin function _ZN7rocprim17ROCPRIM_400000_NS6detail17trampoline_kernelINS0_14default_configENS1_25partition_config_selectorILNS1_17partition_subalgoE8ElNS0_10empty_typeEbEEZZNS1_14partition_implILS5_8ELb0ES3_jPKlPS6_PKS6_NS0_5tupleIJPlS6_EEENSE_IJSB_SB_EEENS0_18inequality_wrapperIN6hipcub16HIPCUB_304000_NS8EqualityEEESF_JS6_EEE10hipError_tPvRmT3_T4_T5_T6_T7_T9_mT8_P12ihipStream_tbDpT10_ENKUlT_T0_E_clISt17integral_constantIbLb1EES15_IbLb0EEEEDaS11_S12_EUlS11_E_NS1_11comp_targetILNS1_3genE0ELNS1_11target_archE4294967295ELNS1_3gpuE0ELNS1_3repE0EEENS1_30default_config_static_selectorELNS0_4arch9wavefront6targetE0EEEvT1_
	.globl	_ZN7rocprim17ROCPRIM_400000_NS6detail17trampoline_kernelINS0_14default_configENS1_25partition_config_selectorILNS1_17partition_subalgoE8ElNS0_10empty_typeEbEEZZNS1_14partition_implILS5_8ELb0ES3_jPKlPS6_PKS6_NS0_5tupleIJPlS6_EEENSE_IJSB_SB_EEENS0_18inequality_wrapperIN6hipcub16HIPCUB_304000_NS8EqualityEEESF_JS6_EEE10hipError_tPvRmT3_T4_T5_T6_T7_T9_mT8_P12ihipStream_tbDpT10_ENKUlT_T0_E_clISt17integral_constantIbLb1EES15_IbLb0EEEEDaS11_S12_EUlS11_E_NS1_11comp_targetILNS1_3genE0ELNS1_11target_archE4294967295ELNS1_3gpuE0ELNS1_3repE0EEENS1_30default_config_static_selectorELNS0_4arch9wavefront6targetE0EEEvT1_
	.p2align	8
	.type	_ZN7rocprim17ROCPRIM_400000_NS6detail17trampoline_kernelINS0_14default_configENS1_25partition_config_selectorILNS1_17partition_subalgoE8ElNS0_10empty_typeEbEEZZNS1_14partition_implILS5_8ELb0ES3_jPKlPS6_PKS6_NS0_5tupleIJPlS6_EEENSE_IJSB_SB_EEENS0_18inequality_wrapperIN6hipcub16HIPCUB_304000_NS8EqualityEEESF_JS6_EEE10hipError_tPvRmT3_T4_T5_T6_T7_T9_mT8_P12ihipStream_tbDpT10_ENKUlT_T0_E_clISt17integral_constantIbLb1EES15_IbLb0EEEEDaS11_S12_EUlS11_E_NS1_11comp_targetILNS1_3genE0ELNS1_11target_archE4294967295ELNS1_3gpuE0ELNS1_3repE0EEENS1_30default_config_static_selectorELNS0_4arch9wavefront6targetE0EEEvT1_,@function
_ZN7rocprim17ROCPRIM_400000_NS6detail17trampoline_kernelINS0_14default_configENS1_25partition_config_selectorILNS1_17partition_subalgoE8ElNS0_10empty_typeEbEEZZNS1_14partition_implILS5_8ELb0ES3_jPKlPS6_PKS6_NS0_5tupleIJPlS6_EEENSE_IJSB_SB_EEENS0_18inequality_wrapperIN6hipcub16HIPCUB_304000_NS8EqualityEEESF_JS6_EEE10hipError_tPvRmT3_T4_T5_T6_T7_T9_mT8_P12ihipStream_tbDpT10_ENKUlT_T0_E_clISt17integral_constantIbLb1EES15_IbLb0EEEEDaS11_S12_EUlS11_E_NS1_11comp_targetILNS1_3genE0ELNS1_11target_archE4294967295ELNS1_3gpuE0ELNS1_3repE0EEENS1_30default_config_static_selectorELNS0_4arch9wavefront6targetE0EEEvT1_: ; @_ZN7rocprim17ROCPRIM_400000_NS6detail17trampoline_kernelINS0_14default_configENS1_25partition_config_selectorILNS1_17partition_subalgoE8ElNS0_10empty_typeEbEEZZNS1_14partition_implILS5_8ELb0ES3_jPKlPS6_PKS6_NS0_5tupleIJPlS6_EEENSE_IJSB_SB_EEENS0_18inequality_wrapperIN6hipcub16HIPCUB_304000_NS8EqualityEEESF_JS6_EEE10hipError_tPvRmT3_T4_T5_T6_T7_T9_mT8_P12ihipStream_tbDpT10_ENKUlT_T0_E_clISt17integral_constantIbLb1EES15_IbLb0EEEEDaS11_S12_EUlS11_E_NS1_11comp_targetILNS1_3genE0ELNS1_11target_archE4294967295ELNS1_3gpuE0ELNS1_3repE0EEENS1_30default_config_static_selectorELNS0_4arch9wavefront6targetE0EEEvT1_
; %bb.0:
	.section	.rodata,"a",@progbits
	.p2align	6, 0x0
	.amdhsa_kernel _ZN7rocprim17ROCPRIM_400000_NS6detail17trampoline_kernelINS0_14default_configENS1_25partition_config_selectorILNS1_17partition_subalgoE8ElNS0_10empty_typeEbEEZZNS1_14partition_implILS5_8ELb0ES3_jPKlPS6_PKS6_NS0_5tupleIJPlS6_EEENSE_IJSB_SB_EEENS0_18inequality_wrapperIN6hipcub16HIPCUB_304000_NS8EqualityEEESF_JS6_EEE10hipError_tPvRmT3_T4_T5_T6_T7_T9_mT8_P12ihipStream_tbDpT10_ENKUlT_T0_E_clISt17integral_constantIbLb1EES15_IbLb0EEEEDaS11_S12_EUlS11_E_NS1_11comp_targetILNS1_3genE0ELNS1_11target_archE4294967295ELNS1_3gpuE0ELNS1_3repE0EEENS1_30default_config_static_selectorELNS0_4arch9wavefront6targetE0EEEvT1_
		.amdhsa_group_segment_fixed_size 0
		.amdhsa_private_segment_fixed_size 0
		.amdhsa_kernarg_size 112
		.amdhsa_user_sgpr_count 6
		.amdhsa_user_sgpr_private_segment_buffer 1
		.amdhsa_user_sgpr_dispatch_ptr 0
		.amdhsa_user_sgpr_queue_ptr 0
		.amdhsa_user_sgpr_kernarg_segment_ptr 1
		.amdhsa_user_sgpr_dispatch_id 0
		.amdhsa_user_sgpr_flat_scratch_init 0
		.amdhsa_user_sgpr_private_segment_size 0
		.amdhsa_wavefront_size32 1
		.amdhsa_uses_dynamic_stack 0
		.amdhsa_system_sgpr_private_segment_wavefront_offset 0
		.amdhsa_system_sgpr_workgroup_id_x 1
		.amdhsa_system_sgpr_workgroup_id_y 0
		.amdhsa_system_sgpr_workgroup_id_z 0
		.amdhsa_system_sgpr_workgroup_info 0
		.amdhsa_system_vgpr_workitem_id 0
		.amdhsa_next_free_vgpr 1
		.amdhsa_next_free_sgpr 1
		.amdhsa_reserve_vcc 0
		.amdhsa_reserve_flat_scratch 0
		.amdhsa_float_round_mode_32 0
		.amdhsa_float_round_mode_16_64 0
		.amdhsa_float_denorm_mode_32 3
		.amdhsa_float_denorm_mode_16_64 3
		.amdhsa_dx10_clamp 1
		.amdhsa_ieee_mode 1
		.amdhsa_fp16_overflow 0
		.amdhsa_workgroup_processor_mode 1
		.amdhsa_memory_ordered 1
		.amdhsa_forward_progress 1
		.amdhsa_shared_vgpr_count 0
		.amdhsa_exception_fp_ieee_invalid_op 0
		.amdhsa_exception_fp_denorm_src 0
		.amdhsa_exception_fp_ieee_div_zero 0
		.amdhsa_exception_fp_ieee_overflow 0
		.amdhsa_exception_fp_ieee_underflow 0
		.amdhsa_exception_fp_ieee_inexact 0
		.amdhsa_exception_int_div_zero 0
	.end_amdhsa_kernel
	.section	.text._ZN7rocprim17ROCPRIM_400000_NS6detail17trampoline_kernelINS0_14default_configENS1_25partition_config_selectorILNS1_17partition_subalgoE8ElNS0_10empty_typeEbEEZZNS1_14partition_implILS5_8ELb0ES3_jPKlPS6_PKS6_NS0_5tupleIJPlS6_EEENSE_IJSB_SB_EEENS0_18inequality_wrapperIN6hipcub16HIPCUB_304000_NS8EqualityEEESF_JS6_EEE10hipError_tPvRmT3_T4_T5_T6_T7_T9_mT8_P12ihipStream_tbDpT10_ENKUlT_T0_E_clISt17integral_constantIbLb1EES15_IbLb0EEEEDaS11_S12_EUlS11_E_NS1_11comp_targetILNS1_3genE0ELNS1_11target_archE4294967295ELNS1_3gpuE0ELNS1_3repE0EEENS1_30default_config_static_selectorELNS0_4arch9wavefront6targetE0EEEvT1_,"axG",@progbits,_ZN7rocprim17ROCPRIM_400000_NS6detail17trampoline_kernelINS0_14default_configENS1_25partition_config_selectorILNS1_17partition_subalgoE8ElNS0_10empty_typeEbEEZZNS1_14partition_implILS5_8ELb0ES3_jPKlPS6_PKS6_NS0_5tupleIJPlS6_EEENSE_IJSB_SB_EEENS0_18inequality_wrapperIN6hipcub16HIPCUB_304000_NS8EqualityEEESF_JS6_EEE10hipError_tPvRmT3_T4_T5_T6_T7_T9_mT8_P12ihipStream_tbDpT10_ENKUlT_T0_E_clISt17integral_constantIbLb1EES15_IbLb0EEEEDaS11_S12_EUlS11_E_NS1_11comp_targetILNS1_3genE0ELNS1_11target_archE4294967295ELNS1_3gpuE0ELNS1_3repE0EEENS1_30default_config_static_selectorELNS0_4arch9wavefront6targetE0EEEvT1_,comdat
.Lfunc_end242:
	.size	_ZN7rocprim17ROCPRIM_400000_NS6detail17trampoline_kernelINS0_14default_configENS1_25partition_config_selectorILNS1_17partition_subalgoE8ElNS0_10empty_typeEbEEZZNS1_14partition_implILS5_8ELb0ES3_jPKlPS6_PKS6_NS0_5tupleIJPlS6_EEENSE_IJSB_SB_EEENS0_18inequality_wrapperIN6hipcub16HIPCUB_304000_NS8EqualityEEESF_JS6_EEE10hipError_tPvRmT3_T4_T5_T6_T7_T9_mT8_P12ihipStream_tbDpT10_ENKUlT_T0_E_clISt17integral_constantIbLb1EES15_IbLb0EEEEDaS11_S12_EUlS11_E_NS1_11comp_targetILNS1_3genE0ELNS1_11target_archE4294967295ELNS1_3gpuE0ELNS1_3repE0EEENS1_30default_config_static_selectorELNS0_4arch9wavefront6targetE0EEEvT1_, .Lfunc_end242-_ZN7rocprim17ROCPRIM_400000_NS6detail17trampoline_kernelINS0_14default_configENS1_25partition_config_selectorILNS1_17partition_subalgoE8ElNS0_10empty_typeEbEEZZNS1_14partition_implILS5_8ELb0ES3_jPKlPS6_PKS6_NS0_5tupleIJPlS6_EEENSE_IJSB_SB_EEENS0_18inequality_wrapperIN6hipcub16HIPCUB_304000_NS8EqualityEEESF_JS6_EEE10hipError_tPvRmT3_T4_T5_T6_T7_T9_mT8_P12ihipStream_tbDpT10_ENKUlT_T0_E_clISt17integral_constantIbLb1EES15_IbLb0EEEEDaS11_S12_EUlS11_E_NS1_11comp_targetILNS1_3genE0ELNS1_11target_archE4294967295ELNS1_3gpuE0ELNS1_3repE0EEENS1_30default_config_static_selectorELNS0_4arch9wavefront6targetE0EEEvT1_
                                        ; -- End function
	.set _ZN7rocprim17ROCPRIM_400000_NS6detail17trampoline_kernelINS0_14default_configENS1_25partition_config_selectorILNS1_17partition_subalgoE8ElNS0_10empty_typeEbEEZZNS1_14partition_implILS5_8ELb0ES3_jPKlPS6_PKS6_NS0_5tupleIJPlS6_EEENSE_IJSB_SB_EEENS0_18inequality_wrapperIN6hipcub16HIPCUB_304000_NS8EqualityEEESF_JS6_EEE10hipError_tPvRmT3_T4_T5_T6_T7_T9_mT8_P12ihipStream_tbDpT10_ENKUlT_T0_E_clISt17integral_constantIbLb1EES15_IbLb0EEEEDaS11_S12_EUlS11_E_NS1_11comp_targetILNS1_3genE0ELNS1_11target_archE4294967295ELNS1_3gpuE0ELNS1_3repE0EEENS1_30default_config_static_selectorELNS0_4arch9wavefront6targetE0EEEvT1_.num_vgpr, 0
	.set _ZN7rocprim17ROCPRIM_400000_NS6detail17trampoline_kernelINS0_14default_configENS1_25partition_config_selectorILNS1_17partition_subalgoE8ElNS0_10empty_typeEbEEZZNS1_14partition_implILS5_8ELb0ES3_jPKlPS6_PKS6_NS0_5tupleIJPlS6_EEENSE_IJSB_SB_EEENS0_18inequality_wrapperIN6hipcub16HIPCUB_304000_NS8EqualityEEESF_JS6_EEE10hipError_tPvRmT3_T4_T5_T6_T7_T9_mT8_P12ihipStream_tbDpT10_ENKUlT_T0_E_clISt17integral_constantIbLb1EES15_IbLb0EEEEDaS11_S12_EUlS11_E_NS1_11comp_targetILNS1_3genE0ELNS1_11target_archE4294967295ELNS1_3gpuE0ELNS1_3repE0EEENS1_30default_config_static_selectorELNS0_4arch9wavefront6targetE0EEEvT1_.num_agpr, 0
	.set _ZN7rocprim17ROCPRIM_400000_NS6detail17trampoline_kernelINS0_14default_configENS1_25partition_config_selectorILNS1_17partition_subalgoE8ElNS0_10empty_typeEbEEZZNS1_14partition_implILS5_8ELb0ES3_jPKlPS6_PKS6_NS0_5tupleIJPlS6_EEENSE_IJSB_SB_EEENS0_18inequality_wrapperIN6hipcub16HIPCUB_304000_NS8EqualityEEESF_JS6_EEE10hipError_tPvRmT3_T4_T5_T6_T7_T9_mT8_P12ihipStream_tbDpT10_ENKUlT_T0_E_clISt17integral_constantIbLb1EES15_IbLb0EEEEDaS11_S12_EUlS11_E_NS1_11comp_targetILNS1_3genE0ELNS1_11target_archE4294967295ELNS1_3gpuE0ELNS1_3repE0EEENS1_30default_config_static_selectorELNS0_4arch9wavefront6targetE0EEEvT1_.numbered_sgpr, 0
	.set _ZN7rocprim17ROCPRIM_400000_NS6detail17trampoline_kernelINS0_14default_configENS1_25partition_config_selectorILNS1_17partition_subalgoE8ElNS0_10empty_typeEbEEZZNS1_14partition_implILS5_8ELb0ES3_jPKlPS6_PKS6_NS0_5tupleIJPlS6_EEENSE_IJSB_SB_EEENS0_18inequality_wrapperIN6hipcub16HIPCUB_304000_NS8EqualityEEESF_JS6_EEE10hipError_tPvRmT3_T4_T5_T6_T7_T9_mT8_P12ihipStream_tbDpT10_ENKUlT_T0_E_clISt17integral_constantIbLb1EES15_IbLb0EEEEDaS11_S12_EUlS11_E_NS1_11comp_targetILNS1_3genE0ELNS1_11target_archE4294967295ELNS1_3gpuE0ELNS1_3repE0EEENS1_30default_config_static_selectorELNS0_4arch9wavefront6targetE0EEEvT1_.num_named_barrier, 0
	.set _ZN7rocprim17ROCPRIM_400000_NS6detail17trampoline_kernelINS0_14default_configENS1_25partition_config_selectorILNS1_17partition_subalgoE8ElNS0_10empty_typeEbEEZZNS1_14partition_implILS5_8ELb0ES3_jPKlPS6_PKS6_NS0_5tupleIJPlS6_EEENSE_IJSB_SB_EEENS0_18inequality_wrapperIN6hipcub16HIPCUB_304000_NS8EqualityEEESF_JS6_EEE10hipError_tPvRmT3_T4_T5_T6_T7_T9_mT8_P12ihipStream_tbDpT10_ENKUlT_T0_E_clISt17integral_constantIbLb1EES15_IbLb0EEEEDaS11_S12_EUlS11_E_NS1_11comp_targetILNS1_3genE0ELNS1_11target_archE4294967295ELNS1_3gpuE0ELNS1_3repE0EEENS1_30default_config_static_selectorELNS0_4arch9wavefront6targetE0EEEvT1_.private_seg_size, 0
	.set _ZN7rocprim17ROCPRIM_400000_NS6detail17trampoline_kernelINS0_14default_configENS1_25partition_config_selectorILNS1_17partition_subalgoE8ElNS0_10empty_typeEbEEZZNS1_14partition_implILS5_8ELb0ES3_jPKlPS6_PKS6_NS0_5tupleIJPlS6_EEENSE_IJSB_SB_EEENS0_18inequality_wrapperIN6hipcub16HIPCUB_304000_NS8EqualityEEESF_JS6_EEE10hipError_tPvRmT3_T4_T5_T6_T7_T9_mT8_P12ihipStream_tbDpT10_ENKUlT_T0_E_clISt17integral_constantIbLb1EES15_IbLb0EEEEDaS11_S12_EUlS11_E_NS1_11comp_targetILNS1_3genE0ELNS1_11target_archE4294967295ELNS1_3gpuE0ELNS1_3repE0EEENS1_30default_config_static_selectorELNS0_4arch9wavefront6targetE0EEEvT1_.uses_vcc, 0
	.set _ZN7rocprim17ROCPRIM_400000_NS6detail17trampoline_kernelINS0_14default_configENS1_25partition_config_selectorILNS1_17partition_subalgoE8ElNS0_10empty_typeEbEEZZNS1_14partition_implILS5_8ELb0ES3_jPKlPS6_PKS6_NS0_5tupleIJPlS6_EEENSE_IJSB_SB_EEENS0_18inequality_wrapperIN6hipcub16HIPCUB_304000_NS8EqualityEEESF_JS6_EEE10hipError_tPvRmT3_T4_T5_T6_T7_T9_mT8_P12ihipStream_tbDpT10_ENKUlT_T0_E_clISt17integral_constantIbLb1EES15_IbLb0EEEEDaS11_S12_EUlS11_E_NS1_11comp_targetILNS1_3genE0ELNS1_11target_archE4294967295ELNS1_3gpuE0ELNS1_3repE0EEENS1_30default_config_static_selectorELNS0_4arch9wavefront6targetE0EEEvT1_.uses_flat_scratch, 0
	.set _ZN7rocprim17ROCPRIM_400000_NS6detail17trampoline_kernelINS0_14default_configENS1_25partition_config_selectorILNS1_17partition_subalgoE8ElNS0_10empty_typeEbEEZZNS1_14partition_implILS5_8ELb0ES3_jPKlPS6_PKS6_NS0_5tupleIJPlS6_EEENSE_IJSB_SB_EEENS0_18inequality_wrapperIN6hipcub16HIPCUB_304000_NS8EqualityEEESF_JS6_EEE10hipError_tPvRmT3_T4_T5_T6_T7_T9_mT8_P12ihipStream_tbDpT10_ENKUlT_T0_E_clISt17integral_constantIbLb1EES15_IbLb0EEEEDaS11_S12_EUlS11_E_NS1_11comp_targetILNS1_3genE0ELNS1_11target_archE4294967295ELNS1_3gpuE0ELNS1_3repE0EEENS1_30default_config_static_selectorELNS0_4arch9wavefront6targetE0EEEvT1_.has_dyn_sized_stack, 0
	.set _ZN7rocprim17ROCPRIM_400000_NS6detail17trampoline_kernelINS0_14default_configENS1_25partition_config_selectorILNS1_17partition_subalgoE8ElNS0_10empty_typeEbEEZZNS1_14partition_implILS5_8ELb0ES3_jPKlPS6_PKS6_NS0_5tupleIJPlS6_EEENSE_IJSB_SB_EEENS0_18inequality_wrapperIN6hipcub16HIPCUB_304000_NS8EqualityEEESF_JS6_EEE10hipError_tPvRmT3_T4_T5_T6_T7_T9_mT8_P12ihipStream_tbDpT10_ENKUlT_T0_E_clISt17integral_constantIbLb1EES15_IbLb0EEEEDaS11_S12_EUlS11_E_NS1_11comp_targetILNS1_3genE0ELNS1_11target_archE4294967295ELNS1_3gpuE0ELNS1_3repE0EEENS1_30default_config_static_selectorELNS0_4arch9wavefront6targetE0EEEvT1_.has_recursion, 0
	.set _ZN7rocprim17ROCPRIM_400000_NS6detail17trampoline_kernelINS0_14default_configENS1_25partition_config_selectorILNS1_17partition_subalgoE8ElNS0_10empty_typeEbEEZZNS1_14partition_implILS5_8ELb0ES3_jPKlPS6_PKS6_NS0_5tupleIJPlS6_EEENSE_IJSB_SB_EEENS0_18inequality_wrapperIN6hipcub16HIPCUB_304000_NS8EqualityEEESF_JS6_EEE10hipError_tPvRmT3_T4_T5_T6_T7_T9_mT8_P12ihipStream_tbDpT10_ENKUlT_T0_E_clISt17integral_constantIbLb1EES15_IbLb0EEEEDaS11_S12_EUlS11_E_NS1_11comp_targetILNS1_3genE0ELNS1_11target_archE4294967295ELNS1_3gpuE0ELNS1_3repE0EEENS1_30default_config_static_selectorELNS0_4arch9wavefront6targetE0EEEvT1_.has_indirect_call, 0
	.section	.AMDGPU.csdata,"",@progbits
; Kernel info:
; codeLenInByte = 0
; TotalNumSgprs: 0
; NumVgprs: 0
; ScratchSize: 0
; MemoryBound: 0
; FloatMode: 240
; IeeeMode: 1
; LDSByteSize: 0 bytes/workgroup (compile time only)
; SGPRBlocks: 0
; VGPRBlocks: 0
; NumSGPRsForWavesPerEU: 1
; NumVGPRsForWavesPerEU: 1
; Occupancy: 16
; WaveLimiterHint : 0
; COMPUTE_PGM_RSRC2:SCRATCH_EN: 0
; COMPUTE_PGM_RSRC2:USER_SGPR: 6
; COMPUTE_PGM_RSRC2:TRAP_HANDLER: 0
; COMPUTE_PGM_RSRC2:TGID_X_EN: 1
; COMPUTE_PGM_RSRC2:TGID_Y_EN: 0
; COMPUTE_PGM_RSRC2:TGID_Z_EN: 0
; COMPUTE_PGM_RSRC2:TIDIG_COMP_CNT: 0
	.section	.text._ZN7rocprim17ROCPRIM_400000_NS6detail17trampoline_kernelINS0_14default_configENS1_25partition_config_selectorILNS1_17partition_subalgoE8ElNS0_10empty_typeEbEEZZNS1_14partition_implILS5_8ELb0ES3_jPKlPS6_PKS6_NS0_5tupleIJPlS6_EEENSE_IJSB_SB_EEENS0_18inequality_wrapperIN6hipcub16HIPCUB_304000_NS8EqualityEEESF_JS6_EEE10hipError_tPvRmT3_T4_T5_T6_T7_T9_mT8_P12ihipStream_tbDpT10_ENKUlT_T0_E_clISt17integral_constantIbLb1EES15_IbLb0EEEEDaS11_S12_EUlS11_E_NS1_11comp_targetILNS1_3genE5ELNS1_11target_archE942ELNS1_3gpuE9ELNS1_3repE0EEENS1_30default_config_static_selectorELNS0_4arch9wavefront6targetE0EEEvT1_,"axG",@progbits,_ZN7rocprim17ROCPRIM_400000_NS6detail17trampoline_kernelINS0_14default_configENS1_25partition_config_selectorILNS1_17partition_subalgoE8ElNS0_10empty_typeEbEEZZNS1_14partition_implILS5_8ELb0ES3_jPKlPS6_PKS6_NS0_5tupleIJPlS6_EEENSE_IJSB_SB_EEENS0_18inequality_wrapperIN6hipcub16HIPCUB_304000_NS8EqualityEEESF_JS6_EEE10hipError_tPvRmT3_T4_T5_T6_T7_T9_mT8_P12ihipStream_tbDpT10_ENKUlT_T0_E_clISt17integral_constantIbLb1EES15_IbLb0EEEEDaS11_S12_EUlS11_E_NS1_11comp_targetILNS1_3genE5ELNS1_11target_archE942ELNS1_3gpuE9ELNS1_3repE0EEENS1_30default_config_static_selectorELNS0_4arch9wavefront6targetE0EEEvT1_,comdat
	.protected	_ZN7rocprim17ROCPRIM_400000_NS6detail17trampoline_kernelINS0_14default_configENS1_25partition_config_selectorILNS1_17partition_subalgoE8ElNS0_10empty_typeEbEEZZNS1_14partition_implILS5_8ELb0ES3_jPKlPS6_PKS6_NS0_5tupleIJPlS6_EEENSE_IJSB_SB_EEENS0_18inequality_wrapperIN6hipcub16HIPCUB_304000_NS8EqualityEEESF_JS6_EEE10hipError_tPvRmT3_T4_T5_T6_T7_T9_mT8_P12ihipStream_tbDpT10_ENKUlT_T0_E_clISt17integral_constantIbLb1EES15_IbLb0EEEEDaS11_S12_EUlS11_E_NS1_11comp_targetILNS1_3genE5ELNS1_11target_archE942ELNS1_3gpuE9ELNS1_3repE0EEENS1_30default_config_static_selectorELNS0_4arch9wavefront6targetE0EEEvT1_ ; -- Begin function _ZN7rocprim17ROCPRIM_400000_NS6detail17trampoline_kernelINS0_14default_configENS1_25partition_config_selectorILNS1_17partition_subalgoE8ElNS0_10empty_typeEbEEZZNS1_14partition_implILS5_8ELb0ES3_jPKlPS6_PKS6_NS0_5tupleIJPlS6_EEENSE_IJSB_SB_EEENS0_18inequality_wrapperIN6hipcub16HIPCUB_304000_NS8EqualityEEESF_JS6_EEE10hipError_tPvRmT3_T4_T5_T6_T7_T9_mT8_P12ihipStream_tbDpT10_ENKUlT_T0_E_clISt17integral_constantIbLb1EES15_IbLb0EEEEDaS11_S12_EUlS11_E_NS1_11comp_targetILNS1_3genE5ELNS1_11target_archE942ELNS1_3gpuE9ELNS1_3repE0EEENS1_30default_config_static_selectorELNS0_4arch9wavefront6targetE0EEEvT1_
	.globl	_ZN7rocprim17ROCPRIM_400000_NS6detail17trampoline_kernelINS0_14default_configENS1_25partition_config_selectorILNS1_17partition_subalgoE8ElNS0_10empty_typeEbEEZZNS1_14partition_implILS5_8ELb0ES3_jPKlPS6_PKS6_NS0_5tupleIJPlS6_EEENSE_IJSB_SB_EEENS0_18inequality_wrapperIN6hipcub16HIPCUB_304000_NS8EqualityEEESF_JS6_EEE10hipError_tPvRmT3_T4_T5_T6_T7_T9_mT8_P12ihipStream_tbDpT10_ENKUlT_T0_E_clISt17integral_constantIbLb1EES15_IbLb0EEEEDaS11_S12_EUlS11_E_NS1_11comp_targetILNS1_3genE5ELNS1_11target_archE942ELNS1_3gpuE9ELNS1_3repE0EEENS1_30default_config_static_selectorELNS0_4arch9wavefront6targetE0EEEvT1_
	.p2align	8
	.type	_ZN7rocprim17ROCPRIM_400000_NS6detail17trampoline_kernelINS0_14default_configENS1_25partition_config_selectorILNS1_17partition_subalgoE8ElNS0_10empty_typeEbEEZZNS1_14partition_implILS5_8ELb0ES3_jPKlPS6_PKS6_NS0_5tupleIJPlS6_EEENSE_IJSB_SB_EEENS0_18inequality_wrapperIN6hipcub16HIPCUB_304000_NS8EqualityEEESF_JS6_EEE10hipError_tPvRmT3_T4_T5_T6_T7_T9_mT8_P12ihipStream_tbDpT10_ENKUlT_T0_E_clISt17integral_constantIbLb1EES15_IbLb0EEEEDaS11_S12_EUlS11_E_NS1_11comp_targetILNS1_3genE5ELNS1_11target_archE942ELNS1_3gpuE9ELNS1_3repE0EEENS1_30default_config_static_selectorELNS0_4arch9wavefront6targetE0EEEvT1_,@function
_ZN7rocprim17ROCPRIM_400000_NS6detail17trampoline_kernelINS0_14default_configENS1_25partition_config_selectorILNS1_17partition_subalgoE8ElNS0_10empty_typeEbEEZZNS1_14partition_implILS5_8ELb0ES3_jPKlPS6_PKS6_NS0_5tupleIJPlS6_EEENSE_IJSB_SB_EEENS0_18inequality_wrapperIN6hipcub16HIPCUB_304000_NS8EqualityEEESF_JS6_EEE10hipError_tPvRmT3_T4_T5_T6_T7_T9_mT8_P12ihipStream_tbDpT10_ENKUlT_T0_E_clISt17integral_constantIbLb1EES15_IbLb0EEEEDaS11_S12_EUlS11_E_NS1_11comp_targetILNS1_3genE5ELNS1_11target_archE942ELNS1_3gpuE9ELNS1_3repE0EEENS1_30default_config_static_selectorELNS0_4arch9wavefront6targetE0EEEvT1_: ; @_ZN7rocprim17ROCPRIM_400000_NS6detail17trampoline_kernelINS0_14default_configENS1_25partition_config_selectorILNS1_17partition_subalgoE8ElNS0_10empty_typeEbEEZZNS1_14partition_implILS5_8ELb0ES3_jPKlPS6_PKS6_NS0_5tupleIJPlS6_EEENSE_IJSB_SB_EEENS0_18inequality_wrapperIN6hipcub16HIPCUB_304000_NS8EqualityEEESF_JS6_EEE10hipError_tPvRmT3_T4_T5_T6_T7_T9_mT8_P12ihipStream_tbDpT10_ENKUlT_T0_E_clISt17integral_constantIbLb1EES15_IbLb0EEEEDaS11_S12_EUlS11_E_NS1_11comp_targetILNS1_3genE5ELNS1_11target_archE942ELNS1_3gpuE9ELNS1_3repE0EEENS1_30default_config_static_selectorELNS0_4arch9wavefront6targetE0EEEvT1_
; %bb.0:
	.section	.rodata,"a",@progbits
	.p2align	6, 0x0
	.amdhsa_kernel _ZN7rocprim17ROCPRIM_400000_NS6detail17trampoline_kernelINS0_14default_configENS1_25partition_config_selectorILNS1_17partition_subalgoE8ElNS0_10empty_typeEbEEZZNS1_14partition_implILS5_8ELb0ES3_jPKlPS6_PKS6_NS0_5tupleIJPlS6_EEENSE_IJSB_SB_EEENS0_18inequality_wrapperIN6hipcub16HIPCUB_304000_NS8EqualityEEESF_JS6_EEE10hipError_tPvRmT3_T4_T5_T6_T7_T9_mT8_P12ihipStream_tbDpT10_ENKUlT_T0_E_clISt17integral_constantIbLb1EES15_IbLb0EEEEDaS11_S12_EUlS11_E_NS1_11comp_targetILNS1_3genE5ELNS1_11target_archE942ELNS1_3gpuE9ELNS1_3repE0EEENS1_30default_config_static_selectorELNS0_4arch9wavefront6targetE0EEEvT1_
		.amdhsa_group_segment_fixed_size 0
		.amdhsa_private_segment_fixed_size 0
		.amdhsa_kernarg_size 112
		.amdhsa_user_sgpr_count 6
		.amdhsa_user_sgpr_private_segment_buffer 1
		.amdhsa_user_sgpr_dispatch_ptr 0
		.amdhsa_user_sgpr_queue_ptr 0
		.amdhsa_user_sgpr_kernarg_segment_ptr 1
		.amdhsa_user_sgpr_dispatch_id 0
		.amdhsa_user_sgpr_flat_scratch_init 0
		.amdhsa_user_sgpr_private_segment_size 0
		.amdhsa_wavefront_size32 1
		.amdhsa_uses_dynamic_stack 0
		.amdhsa_system_sgpr_private_segment_wavefront_offset 0
		.amdhsa_system_sgpr_workgroup_id_x 1
		.amdhsa_system_sgpr_workgroup_id_y 0
		.amdhsa_system_sgpr_workgroup_id_z 0
		.amdhsa_system_sgpr_workgroup_info 0
		.amdhsa_system_vgpr_workitem_id 0
		.amdhsa_next_free_vgpr 1
		.amdhsa_next_free_sgpr 1
		.amdhsa_reserve_vcc 0
		.amdhsa_reserve_flat_scratch 0
		.amdhsa_float_round_mode_32 0
		.amdhsa_float_round_mode_16_64 0
		.amdhsa_float_denorm_mode_32 3
		.amdhsa_float_denorm_mode_16_64 3
		.amdhsa_dx10_clamp 1
		.amdhsa_ieee_mode 1
		.amdhsa_fp16_overflow 0
		.amdhsa_workgroup_processor_mode 1
		.amdhsa_memory_ordered 1
		.amdhsa_forward_progress 1
		.amdhsa_shared_vgpr_count 0
		.amdhsa_exception_fp_ieee_invalid_op 0
		.amdhsa_exception_fp_denorm_src 0
		.amdhsa_exception_fp_ieee_div_zero 0
		.amdhsa_exception_fp_ieee_overflow 0
		.amdhsa_exception_fp_ieee_underflow 0
		.amdhsa_exception_fp_ieee_inexact 0
		.amdhsa_exception_int_div_zero 0
	.end_amdhsa_kernel
	.section	.text._ZN7rocprim17ROCPRIM_400000_NS6detail17trampoline_kernelINS0_14default_configENS1_25partition_config_selectorILNS1_17partition_subalgoE8ElNS0_10empty_typeEbEEZZNS1_14partition_implILS5_8ELb0ES3_jPKlPS6_PKS6_NS0_5tupleIJPlS6_EEENSE_IJSB_SB_EEENS0_18inequality_wrapperIN6hipcub16HIPCUB_304000_NS8EqualityEEESF_JS6_EEE10hipError_tPvRmT3_T4_T5_T6_T7_T9_mT8_P12ihipStream_tbDpT10_ENKUlT_T0_E_clISt17integral_constantIbLb1EES15_IbLb0EEEEDaS11_S12_EUlS11_E_NS1_11comp_targetILNS1_3genE5ELNS1_11target_archE942ELNS1_3gpuE9ELNS1_3repE0EEENS1_30default_config_static_selectorELNS0_4arch9wavefront6targetE0EEEvT1_,"axG",@progbits,_ZN7rocprim17ROCPRIM_400000_NS6detail17trampoline_kernelINS0_14default_configENS1_25partition_config_selectorILNS1_17partition_subalgoE8ElNS0_10empty_typeEbEEZZNS1_14partition_implILS5_8ELb0ES3_jPKlPS6_PKS6_NS0_5tupleIJPlS6_EEENSE_IJSB_SB_EEENS0_18inequality_wrapperIN6hipcub16HIPCUB_304000_NS8EqualityEEESF_JS6_EEE10hipError_tPvRmT3_T4_T5_T6_T7_T9_mT8_P12ihipStream_tbDpT10_ENKUlT_T0_E_clISt17integral_constantIbLb1EES15_IbLb0EEEEDaS11_S12_EUlS11_E_NS1_11comp_targetILNS1_3genE5ELNS1_11target_archE942ELNS1_3gpuE9ELNS1_3repE0EEENS1_30default_config_static_selectorELNS0_4arch9wavefront6targetE0EEEvT1_,comdat
.Lfunc_end243:
	.size	_ZN7rocprim17ROCPRIM_400000_NS6detail17trampoline_kernelINS0_14default_configENS1_25partition_config_selectorILNS1_17partition_subalgoE8ElNS0_10empty_typeEbEEZZNS1_14partition_implILS5_8ELb0ES3_jPKlPS6_PKS6_NS0_5tupleIJPlS6_EEENSE_IJSB_SB_EEENS0_18inequality_wrapperIN6hipcub16HIPCUB_304000_NS8EqualityEEESF_JS6_EEE10hipError_tPvRmT3_T4_T5_T6_T7_T9_mT8_P12ihipStream_tbDpT10_ENKUlT_T0_E_clISt17integral_constantIbLb1EES15_IbLb0EEEEDaS11_S12_EUlS11_E_NS1_11comp_targetILNS1_3genE5ELNS1_11target_archE942ELNS1_3gpuE9ELNS1_3repE0EEENS1_30default_config_static_selectorELNS0_4arch9wavefront6targetE0EEEvT1_, .Lfunc_end243-_ZN7rocprim17ROCPRIM_400000_NS6detail17trampoline_kernelINS0_14default_configENS1_25partition_config_selectorILNS1_17partition_subalgoE8ElNS0_10empty_typeEbEEZZNS1_14partition_implILS5_8ELb0ES3_jPKlPS6_PKS6_NS0_5tupleIJPlS6_EEENSE_IJSB_SB_EEENS0_18inequality_wrapperIN6hipcub16HIPCUB_304000_NS8EqualityEEESF_JS6_EEE10hipError_tPvRmT3_T4_T5_T6_T7_T9_mT8_P12ihipStream_tbDpT10_ENKUlT_T0_E_clISt17integral_constantIbLb1EES15_IbLb0EEEEDaS11_S12_EUlS11_E_NS1_11comp_targetILNS1_3genE5ELNS1_11target_archE942ELNS1_3gpuE9ELNS1_3repE0EEENS1_30default_config_static_selectorELNS0_4arch9wavefront6targetE0EEEvT1_
                                        ; -- End function
	.set _ZN7rocprim17ROCPRIM_400000_NS6detail17trampoline_kernelINS0_14default_configENS1_25partition_config_selectorILNS1_17partition_subalgoE8ElNS0_10empty_typeEbEEZZNS1_14partition_implILS5_8ELb0ES3_jPKlPS6_PKS6_NS0_5tupleIJPlS6_EEENSE_IJSB_SB_EEENS0_18inequality_wrapperIN6hipcub16HIPCUB_304000_NS8EqualityEEESF_JS6_EEE10hipError_tPvRmT3_T4_T5_T6_T7_T9_mT8_P12ihipStream_tbDpT10_ENKUlT_T0_E_clISt17integral_constantIbLb1EES15_IbLb0EEEEDaS11_S12_EUlS11_E_NS1_11comp_targetILNS1_3genE5ELNS1_11target_archE942ELNS1_3gpuE9ELNS1_3repE0EEENS1_30default_config_static_selectorELNS0_4arch9wavefront6targetE0EEEvT1_.num_vgpr, 0
	.set _ZN7rocprim17ROCPRIM_400000_NS6detail17trampoline_kernelINS0_14default_configENS1_25partition_config_selectorILNS1_17partition_subalgoE8ElNS0_10empty_typeEbEEZZNS1_14partition_implILS5_8ELb0ES3_jPKlPS6_PKS6_NS0_5tupleIJPlS6_EEENSE_IJSB_SB_EEENS0_18inequality_wrapperIN6hipcub16HIPCUB_304000_NS8EqualityEEESF_JS6_EEE10hipError_tPvRmT3_T4_T5_T6_T7_T9_mT8_P12ihipStream_tbDpT10_ENKUlT_T0_E_clISt17integral_constantIbLb1EES15_IbLb0EEEEDaS11_S12_EUlS11_E_NS1_11comp_targetILNS1_3genE5ELNS1_11target_archE942ELNS1_3gpuE9ELNS1_3repE0EEENS1_30default_config_static_selectorELNS0_4arch9wavefront6targetE0EEEvT1_.num_agpr, 0
	.set _ZN7rocprim17ROCPRIM_400000_NS6detail17trampoline_kernelINS0_14default_configENS1_25partition_config_selectorILNS1_17partition_subalgoE8ElNS0_10empty_typeEbEEZZNS1_14partition_implILS5_8ELb0ES3_jPKlPS6_PKS6_NS0_5tupleIJPlS6_EEENSE_IJSB_SB_EEENS0_18inequality_wrapperIN6hipcub16HIPCUB_304000_NS8EqualityEEESF_JS6_EEE10hipError_tPvRmT3_T4_T5_T6_T7_T9_mT8_P12ihipStream_tbDpT10_ENKUlT_T0_E_clISt17integral_constantIbLb1EES15_IbLb0EEEEDaS11_S12_EUlS11_E_NS1_11comp_targetILNS1_3genE5ELNS1_11target_archE942ELNS1_3gpuE9ELNS1_3repE0EEENS1_30default_config_static_selectorELNS0_4arch9wavefront6targetE0EEEvT1_.numbered_sgpr, 0
	.set _ZN7rocprim17ROCPRIM_400000_NS6detail17trampoline_kernelINS0_14default_configENS1_25partition_config_selectorILNS1_17partition_subalgoE8ElNS0_10empty_typeEbEEZZNS1_14partition_implILS5_8ELb0ES3_jPKlPS6_PKS6_NS0_5tupleIJPlS6_EEENSE_IJSB_SB_EEENS0_18inequality_wrapperIN6hipcub16HIPCUB_304000_NS8EqualityEEESF_JS6_EEE10hipError_tPvRmT3_T4_T5_T6_T7_T9_mT8_P12ihipStream_tbDpT10_ENKUlT_T0_E_clISt17integral_constantIbLb1EES15_IbLb0EEEEDaS11_S12_EUlS11_E_NS1_11comp_targetILNS1_3genE5ELNS1_11target_archE942ELNS1_3gpuE9ELNS1_3repE0EEENS1_30default_config_static_selectorELNS0_4arch9wavefront6targetE0EEEvT1_.num_named_barrier, 0
	.set _ZN7rocprim17ROCPRIM_400000_NS6detail17trampoline_kernelINS0_14default_configENS1_25partition_config_selectorILNS1_17partition_subalgoE8ElNS0_10empty_typeEbEEZZNS1_14partition_implILS5_8ELb0ES3_jPKlPS6_PKS6_NS0_5tupleIJPlS6_EEENSE_IJSB_SB_EEENS0_18inequality_wrapperIN6hipcub16HIPCUB_304000_NS8EqualityEEESF_JS6_EEE10hipError_tPvRmT3_T4_T5_T6_T7_T9_mT8_P12ihipStream_tbDpT10_ENKUlT_T0_E_clISt17integral_constantIbLb1EES15_IbLb0EEEEDaS11_S12_EUlS11_E_NS1_11comp_targetILNS1_3genE5ELNS1_11target_archE942ELNS1_3gpuE9ELNS1_3repE0EEENS1_30default_config_static_selectorELNS0_4arch9wavefront6targetE0EEEvT1_.private_seg_size, 0
	.set _ZN7rocprim17ROCPRIM_400000_NS6detail17trampoline_kernelINS0_14default_configENS1_25partition_config_selectorILNS1_17partition_subalgoE8ElNS0_10empty_typeEbEEZZNS1_14partition_implILS5_8ELb0ES3_jPKlPS6_PKS6_NS0_5tupleIJPlS6_EEENSE_IJSB_SB_EEENS0_18inequality_wrapperIN6hipcub16HIPCUB_304000_NS8EqualityEEESF_JS6_EEE10hipError_tPvRmT3_T4_T5_T6_T7_T9_mT8_P12ihipStream_tbDpT10_ENKUlT_T0_E_clISt17integral_constantIbLb1EES15_IbLb0EEEEDaS11_S12_EUlS11_E_NS1_11comp_targetILNS1_3genE5ELNS1_11target_archE942ELNS1_3gpuE9ELNS1_3repE0EEENS1_30default_config_static_selectorELNS0_4arch9wavefront6targetE0EEEvT1_.uses_vcc, 0
	.set _ZN7rocprim17ROCPRIM_400000_NS6detail17trampoline_kernelINS0_14default_configENS1_25partition_config_selectorILNS1_17partition_subalgoE8ElNS0_10empty_typeEbEEZZNS1_14partition_implILS5_8ELb0ES3_jPKlPS6_PKS6_NS0_5tupleIJPlS6_EEENSE_IJSB_SB_EEENS0_18inequality_wrapperIN6hipcub16HIPCUB_304000_NS8EqualityEEESF_JS6_EEE10hipError_tPvRmT3_T4_T5_T6_T7_T9_mT8_P12ihipStream_tbDpT10_ENKUlT_T0_E_clISt17integral_constantIbLb1EES15_IbLb0EEEEDaS11_S12_EUlS11_E_NS1_11comp_targetILNS1_3genE5ELNS1_11target_archE942ELNS1_3gpuE9ELNS1_3repE0EEENS1_30default_config_static_selectorELNS0_4arch9wavefront6targetE0EEEvT1_.uses_flat_scratch, 0
	.set _ZN7rocprim17ROCPRIM_400000_NS6detail17trampoline_kernelINS0_14default_configENS1_25partition_config_selectorILNS1_17partition_subalgoE8ElNS0_10empty_typeEbEEZZNS1_14partition_implILS5_8ELb0ES3_jPKlPS6_PKS6_NS0_5tupleIJPlS6_EEENSE_IJSB_SB_EEENS0_18inequality_wrapperIN6hipcub16HIPCUB_304000_NS8EqualityEEESF_JS6_EEE10hipError_tPvRmT3_T4_T5_T6_T7_T9_mT8_P12ihipStream_tbDpT10_ENKUlT_T0_E_clISt17integral_constantIbLb1EES15_IbLb0EEEEDaS11_S12_EUlS11_E_NS1_11comp_targetILNS1_3genE5ELNS1_11target_archE942ELNS1_3gpuE9ELNS1_3repE0EEENS1_30default_config_static_selectorELNS0_4arch9wavefront6targetE0EEEvT1_.has_dyn_sized_stack, 0
	.set _ZN7rocprim17ROCPRIM_400000_NS6detail17trampoline_kernelINS0_14default_configENS1_25partition_config_selectorILNS1_17partition_subalgoE8ElNS0_10empty_typeEbEEZZNS1_14partition_implILS5_8ELb0ES3_jPKlPS6_PKS6_NS0_5tupleIJPlS6_EEENSE_IJSB_SB_EEENS0_18inequality_wrapperIN6hipcub16HIPCUB_304000_NS8EqualityEEESF_JS6_EEE10hipError_tPvRmT3_T4_T5_T6_T7_T9_mT8_P12ihipStream_tbDpT10_ENKUlT_T0_E_clISt17integral_constantIbLb1EES15_IbLb0EEEEDaS11_S12_EUlS11_E_NS1_11comp_targetILNS1_3genE5ELNS1_11target_archE942ELNS1_3gpuE9ELNS1_3repE0EEENS1_30default_config_static_selectorELNS0_4arch9wavefront6targetE0EEEvT1_.has_recursion, 0
	.set _ZN7rocprim17ROCPRIM_400000_NS6detail17trampoline_kernelINS0_14default_configENS1_25partition_config_selectorILNS1_17partition_subalgoE8ElNS0_10empty_typeEbEEZZNS1_14partition_implILS5_8ELb0ES3_jPKlPS6_PKS6_NS0_5tupleIJPlS6_EEENSE_IJSB_SB_EEENS0_18inequality_wrapperIN6hipcub16HIPCUB_304000_NS8EqualityEEESF_JS6_EEE10hipError_tPvRmT3_T4_T5_T6_T7_T9_mT8_P12ihipStream_tbDpT10_ENKUlT_T0_E_clISt17integral_constantIbLb1EES15_IbLb0EEEEDaS11_S12_EUlS11_E_NS1_11comp_targetILNS1_3genE5ELNS1_11target_archE942ELNS1_3gpuE9ELNS1_3repE0EEENS1_30default_config_static_selectorELNS0_4arch9wavefront6targetE0EEEvT1_.has_indirect_call, 0
	.section	.AMDGPU.csdata,"",@progbits
; Kernel info:
; codeLenInByte = 0
; TotalNumSgprs: 0
; NumVgprs: 0
; ScratchSize: 0
; MemoryBound: 0
; FloatMode: 240
; IeeeMode: 1
; LDSByteSize: 0 bytes/workgroup (compile time only)
; SGPRBlocks: 0
; VGPRBlocks: 0
; NumSGPRsForWavesPerEU: 1
; NumVGPRsForWavesPerEU: 1
; Occupancy: 16
; WaveLimiterHint : 0
; COMPUTE_PGM_RSRC2:SCRATCH_EN: 0
; COMPUTE_PGM_RSRC2:USER_SGPR: 6
; COMPUTE_PGM_RSRC2:TRAP_HANDLER: 0
; COMPUTE_PGM_RSRC2:TGID_X_EN: 1
; COMPUTE_PGM_RSRC2:TGID_Y_EN: 0
; COMPUTE_PGM_RSRC2:TGID_Z_EN: 0
; COMPUTE_PGM_RSRC2:TIDIG_COMP_CNT: 0
	.section	.text._ZN7rocprim17ROCPRIM_400000_NS6detail17trampoline_kernelINS0_14default_configENS1_25partition_config_selectorILNS1_17partition_subalgoE8ElNS0_10empty_typeEbEEZZNS1_14partition_implILS5_8ELb0ES3_jPKlPS6_PKS6_NS0_5tupleIJPlS6_EEENSE_IJSB_SB_EEENS0_18inequality_wrapperIN6hipcub16HIPCUB_304000_NS8EqualityEEESF_JS6_EEE10hipError_tPvRmT3_T4_T5_T6_T7_T9_mT8_P12ihipStream_tbDpT10_ENKUlT_T0_E_clISt17integral_constantIbLb1EES15_IbLb0EEEEDaS11_S12_EUlS11_E_NS1_11comp_targetILNS1_3genE4ELNS1_11target_archE910ELNS1_3gpuE8ELNS1_3repE0EEENS1_30default_config_static_selectorELNS0_4arch9wavefront6targetE0EEEvT1_,"axG",@progbits,_ZN7rocprim17ROCPRIM_400000_NS6detail17trampoline_kernelINS0_14default_configENS1_25partition_config_selectorILNS1_17partition_subalgoE8ElNS0_10empty_typeEbEEZZNS1_14partition_implILS5_8ELb0ES3_jPKlPS6_PKS6_NS0_5tupleIJPlS6_EEENSE_IJSB_SB_EEENS0_18inequality_wrapperIN6hipcub16HIPCUB_304000_NS8EqualityEEESF_JS6_EEE10hipError_tPvRmT3_T4_T5_T6_T7_T9_mT8_P12ihipStream_tbDpT10_ENKUlT_T0_E_clISt17integral_constantIbLb1EES15_IbLb0EEEEDaS11_S12_EUlS11_E_NS1_11comp_targetILNS1_3genE4ELNS1_11target_archE910ELNS1_3gpuE8ELNS1_3repE0EEENS1_30default_config_static_selectorELNS0_4arch9wavefront6targetE0EEEvT1_,comdat
	.protected	_ZN7rocprim17ROCPRIM_400000_NS6detail17trampoline_kernelINS0_14default_configENS1_25partition_config_selectorILNS1_17partition_subalgoE8ElNS0_10empty_typeEbEEZZNS1_14partition_implILS5_8ELb0ES3_jPKlPS6_PKS6_NS0_5tupleIJPlS6_EEENSE_IJSB_SB_EEENS0_18inequality_wrapperIN6hipcub16HIPCUB_304000_NS8EqualityEEESF_JS6_EEE10hipError_tPvRmT3_T4_T5_T6_T7_T9_mT8_P12ihipStream_tbDpT10_ENKUlT_T0_E_clISt17integral_constantIbLb1EES15_IbLb0EEEEDaS11_S12_EUlS11_E_NS1_11comp_targetILNS1_3genE4ELNS1_11target_archE910ELNS1_3gpuE8ELNS1_3repE0EEENS1_30default_config_static_selectorELNS0_4arch9wavefront6targetE0EEEvT1_ ; -- Begin function _ZN7rocprim17ROCPRIM_400000_NS6detail17trampoline_kernelINS0_14default_configENS1_25partition_config_selectorILNS1_17partition_subalgoE8ElNS0_10empty_typeEbEEZZNS1_14partition_implILS5_8ELb0ES3_jPKlPS6_PKS6_NS0_5tupleIJPlS6_EEENSE_IJSB_SB_EEENS0_18inequality_wrapperIN6hipcub16HIPCUB_304000_NS8EqualityEEESF_JS6_EEE10hipError_tPvRmT3_T4_T5_T6_T7_T9_mT8_P12ihipStream_tbDpT10_ENKUlT_T0_E_clISt17integral_constantIbLb1EES15_IbLb0EEEEDaS11_S12_EUlS11_E_NS1_11comp_targetILNS1_3genE4ELNS1_11target_archE910ELNS1_3gpuE8ELNS1_3repE0EEENS1_30default_config_static_selectorELNS0_4arch9wavefront6targetE0EEEvT1_
	.globl	_ZN7rocprim17ROCPRIM_400000_NS6detail17trampoline_kernelINS0_14default_configENS1_25partition_config_selectorILNS1_17partition_subalgoE8ElNS0_10empty_typeEbEEZZNS1_14partition_implILS5_8ELb0ES3_jPKlPS6_PKS6_NS0_5tupleIJPlS6_EEENSE_IJSB_SB_EEENS0_18inequality_wrapperIN6hipcub16HIPCUB_304000_NS8EqualityEEESF_JS6_EEE10hipError_tPvRmT3_T4_T5_T6_T7_T9_mT8_P12ihipStream_tbDpT10_ENKUlT_T0_E_clISt17integral_constantIbLb1EES15_IbLb0EEEEDaS11_S12_EUlS11_E_NS1_11comp_targetILNS1_3genE4ELNS1_11target_archE910ELNS1_3gpuE8ELNS1_3repE0EEENS1_30default_config_static_selectorELNS0_4arch9wavefront6targetE0EEEvT1_
	.p2align	8
	.type	_ZN7rocprim17ROCPRIM_400000_NS6detail17trampoline_kernelINS0_14default_configENS1_25partition_config_selectorILNS1_17partition_subalgoE8ElNS0_10empty_typeEbEEZZNS1_14partition_implILS5_8ELb0ES3_jPKlPS6_PKS6_NS0_5tupleIJPlS6_EEENSE_IJSB_SB_EEENS0_18inequality_wrapperIN6hipcub16HIPCUB_304000_NS8EqualityEEESF_JS6_EEE10hipError_tPvRmT3_T4_T5_T6_T7_T9_mT8_P12ihipStream_tbDpT10_ENKUlT_T0_E_clISt17integral_constantIbLb1EES15_IbLb0EEEEDaS11_S12_EUlS11_E_NS1_11comp_targetILNS1_3genE4ELNS1_11target_archE910ELNS1_3gpuE8ELNS1_3repE0EEENS1_30default_config_static_selectorELNS0_4arch9wavefront6targetE0EEEvT1_,@function
_ZN7rocprim17ROCPRIM_400000_NS6detail17trampoline_kernelINS0_14default_configENS1_25partition_config_selectorILNS1_17partition_subalgoE8ElNS0_10empty_typeEbEEZZNS1_14partition_implILS5_8ELb0ES3_jPKlPS6_PKS6_NS0_5tupleIJPlS6_EEENSE_IJSB_SB_EEENS0_18inequality_wrapperIN6hipcub16HIPCUB_304000_NS8EqualityEEESF_JS6_EEE10hipError_tPvRmT3_T4_T5_T6_T7_T9_mT8_P12ihipStream_tbDpT10_ENKUlT_T0_E_clISt17integral_constantIbLb1EES15_IbLb0EEEEDaS11_S12_EUlS11_E_NS1_11comp_targetILNS1_3genE4ELNS1_11target_archE910ELNS1_3gpuE8ELNS1_3repE0EEENS1_30default_config_static_selectorELNS0_4arch9wavefront6targetE0EEEvT1_: ; @_ZN7rocprim17ROCPRIM_400000_NS6detail17trampoline_kernelINS0_14default_configENS1_25partition_config_selectorILNS1_17partition_subalgoE8ElNS0_10empty_typeEbEEZZNS1_14partition_implILS5_8ELb0ES3_jPKlPS6_PKS6_NS0_5tupleIJPlS6_EEENSE_IJSB_SB_EEENS0_18inequality_wrapperIN6hipcub16HIPCUB_304000_NS8EqualityEEESF_JS6_EEE10hipError_tPvRmT3_T4_T5_T6_T7_T9_mT8_P12ihipStream_tbDpT10_ENKUlT_T0_E_clISt17integral_constantIbLb1EES15_IbLb0EEEEDaS11_S12_EUlS11_E_NS1_11comp_targetILNS1_3genE4ELNS1_11target_archE910ELNS1_3gpuE8ELNS1_3repE0EEENS1_30default_config_static_selectorELNS0_4arch9wavefront6targetE0EEEvT1_
; %bb.0:
	.section	.rodata,"a",@progbits
	.p2align	6, 0x0
	.amdhsa_kernel _ZN7rocprim17ROCPRIM_400000_NS6detail17trampoline_kernelINS0_14default_configENS1_25partition_config_selectorILNS1_17partition_subalgoE8ElNS0_10empty_typeEbEEZZNS1_14partition_implILS5_8ELb0ES3_jPKlPS6_PKS6_NS0_5tupleIJPlS6_EEENSE_IJSB_SB_EEENS0_18inequality_wrapperIN6hipcub16HIPCUB_304000_NS8EqualityEEESF_JS6_EEE10hipError_tPvRmT3_T4_T5_T6_T7_T9_mT8_P12ihipStream_tbDpT10_ENKUlT_T0_E_clISt17integral_constantIbLb1EES15_IbLb0EEEEDaS11_S12_EUlS11_E_NS1_11comp_targetILNS1_3genE4ELNS1_11target_archE910ELNS1_3gpuE8ELNS1_3repE0EEENS1_30default_config_static_selectorELNS0_4arch9wavefront6targetE0EEEvT1_
		.amdhsa_group_segment_fixed_size 0
		.amdhsa_private_segment_fixed_size 0
		.amdhsa_kernarg_size 112
		.amdhsa_user_sgpr_count 6
		.amdhsa_user_sgpr_private_segment_buffer 1
		.amdhsa_user_sgpr_dispatch_ptr 0
		.amdhsa_user_sgpr_queue_ptr 0
		.amdhsa_user_sgpr_kernarg_segment_ptr 1
		.amdhsa_user_sgpr_dispatch_id 0
		.amdhsa_user_sgpr_flat_scratch_init 0
		.amdhsa_user_sgpr_private_segment_size 0
		.amdhsa_wavefront_size32 1
		.amdhsa_uses_dynamic_stack 0
		.amdhsa_system_sgpr_private_segment_wavefront_offset 0
		.amdhsa_system_sgpr_workgroup_id_x 1
		.amdhsa_system_sgpr_workgroup_id_y 0
		.amdhsa_system_sgpr_workgroup_id_z 0
		.amdhsa_system_sgpr_workgroup_info 0
		.amdhsa_system_vgpr_workitem_id 0
		.amdhsa_next_free_vgpr 1
		.amdhsa_next_free_sgpr 1
		.amdhsa_reserve_vcc 0
		.amdhsa_reserve_flat_scratch 0
		.amdhsa_float_round_mode_32 0
		.amdhsa_float_round_mode_16_64 0
		.amdhsa_float_denorm_mode_32 3
		.amdhsa_float_denorm_mode_16_64 3
		.amdhsa_dx10_clamp 1
		.amdhsa_ieee_mode 1
		.amdhsa_fp16_overflow 0
		.amdhsa_workgroup_processor_mode 1
		.amdhsa_memory_ordered 1
		.amdhsa_forward_progress 1
		.amdhsa_shared_vgpr_count 0
		.amdhsa_exception_fp_ieee_invalid_op 0
		.amdhsa_exception_fp_denorm_src 0
		.amdhsa_exception_fp_ieee_div_zero 0
		.amdhsa_exception_fp_ieee_overflow 0
		.amdhsa_exception_fp_ieee_underflow 0
		.amdhsa_exception_fp_ieee_inexact 0
		.amdhsa_exception_int_div_zero 0
	.end_amdhsa_kernel
	.section	.text._ZN7rocprim17ROCPRIM_400000_NS6detail17trampoline_kernelINS0_14default_configENS1_25partition_config_selectorILNS1_17partition_subalgoE8ElNS0_10empty_typeEbEEZZNS1_14partition_implILS5_8ELb0ES3_jPKlPS6_PKS6_NS0_5tupleIJPlS6_EEENSE_IJSB_SB_EEENS0_18inequality_wrapperIN6hipcub16HIPCUB_304000_NS8EqualityEEESF_JS6_EEE10hipError_tPvRmT3_T4_T5_T6_T7_T9_mT8_P12ihipStream_tbDpT10_ENKUlT_T0_E_clISt17integral_constantIbLb1EES15_IbLb0EEEEDaS11_S12_EUlS11_E_NS1_11comp_targetILNS1_3genE4ELNS1_11target_archE910ELNS1_3gpuE8ELNS1_3repE0EEENS1_30default_config_static_selectorELNS0_4arch9wavefront6targetE0EEEvT1_,"axG",@progbits,_ZN7rocprim17ROCPRIM_400000_NS6detail17trampoline_kernelINS0_14default_configENS1_25partition_config_selectorILNS1_17partition_subalgoE8ElNS0_10empty_typeEbEEZZNS1_14partition_implILS5_8ELb0ES3_jPKlPS6_PKS6_NS0_5tupleIJPlS6_EEENSE_IJSB_SB_EEENS0_18inequality_wrapperIN6hipcub16HIPCUB_304000_NS8EqualityEEESF_JS6_EEE10hipError_tPvRmT3_T4_T5_T6_T7_T9_mT8_P12ihipStream_tbDpT10_ENKUlT_T0_E_clISt17integral_constantIbLb1EES15_IbLb0EEEEDaS11_S12_EUlS11_E_NS1_11comp_targetILNS1_3genE4ELNS1_11target_archE910ELNS1_3gpuE8ELNS1_3repE0EEENS1_30default_config_static_selectorELNS0_4arch9wavefront6targetE0EEEvT1_,comdat
.Lfunc_end244:
	.size	_ZN7rocprim17ROCPRIM_400000_NS6detail17trampoline_kernelINS0_14default_configENS1_25partition_config_selectorILNS1_17partition_subalgoE8ElNS0_10empty_typeEbEEZZNS1_14partition_implILS5_8ELb0ES3_jPKlPS6_PKS6_NS0_5tupleIJPlS6_EEENSE_IJSB_SB_EEENS0_18inequality_wrapperIN6hipcub16HIPCUB_304000_NS8EqualityEEESF_JS6_EEE10hipError_tPvRmT3_T4_T5_T6_T7_T9_mT8_P12ihipStream_tbDpT10_ENKUlT_T0_E_clISt17integral_constantIbLb1EES15_IbLb0EEEEDaS11_S12_EUlS11_E_NS1_11comp_targetILNS1_3genE4ELNS1_11target_archE910ELNS1_3gpuE8ELNS1_3repE0EEENS1_30default_config_static_selectorELNS0_4arch9wavefront6targetE0EEEvT1_, .Lfunc_end244-_ZN7rocprim17ROCPRIM_400000_NS6detail17trampoline_kernelINS0_14default_configENS1_25partition_config_selectorILNS1_17partition_subalgoE8ElNS0_10empty_typeEbEEZZNS1_14partition_implILS5_8ELb0ES3_jPKlPS6_PKS6_NS0_5tupleIJPlS6_EEENSE_IJSB_SB_EEENS0_18inequality_wrapperIN6hipcub16HIPCUB_304000_NS8EqualityEEESF_JS6_EEE10hipError_tPvRmT3_T4_T5_T6_T7_T9_mT8_P12ihipStream_tbDpT10_ENKUlT_T0_E_clISt17integral_constantIbLb1EES15_IbLb0EEEEDaS11_S12_EUlS11_E_NS1_11comp_targetILNS1_3genE4ELNS1_11target_archE910ELNS1_3gpuE8ELNS1_3repE0EEENS1_30default_config_static_selectorELNS0_4arch9wavefront6targetE0EEEvT1_
                                        ; -- End function
	.set _ZN7rocprim17ROCPRIM_400000_NS6detail17trampoline_kernelINS0_14default_configENS1_25partition_config_selectorILNS1_17partition_subalgoE8ElNS0_10empty_typeEbEEZZNS1_14partition_implILS5_8ELb0ES3_jPKlPS6_PKS6_NS0_5tupleIJPlS6_EEENSE_IJSB_SB_EEENS0_18inequality_wrapperIN6hipcub16HIPCUB_304000_NS8EqualityEEESF_JS6_EEE10hipError_tPvRmT3_T4_T5_T6_T7_T9_mT8_P12ihipStream_tbDpT10_ENKUlT_T0_E_clISt17integral_constantIbLb1EES15_IbLb0EEEEDaS11_S12_EUlS11_E_NS1_11comp_targetILNS1_3genE4ELNS1_11target_archE910ELNS1_3gpuE8ELNS1_3repE0EEENS1_30default_config_static_selectorELNS0_4arch9wavefront6targetE0EEEvT1_.num_vgpr, 0
	.set _ZN7rocprim17ROCPRIM_400000_NS6detail17trampoline_kernelINS0_14default_configENS1_25partition_config_selectorILNS1_17partition_subalgoE8ElNS0_10empty_typeEbEEZZNS1_14partition_implILS5_8ELb0ES3_jPKlPS6_PKS6_NS0_5tupleIJPlS6_EEENSE_IJSB_SB_EEENS0_18inequality_wrapperIN6hipcub16HIPCUB_304000_NS8EqualityEEESF_JS6_EEE10hipError_tPvRmT3_T4_T5_T6_T7_T9_mT8_P12ihipStream_tbDpT10_ENKUlT_T0_E_clISt17integral_constantIbLb1EES15_IbLb0EEEEDaS11_S12_EUlS11_E_NS1_11comp_targetILNS1_3genE4ELNS1_11target_archE910ELNS1_3gpuE8ELNS1_3repE0EEENS1_30default_config_static_selectorELNS0_4arch9wavefront6targetE0EEEvT1_.num_agpr, 0
	.set _ZN7rocprim17ROCPRIM_400000_NS6detail17trampoline_kernelINS0_14default_configENS1_25partition_config_selectorILNS1_17partition_subalgoE8ElNS0_10empty_typeEbEEZZNS1_14partition_implILS5_8ELb0ES3_jPKlPS6_PKS6_NS0_5tupleIJPlS6_EEENSE_IJSB_SB_EEENS0_18inequality_wrapperIN6hipcub16HIPCUB_304000_NS8EqualityEEESF_JS6_EEE10hipError_tPvRmT3_T4_T5_T6_T7_T9_mT8_P12ihipStream_tbDpT10_ENKUlT_T0_E_clISt17integral_constantIbLb1EES15_IbLb0EEEEDaS11_S12_EUlS11_E_NS1_11comp_targetILNS1_3genE4ELNS1_11target_archE910ELNS1_3gpuE8ELNS1_3repE0EEENS1_30default_config_static_selectorELNS0_4arch9wavefront6targetE0EEEvT1_.numbered_sgpr, 0
	.set _ZN7rocprim17ROCPRIM_400000_NS6detail17trampoline_kernelINS0_14default_configENS1_25partition_config_selectorILNS1_17partition_subalgoE8ElNS0_10empty_typeEbEEZZNS1_14partition_implILS5_8ELb0ES3_jPKlPS6_PKS6_NS0_5tupleIJPlS6_EEENSE_IJSB_SB_EEENS0_18inequality_wrapperIN6hipcub16HIPCUB_304000_NS8EqualityEEESF_JS6_EEE10hipError_tPvRmT3_T4_T5_T6_T7_T9_mT8_P12ihipStream_tbDpT10_ENKUlT_T0_E_clISt17integral_constantIbLb1EES15_IbLb0EEEEDaS11_S12_EUlS11_E_NS1_11comp_targetILNS1_3genE4ELNS1_11target_archE910ELNS1_3gpuE8ELNS1_3repE0EEENS1_30default_config_static_selectorELNS0_4arch9wavefront6targetE0EEEvT1_.num_named_barrier, 0
	.set _ZN7rocprim17ROCPRIM_400000_NS6detail17trampoline_kernelINS0_14default_configENS1_25partition_config_selectorILNS1_17partition_subalgoE8ElNS0_10empty_typeEbEEZZNS1_14partition_implILS5_8ELb0ES3_jPKlPS6_PKS6_NS0_5tupleIJPlS6_EEENSE_IJSB_SB_EEENS0_18inequality_wrapperIN6hipcub16HIPCUB_304000_NS8EqualityEEESF_JS6_EEE10hipError_tPvRmT3_T4_T5_T6_T7_T9_mT8_P12ihipStream_tbDpT10_ENKUlT_T0_E_clISt17integral_constantIbLb1EES15_IbLb0EEEEDaS11_S12_EUlS11_E_NS1_11comp_targetILNS1_3genE4ELNS1_11target_archE910ELNS1_3gpuE8ELNS1_3repE0EEENS1_30default_config_static_selectorELNS0_4arch9wavefront6targetE0EEEvT1_.private_seg_size, 0
	.set _ZN7rocprim17ROCPRIM_400000_NS6detail17trampoline_kernelINS0_14default_configENS1_25partition_config_selectorILNS1_17partition_subalgoE8ElNS0_10empty_typeEbEEZZNS1_14partition_implILS5_8ELb0ES3_jPKlPS6_PKS6_NS0_5tupleIJPlS6_EEENSE_IJSB_SB_EEENS0_18inequality_wrapperIN6hipcub16HIPCUB_304000_NS8EqualityEEESF_JS6_EEE10hipError_tPvRmT3_T4_T5_T6_T7_T9_mT8_P12ihipStream_tbDpT10_ENKUlT_T0_E_clISt17integral_constantIbLb1EES15_IbLb0EEEEDaS11_S12_EUlS11_E_NS1_11comp_targetILNS1_3genE4ELNS1_11target_archE910ELNS1_3gpuE8ELNS1_3repE0EEENS1_30default_config_static_selectorELNS0_4arch9wavefront6targetE0EEEvT1_.uses_vcc, 0
	.set _ZN7rocprim17ROCPRIM_400000_NS6detail17trampoline_kernelINS0_14default_configENS1_25partition_config_selectorILNS1_17partition_subalgoE8ElNS0_10empty_typeEbEEZZNS1_14partition_implILS5_8ELb0ES3_jPKlPS6_PKS6_NS0_5tupleIJPlS6_EEENSE_IJSB_SB_EEENS0_18inequality_wrapperIN6hipcub16HIPCUB_304000_NS8EqualityEEESF_JS6_EEE10hipError_tPvRmT3_T4_T5_T6_T7_T9_mT8_P12ihipStream_tbDpT10_ENKUlT_T0_E_clISt17integral_constantIbLb1EES15_IbLb0EEEEDaS11_S12_EUlS11_E_NS1_11comp_targetILNS1_3genE4ELNS1_11target_archE910ELNS1_3gpuE8ELNS1_3repE0EEENS1_30default_config_static_selectorELNS0_4arch9wavefront6targetE0EEEvT1_.uses_flat_scratch, 0
	.set _ZN7rocprim17ROCPRIM_400000_NS6detail17trampoline_kernelINS0_14default_configENS1_25partition_config_selectorILNS1_17partition_subalgoE8ElNS0_10empty_typeEbEEZZNS1_14partition_implILS5_8ELb0ES3_jPKlPS6_PKS6_NS0_5tupleIJPlS6_EEENSE_IJSB_SB_EEENS0_18inequality_wrapperIN6hipcub16HIPCUB_304000_NS8EqualityEEESF_JS6_EEE10hipError_tPvRmT3_T4_T5_T6_T7_T9_mT8_P12ihipStream_tbDpT10_ENKUlT_T0_E_clISt17integral_constantIbLb1EES15_IbLb0EEEEDaS11_S12_EUlS11_E_NS1_11comp_targetILNS1_3genE4ELNS1_11target_archE910ELNS1_3gpuE8ELNS1_3repE0EEENS1_30default_config_static_selectorELNS0_4arch9wavefront6targetE0EEEvT1_.has_dyn_sized_stack, 0
	.set _ZN7rocprim17ROCPRIM_400000_NS6detail17trampoline_kernelINS0_14default_configENS1_25partition_config_selectorILNS1_17partition_subalgoE8ElNS0_10empty_typeEbEEZZNS1_14partition_implILS5_8ELb0ES3_jPKlPS6_PKS6_NS0_5tupleIJPlS6_EEENSE_IJSB_SB_EEENS0_18inequality_wrapperIN6hipcub16HIPCUB_304000_NS8EqualityEEESF_JS6_EEE10hipError_tPvRmT3_T4_T5_T6_T7_T9_mT8_P12ihipStream_tbDpT10_ENKUlT_T0_E_clISt17integral_constantIbLb1EES15_IbLb0EEEEDaS11_S12_EUlS11_E_NS1_11comp_targetILNS1_3genE4ELNS1_11target_archE910ELNS1_3gpuE8ELNS1_3repE0EEENS1_30default_config_static_selectorELNS0_4arch9wavefront6targetE0EEEvT1_.has_recursion, 0
	.set _ZN7rocprim17ROCPRIM_400000_NS6detail17trampoline_kernelINS0_14default_configENS1_25partition_config_selectorILNS1_17partition_subalgoE8ElNS0_10empty_typeEbEEZZNS1_14partition_implILS5_8ELb0ES3_jPKlPS6_PKS6_NS0_5tupleIJPlS6_EEENSE_IJSB_SB_EEENS0_18inequality_wrapperIN6hipcub16HIPCUB_304000_NS8EqualityEEESF_JS6_EEE10hipError_tPvRmT3_T4_T5_T6_T7_T9_mT8_P12ihipStream_tbDpT10_ENKUlT_T0_E_clISt17integral_constantIbLb1EES15_IbLb0EEEEDaS11_S12_EUlS11_E_NS1_11comp_targetILNS1_3genE4ELNS1_11target_archE910ELNS1_3gpuE8ELNS1_3repE0EEENS1_30default_config_static_selectorELNS0_4arch9wavefront6targetE0EEEvT1_.has_indirect_call, 0
	.section	.AMDGPU.csdata,"",@progbits
; Kernel info:
; codeLenInByte = 0
; TotalNumSgprs: 0
; NumVgprs: 0
; ScratchSize: 0
; MemoryBound: 0
; FloatMode: 240
; IeeeMode: 1
; LDSByteSize: 0 bytes/workgroup (compile time only)
; SGPRBlocks: 0
; VGPRBlocks: 0
; NumSGPRsForWavesPerEU: 1
; NumVGPRsForWavesPerEU: 1
; Occupancy: 16
; WaveLimiterHint : 0
; COMPUTE_PGM_RSRC2:SCRATCH_EN: 0
; COMPUTE_PGM_RSRC2:USER_SGPR: 6
; COMPUTE_PGM_RSRC2:TRAP_HANDLER: 0
; COMPUTE_PGM_RSRC2:TGID_X_EN: 1
; COMPUTE_PGM_RSRC2:TGID_Y_EN: 0
; COMPUTE_PGM_RSRC2:TGID_Z_EN: 0
; COMPUTE_PGM_RSRC2:TIDIG_COMP_CNT: 0
	.section	.text._ZN7rocprim17ROCPRIM_400000_NS6detail17trampoline_kernelINS0_14default_configENS1_25partition_config_selectorILNS1_17partition_subalgoE8ElNS0_10empty_typeEbEEZZNS1_14partition_implILS5_8ELb0ES3_jPKlPS6_PKS6_NS0_5tupleIJPlS6_EEENSE_IJSB_SB_EEENS0_18inequality_wrapperIN6hipcub16HIPCUB_304000_NS8EqualityEEESF_JS6_EEE10hipError_tPvRmT3_T4_T5_T6_T7_T9_mT8_P12ihipStream_tbDpT10_ENKUlT_T0_E_clISt17integral_constantIbLb1EES15_IbLb0EEEEDaS11_S12_EUlS11_E_NS1_11comp_targetILNS1_3genE3ELNS1_11target_archE908ELNS1_3gpuE7ELNS1_3repE0EEENS1_30default_config_static_selectorELNS0_4arch9wavefront6targetE0EEEvT1_,"axG",@progbits,_ZN7rocprim17ROCPRIM_400000_NS6detail17trampoline_kernelINS0_14default_configENS1_25partition_config_selectorILNS1_17partition_subalgoE8ElNS0_10empty_typeEbEEZZNS1_14partition_implILS5_8ELb0ES3_jPKlPS6_PKS6_NS0_5tupleIJPlS6_EEENSE_IJSB_SB_EEENS0_18inequality_wrapperIN6hipcub16HIPCUB_304000_NS8EqualityEEESF_JS6_EEE10hipError_tPvRmT3_T4_T5_T6_T7_T9_mT8_P12ihipStream_tbDpT10_ENKUlT_T0_E_clISt17integral_constantIbLb1EES15_IbLb0EEEEDaS11_S12_EUlS11_E_NS1_11comp_targetILNS1_3genE3ELNS1_11target_archE908ELNS1_3gpuE7ELNS1_3repE0EEENS1_30default_config_static_selectorELNS0_4arch9wavefront6targetE0EEEvT1_,comdat
	.protected	_ZN7rocprim17ROCPRIM_400000_NS6detail17trampoline_kernelINS0_14default_configENS1_25partition_config_selectorILNS1_17partition_subalgoE8ElNS0_10empty_typeEbEEZZNS1_14partition_implILS5_8ELb0ES3_jPKlPS6_PKS6_NS0_5tupleIJPlS6_EEENSE_IJSB_SB_EEENS0_18inequality_wrapperIN6hipcub16HIPCUB_304000_NS8EqualityEEESF_JS6_EEE10hipError_tPvRmT3_T4_T5_T6_T7_T9_mT8_P12ihipStream_tbDpT10_ENKUlT_T0_E_clISt17integral_constantIbLb1EES15_IbLb0EEEEDaS11_S12_EUlS11_E_NS1_11comp_targetILNS1_3genE3ELNS1_11target_archE908ELNS1_3gpuE7ELNS1_3repE0EEENS1_30default_config_static_selectorELNS0_4arch9wavefront6targetE0EEEvT1_ ; -- Begin function _ZN7rocprim17ROCPRIM_400000_NS6detail17trampoline_kernelINS0_14default_configENS1_25partition_config_selectorILNS1_17partition_subalgoE8ElNS0_10empty_typeEbEEZZNS1_14partition_implILS5_8ELb0ES3_jPKlPS6_PKS6_NS0_5tupleIJPlS6_EEENSE_IJSB_SB_EEENS0_18inequality_wrapperIN6hipcub16HIPCUB_304000_NS8EqualityEEESF_JS6_EEE10hipError_tPvRmT3_T4_T5_T6_T7_T9_mT8_P12ihipStream_tbDpT10_ENKUlT_T0_E_clISt17integral_constantIbLb1EES15_IbLb0EEEEDaS11_S12_EUlS11_E_NS1_11comp_targetILNS1_3genE3ELNS1_11target_archE908ELNS1_3gpuE7ELNS1_3repE0EEENS1_30default_config_static_selectorELNS0_4arch9wavefront6targetE0EEEvT1_
	.globl	_ZN7rocprim17ROCPRIM_400000_NS6detail17trampoline_kernelINS0_14default_configENS1_25partition_config_selectorILNS1_17partition_subalgoE8ElNS0_10empty_typeEbEEZZNS1_14partition_implILS5_8ELb0ES3_jPKlPS6_PKS6_NS0_5tupleIJPlS6_EEENSE_IJSB_SB_EEENS0_18inequality_wrapperIN6hipcub16HIPCUB_304000_NS8EqualityEEESF_JS6_EEE10hipError_tPvRmT3_T4_T5_T6_T7_T9_mT8_P12ihipStream_tbDpT10_ENKUlT_T0_E_clISt17integral_constantIbLb1EES15_IbLb0EEEEDaS11_S12_EUlS11_E_NS1_11comp_targetILNS1_3genE3ELNS1_11target_archE908ELNS1_3gpuE7ELNS1_3repE0EEENS1_30default_config_static_selectorELNS0_4arch9wavefront6targetE0EEEvT1_
	.p2align	8
	.type	_ZN7rocprim17ROCPRIM_400000_NS6detail17trampoline_kernelINS0_14default_configENS1_25partition_config_selectorILNS1_17partition_subalgoE8ElNS0_10empty_typeEbEEZZNS1_14partition_implILS5_8ELb0ES3_jPKlPS6_PKS6_NS0_5tupleIJPlS6_EEENSE_IJSB_SB_EEENS0_18inequality_wrapperIN6hipcub16HIPCUB_304000_NS8EqualityEEESF_JS6_EEE10hipError_tPvRmT3_T4_T5_T6_T7_T9_mT8_P12ihipStream_tbDpT10_ENKUlT_T0_E_clISt17integral_constantIbLb1EES15_IbLb0EEEEDaS11_S12_EUlS11_E_NS1_11comp_targetILNS1_3genE3ELNS1_11target_archE908ELNS1_3gpuE7ELNS1_3repE0EEENS1_30default_config_static_selectorELNS0_4arch9wavefront6targetE0EEEvT1_,@function
_ZN7rocprim17ROCPRIM_400000_NS6detail17trampoline_kernelINS0_14default_configENS1_25partition_config_selectorILNS1_17partition_subalgoE8ElNS0_10empty_typeEbEEZZNS1_14partition_implILS5_8ELb0ES3_jPKlPS6_PKS6_NS0_5tupleIJPlS6_EEENSE_IJSB_SB_EEENS0_18inequality_wrapperIN6hipcub16HIPCUB_304000_NS8EqualityEEESF_JS6_EEE10hipError_tPvRmT3_T4_T5_T6_T7_T9_mT8_P12ihipStream_tbDpT10_ENKUlT_T0_E_clISt17integral_constantIbLb1EES15_IbLb0EEEEDaS11_S12_EUlS11_E_NS1_11comp_targetILNS1_3genE3ELNS1_11target_archE908ELNS1_3gpuE7ELNS1_3repE0EEENS1_30default_config_static_selectorELNS0_4arch9wavefront6targetE0EEEvT1_: ; @_ZN7rocprim17ROCPRIM_400000_NS6detail17trampoline_kernelINS0_14default_configENS1_25partition_config_selectorILNS1_17partition_subalgoE8ElNS0_10empty_typeEbEEZZNS1_14partition_implILS5_8ELb0ES3_jPKlPS6_PKS6_NS0_5tupleIJPlS6_EEENSE_IJSB_SB_EEENS0_18inequality_wrapperIN6hipcub16HIPCUB_304000_NS8EqualityEEESF_JS6_EEE10hipError_tPvRmT3_T4_T5_T6_T7_T9_mT8_P12ihipStream_tbDpT10_ENKUlT_T0_E_clISt17integral_constantIbLb1EES15_IbLb0EEEEDaS11_S12_EUlS11_E_NS1_11comp_targetILNS1_3genE3ELNS1_11target_archE908ELNS1_3gpuE7ELNS1_3repE0EEENS1_30default_config_static_selectorELNS0_4arch9wavefront6targetE0EEEvT1_
; %bb.0:
	.section	.rodata,"a",@progbits
	.p2align	6, 0x0
	.amdhsa_kernel _ZN7rocprim17ROCPRIM_400000_NS6detail17trampoline_kernelINS0_14default_configENS1_25partition_config_selectorILNS1_17partition_subalgoE8ElNS0_10empty_typeEbEEZZNS1_14partition_implILS5_8ELb0ES3_jPKlPS6_PKS6_NS0_5tupleIJPlS6_EEENSE_IJSB_SB_EEENS0_18inequality_wrapperIN6hipcub16HIPCUB_304000_NS8EqualityEEESF_JS6_EEE10hipError_tPvRmT3_T4_T5_T6_T7_T9_mT8_P12ihipStream_tbDpT10_ENKUlT_T0_E_clISt17integral_constantIbLb1EES15_IbLb0EEEEDaS11_S12_EUlS11_E_NS1_11comp_targetILNS1_3genE3ELNS1_11target_archE908ELNS1_3gpuE7ELNS1_3repE0EEENS1_30default_config_static_selectorELNS0_4arch9wavefront6targetE0EEEvT1_
		.amdhsa_group_segment_fixed_size 0
		.amdhsa_private_segment_fixed_size 0
		.amdhsa_kernarg_size 112
		.amdhsa_user_sgpr_count 6
		.amdhsa_user_sgpr_private_segment_buffer 1
		.amdhsa_user_sgpr_dispatch_ptr 0
		.amdhsa_user_sgpr_queue_ptr 0
		.amdhsa_user_sgpr_kernarg_segment_ptr 1
		.amdhsa_user_sgpr_dispatch_id 0
		.amdhsa_user_sgpr_flat_scratch_init 0
		.amdhsa_user_sgpr_private_segment_size 0
		.amdhsa_wavefront_size32 1
		.amdhsa_uses_dynamic_stack 0
		.amdhsa_system_sgpr_private_segment_wavefront_offset 0
		.amdhsa_system_sgpr_workgroup_id_x 1
		.amdhsa_system_sgpr_workgroup_id_y 0
		.amdhsa_system_sgpr_workgroup_id_z 0
		.amdhsa_system_sgpr_workgroup_info 0
		.amdhsa_system_vgpr_workitem_id 0
		.amdhsa_next_free_vgpr 1
		.amdhsa_next_free_sgpr 1
		.amdhsa_reserve_vcc 0
		.amdhsa_reserve_flat_scratch 0
		.amdhsa_float_round_mode_32 0
		.amdhsa_float_round_mode_16_64 0
		.amdhsa_float_denorm_mode_32 3
		.amdhsa_float_denorm_mode_16_64 3
		.amdhsa_dx10_clamp 1
		.amdhsa_ieee_mode 1
		.amdhsa_fp16_overflow 0
		.amdhsa_workgroup_processor_mode 1
		.amdhsa_memory_ordered 1
		.amdhsa_forward_progress 1
		.amdhsa_shared_vgpr_count 0
		.amdhsa_exception_fp_ieee_invalid_op 0
		.amdhsa_exception_fp_denorm_src 0
		.amdhsa_exception_fp_ieee_div_zero 0
		.amdhsa_exception_fp_ieee_overflow 0
		.amdhsa_exception_fp_ieee_underflow 0
		.amdhsa_exception_fp_ieee_inexact 0
		.amdhsa_exception_int_div_zero 0
	.end_amdhsa_kernel
	.section	.text._ZN7rocprim17ROCPRIM_400000_NS6detail17trampoline_kernelINS0_14default_configENS1_25partition_config_selectorILNS1_17partition_subalgoE8ElNS0_10empty_typeEbEEZZNS1_14partition_implILS5_8ELb0ES3_jPKlPS6_PKS6_NS0_5tupleIJPlS6_EEENSE_IJSB_SB_EEENS0_18inequality_wrapperIN6hipcub16HIPCUB_304000_NS8EqualityEEESF_JS6_EEE10hipError_tPvRmT3_T4_T5_T6_T7_T9_mT8_P12ihipStream_tbDpT10_ENKUlT_T0_E_clISt17integral_constantIbLb1EES15_IbLb0EEEEDaS11_S12_EUlS11_E_NS1_11comp_targetILNS1_3genE3ELNS1_11target_archE908ELNS1_3gpuE7ELNS1_3repE0EEENS1_30default_config_static_selectorELNS0_4arch9wavefront6targetE0EEEvT1_,"axG",@progbits,_ZN7rocprim17ROCPRIM_400000_NS6detail17trampoline_kernelINS0_14default_configENS1_25partition_config_selectorILNS1_17partition_subalgoE8ElNS0_10empty_typeEbEEZZNS1_14partition_implILS5_8ELb0ES3_jPKlPS6_PKS6_NS0_5tupleIJPlS6_EEENSE_IJSB_SB_EEENS0_18inequality_wrapperIN6hipcub16HIPCUB_304000_NS8EqualityEEESF_JS6_EEE10hipError_tPvRmT3_T4_T5_T6_T7_T9_mT8_P12ihipStream_tbDpT10_ENKUlT_T0_E_clISt17integral_constantIbLb1EES15_IbLb0EEEEDaS11_S12_EUlS11_E_NS1_11comp_targetILNS1_3genE3ELNS1_11target_archE908ELNS1_3gpuE7ELNS1_3repE0EEENS1_30default_config_static_selectorELNS0_4arch9wavefront6targetE0EEEvT1_,comdat
.Lfunc_end245:
	.size	_ZN7rocprim17ROCPRIM_400000_NS6detail17trampoline_kernelINS0_14default_configENS1_25partition_config_selectorILNS1_17partition_subalgoE8ElNS0_10empty_typeEbEEZZNS1_14partition_implILS5_8ELb0ES3_jPKlPS6_PKS6_NS0_5tupleIJPlS6_EEENSE_IJSB_SB_EEENS0_18inequality_wrapperIN6hipcub16HIPCUB_304000_NS8EqualityEEESF_JS6_EEE10hipError_tPvRmT3_T4_T5_T6_T7_T9_mT8_P12ihipStream_tbDpT10_ENKUlT_T0_E_clISt17integral_constantIbLb1EES15_IbLb0EEEEDaS11_S12_EUlS11_E_NS1_11comp_targetILNS1_3genE3ELNS1_11target_archE908ELNS1_3gpuE7ELNS1_3repE0EEENS1_30default_config_static_selectorELNS0_4arch9wavefront6targetE0EEEvT1_, .Lfunc_end245-_ZN7rocprim17ROCPRIM_400000_NS6detail17trampoline_kernelINS0_14default_configENS1_25partition_config_selectorILNS1_17partition_subalgoE8ElNS0_10empty_typeEbEEZZNS1_14partition_implILS5_8ELb0ES3_jPKlPS6_PKS6_NS0_5tupleIJPlS6_EEENSE_IJSB_SB_EEENS0_18inequality_wrapperIN6hipcub16HIPCUB_304000_NS8EqualityEEESF_JS6_EEE10hipError_tPvRmT3_T4_T5_T6_T7_T9_mT8_P12ihipStream_tbDpT10_ENKUlT_T0_E_clISt17integral_constantIbLb1EES15_IbLb0EEEEDaS11_S12_EUlS11_E_NS1_11comp_targetILNS1_3genE3ELNS1_11target_archE908ELNS1_3gpuE7ELNS1_3repE0EEENS1_30default_config_static_selectorELNS0_4arch9wavefront6targetE0EEEvT1_
                                        ; -- End function
	.set _ZN7rocprim17ROCPRIM_400000_NS6detail17trampoline_kernelINS0_14default_configENS1_25partition_config_selectorILNS1_17partition_subalgoE8ElNS0_10empty_typeEbEEZZNS1_14partition_implILS5_8ELb0ES3_jPKlPS6_PKS6_NS0_5tupleIJPlS6_EEENSE_IJSB_SB_EEENS0_18inequality_wrapperIN6hipcub16HIPCUB_304000_NS8EqualityEEESF_JS6_EEE10hipError_tPvRmT3_T4_T5_T6_T7_T9_mT8_P12ihipStream_tbDpT10_ENKUlT_T0_E_clISt17integral_constantIbLb1EES15_IbLb0EEEEDaS11_S12_EUlS11_E_NS1_11comp_targetILNS1_3genE3ELNS1_11target_archE908ELNS1_3gpuE7ELNS1_3repE0EEENS1_30default_config_static_selectorELNS0_4arch9wavefront6targetE0EEEvT1_.num_vgpr, 0
	.set _ZN7rocprim17ROCPRIM_400000_NS6detail17trampoline_kernelINS0_14default_configENS1_25partition_config_selectorILNS1_17partition_subalgoE8ElNS0_10empty_typeEbEEZZNS1_14partition_implILS5_8ELb0ES3_jPKlPS6_PKS6_NS0_5tupleIJPlS6_EEENSE_IJSB_SB_EEENS0_18inequality_wrapperIN6hipcub16HIPCUB_304000_NS8EqualityEEESF_JS6_EEE10hipError_tPvRmT3_T4_T5_T6_T7_T9_mT8_P12ihipStream_tbDpT10_ENKUlT_T0_E_clISt17integral_constantIbLb1EES15_IbLb0EEEEDaS11_S12_EUlS11_E_NS1_11comp_targetILNS1_3genE3ELNS1_11target_archE908ELNS1_3gpuE7ELNS1_3repE0EEENS1_30default_config_static_selectorELNS0_4arch9wavefront6targetE0EEEvT1_.num_agpr, 0
	.set _ZN7rocprim17ROCPRIM_400000_NS6detail17trampoline_kernelINS0_14default_configENS1_25partition_config_selectorILNS1_17partition_subalgoE8ElNS0_10empty_typeEbEEZZNS1_14partition_implILS5_8ELb0ES3_jPKlPS6_PKS6_NS0_5tupleIJPlS6_EEENSE_IJSB_SB_EEENS0_18inequality_wrapperIN6hipcub16HIPCUB_304000_NS8EqualityEEESF_JS6_EEE10hipError_tPvRmT3_T4_T5_T6_T7_T9_mT8_P12ihipStream_tbDpT10_ENKUlT_T0_E_clISt17integral_constantIbLb1EES15_IbLb0EEEEDaS11_S12_EUlS11_E_NS1_11comp_targetILNS1_3genE3ELNS1_11target_archE908ELNS1_3gpuE7ELNS1_3repE0EEENS1_30default_config_static_selectorELNS0_4arch9wavefront6targetE0EEEvT1_.numbered_sgpr, 0
	.set _ZN7rocprim17ROCPRIM_400000_NS6detail17trampoline_kernelINS0_14default_configENS1_25partition_config_selectorILNS1_17partition_subalgoE8ElNS0_10empty_typeEbEEZZNS1_14partition_implILS5_8ELb0ES3_jPKlPS6_PKS6_NS0_5tupleIJPlS6_EEENSE_IJSB_SB_EEENS0_18inequality_wrapperIN6hipcub16HIPCUB_304000_NS8EqualityEEESF_JS6_EEE10hipError_tPvRmT3_T4_T5_T6_T7_T9_mT8_P12ihipStream_tbDpT10_ENKUlT_T0_E_clISt17integral_constantIbLb1EES15_IbLb0EEEEDaS11_S12_EUlS11_E_NS1_11comp_targetILNS1_3genE3ELNS1_11target_archE908ELNS1_3gpuE7ELNS1_3repE0EEENS1_30default_config_static_selectorELNS0_4arch9wavefront6targetE0EEEvT1_.num_named_barrier, 0
	.set _ZN7rocprim17ROCPRIM_400000_NS6detail17trampoline_kernelINS0_14default_configENS1_25partition_config_selectorILNS1_17partition_subalgoE8ElNS0_10empty_typeEbEEZZNS1_14partition_implILS5_8ELb0ES3_jPKlPS6_PKS6_NS0_5tupleIJPlS6_EEENSE_IJSB_SB_EEENS0_18inequality_wrapperIN6hipcub16HIPCUB_304000_NS8EqualityEEESF_JS6_EEE10hipError_tPvRmT3_T4_T5_T6_T7_T9_mT8_P12ihipStream_tbDpT10_ENKUlT_T0_E_clISt17integral_constantIbLb1EES15_IbLb0EEEEDaS11_S12_EUlS11_E_NS1_11comp_targetILNS1_3genE3ELNS1_11target_archE908ELNS1_3gpuE7ELNS1_3repE0EEENS1_30default_config_static_selectorELNS0_4arch9wavefront6targetE0EEEvT1_.private_seg_size, 0
	.set _ZN7rocprim17ROCPRIM_400000_NS6detail17trampoline_kernelINS0_14default_configENS1_25partition_config_selectorILNS1_17partition_subalgoE8ElNS0_10empty_typeEbEEZZNS1_14partition_implILS5_8ELb0ES3_jPKlPS6_PKS6_NS0_5tupleIJPlS6_EEENSE_IJSB_SB_EEENS0_18inequality_wrapperIN6hipcub16HIPCUB_304000_NS8EqualityEEESF_JS6_EEE10hipError_tPvRmT3_T4_T5_T6_T7_T9_mT8_P12ihipStream_tbDpT10_ENKUlT_T0_E_clISt17integral_constantIbLb1EES15_IbLb0EEEEDaS11_S12_EUlS11_E_NS1_11comp_targetILNS1_3genE3ELNS1_11target_archE908ELNS1_3gpuE7ELNS1_3repE0EEENS1_30default_config_static_selectorELNS0_4arch9wavefront6targetE0EEEvT1_.uses_vcc, 0
	.set _ZN7rocprim17ROCPRIM_400000_NS6detail17trampoline_kernelINS0_14default_configENS1_25partition_config_selectorILNS1_17partition_subalgoE8ElNS0_10empty_typeEbEEZZNS1_14partition_implILS5_8ELb0ES3_jPKlPS6_PKS6_NS0_5tupleIJPlS6_EEENSE_IJSB_SB_EEENS0_18inequality_wrapperIN6hipcub16HIPCUB_304000_NS8EqualityEEESF_JS6_EEE10hipError_tPvRmT3_T4_T5_T6_T7_T9_mT8_P12ihipStream_tbDpT10_ENKUlT_T0_E_clISt17integral_constantIbLb1EES15_IbLb0EEEEDaS11_S12_EUlS11_E_NS1_11comp_targetILNS1_3genE3ELNS1_11target_archE908ELNS1_3gpuE7ELNS1_3repE0EEENS1_30default_config_static_selectorELNS0_4arch9wavefront6targetE0EEEvT1_.uses_flat_scratch, 0
	.set _ZN7rocprim17ROCPRIM_400000_NS6detail17trampoline_kernelINS0_14default_configENS1_25partition_config_selectorILNS1_17partition_subalgoE8ElNS0_10empty_typeEbEEZZNS1_14partition_implILS5_8ELb0ES3_jPKlPS6_PKS6_NS0_5tupleIJPlS6_EEENSE_IJSB_SB_EEENS0_18inequality_wrapperIN6hipcub16HIPCUB_304000_NS8EqualityEEESF_JS6_EEE10hipError_tPvRmT3_T4_T5_T6_T7_T9_mT8_P12ihipStream_tbDpT10_ENKUlT_T0_E_clISt17integral_constantIbLb1EES15_IbLb0EEEEDaS11_S12_EUlS11_E_NS1_11comp_targetILNS1_3genE3ELNS1_11target_archE908ELNS1_3gpuE7ELNS1_3repE0EEENS1_30default_config_static_selectorELNS0_4arch9wavefront6targetE0EEEvT1_.has_dyn_sized_stack, 0
	.set _ZN7rocprim17ROCPRIM_400000_NS6detail17trampoline_kernelINS0_14default_configENS1_25partition_config_selectorILNS1_17partition_subalgoE8ElNS0_10empty_typeEbEEZZNS1_14partition_implILS5_8ELb0ES3_jPKlPS6_PKS6_NS0_5tupleIJPlS6_EEENSE_IJSB_SB_EEENS0_18inequality_wrapperIN6hipcub16HIPCUB_304000_NS8EqualityEEESF_JS6_EEE10hipError_tPvRmT3_T4_T5_T6_T7_T9_mT8_P12ihipStream_tbDpT10_ENKUlT_T0_E_clISt17integral_constantIbLb1EES15_IbLb0EEEEDaS11_S12_EUlS11_E_NS1_11comp_targetILNS1_3genE3ELNS1_11target_archE908ELNS1_3gpuE7ELNS1_3repE0EEENS1_30default_config_static_selectorELNS0_4arch9wavefront6targetE0EEEvT1_.has_recursion, 0
	.set _ZN7rocprim17ROCPRIM_400000_NS6detail17trampoline_kernelINS0_14default_configENS1_25partition_config_selectorILNS1_17partition_subalgoE8ElNS0_10empty_typeEbEEZZNS1_14partition_implILS5_8ELb0ES3_jPKlPS6_PKS6_NS0_5tupleIJPlS6_EEENSE_IJSB_SB_EEENS0_18inequality_wrapperIN6hipcub16HIPCUB_304000_NS8EqualityEEESF_JS6_EEE10hipError_tPvRmT3_T4_T5_T6_T7_T9_mT8_P12ihipStream_tbDpT10_ENKUlT_T0_E_clISt17integral_constantIbLb1EES15_IbLb0EEEEDaS11_S12_EUlS11_E_NS1_11comp_targetILNS1_3genE3ELNS1_11target_archE908ELNS1_3gpuE7ELNS1_3repE0EEENS1_30default_config_static_selectorELNS0_4arch9wavefront6targetE0EEEvT1_.has_indirect_call, 0
	.section	.AMDGPU.csdata,"",@progbits
; Kernel info:
; codeLenInByte = 0
; TotalNumSgprs: 0
; NumVgprs: 0
; ScratchSize: 0
; MemoryBound: 0
; FloatMode: 240
; IeeeMode: 1
; LDSByteSize: 0 bytes/workgroup (compile time only)
; SGPRBlocks: 0
; VGPRBlocks: 0
; NumSGPRsForWavesPerEU: 1
; NumVGPRsForWavesPerEU: 1
; Occupancy: 16
; WaveLimiterHint : 0
; COMPUTE_PGM_RSRC2:SCRATCH_EN: 0
; COMPUTE_PGM_RSRC2:USER_SGPR: 6
; COMPUTE_PGM_RSRC2:TRAP_HANDLER: 0
; COMPUTE_PGM_RSRC2:TGID_X_EN: 1
; COMPUTE_PGM_RSRC2:TGID_Y_EN: 0
; COMPUTE_PGM_RSRC2:TGID_Z_EN: 0
; COMPUTE_PGM_RSRC2:TIDIG_COMP_CNT: 0
	.section	.text._ZN7rocprim17ROCPRIM_400000_NS6detail17trampoline_kernelINS0_14default_configENS1_25partition_config_selectorILNS1_17partition_subalgoE8ElNS0_10empty_typeEbEEZZNS1_14partition_implILS5_8ELb0ES3_jPKlPS6_PKS6_NS0_5tupleIJPlS6_EEENSE_IJSB_SB_EEENS0_18inequality_wrapperIN6hipcub16HIPCUB_304000_NS8EqualityEEESF_JS6_EEE10hipError_tPvRmT3_T4_T5_T6_T7_T9_mT8_P12ihipStream_tbDpT10_ENKUlT_T0_E_clISt17integral_constantIbLb1EES15_IbLb0EEEEDaS11_S12_EUlS11_E_NS1_11comp_targetILNS1_3genE2ELNS1_11target_archE906ELNS1_3gpuE6ELNS1_3repE0EEENS1_30default_config_static_selectorELNS0_4arch9wavefront6targetE0EEEvT1_,"axG",@progbits,_ZN7rocprim17ROCPRIM_400000_NS6detail17trampoline_kernelINS0_14default_configENS1_25partition_config_selectorILNS1_17partition_subalgoE8ElNS0_10empty_typeEbEEZZNS1_14partition_implILS5_8ELb0ES3_jPKlPS6_PKS6_NS0_5tupleIJPlS6_EEENSE_IJSB_SB_EEENS0_18inequality_wrapperIN6hipcub16HIPCUB_304000_NS8EqualityEEESF_JS6_EEE10hipError_tPvRmT3_T4_T5_T6_T7_T9_mT8_P12ihipStream_tbDpT10_ENKUlT_T0_E_clISt17integral_constantIbLb1EES15_IbLb0EEEEDaS11_S12_EUlS11_E_NS1_11comp_targetILNS1_3genE2ELNS1_11target_archE906ELNS1_3gpuE6ELNS1_3repE0EEENS1_30default_config_static_selectorELNS0_4arch9wavefront6targetE0EEEvT1_,comdat
	.protected	_ZN7rocprim17ROCPRIM_400000_NS6detail17trampoline_kernelINS0_14default_configENS1_25partition_config_selectorILNS1_17partition_subalgoE8ElNS0_10empty_typeEbEEZZNS1_14partition_implILS5_8ELb0ES3_jPKlPS6_PKS6_NS0_5tupleIJPlS6_EEENSE_IJSB_SB_EEENS0_18inequality_wrapperIN6hipcub16HIPCUB_304000_NS8EqualityEEESF_JS6_EEE10hipError_tPvRmT3_T4_T5_T6_T7_T9_mT8_P12ihipStream_tbDpT10_ENKUlT_T0_E_clISt17integral_constantIbLb1EES15_IbLb0EEEEDaS11_S12_EUlS11_E_NS1_11comp_targetILNS1_3genE2ELNS1_11target_archE906ELNS1_3gpuE6ELNS1_3repE0EEENS1_30default_config_static_selectorELNS0_4arch9wavefront6targetE0EEEvT1_ ; -- Begin function _ZN7rocprim17ROCPRIM_400000_NS6detail17trampoline_kernelINS0_14default_configENS1_25partition_config_selectorILNS1_17partition_subalgoE8ElNS0_10empty_typeEbEEZZNS1_14partition_implILS5_8ELb0ES3_jPKlPS6_PKS6_NS0_5tupleIJPlS6_EEENSE_IJSB_SB_EEENS0_18inequality_wrapperIN6hipcub16HIPCUB_304000_NS8EqualityEEESF_JS6_EEE10hipError_tPvRmT3_T4_T5_T6_T7_T9_mT8_P12ihipStream_tbDpT10_ENKUlT_T0_E_clISt17integral_constantIbLb1EES15_IbLb0EEEEDaS11_S12_EUlS11_E_NS1_11comp_targetILNS1_3genE2ELNS1_11target_archE906ELNS1_3gpuE6ELNS1_3repE0EEENS1_30default_config_static_selectorELNS0_4arch9wavefront6targetE0EEEvT1_
	.globl	_ZN7rocprim17ROCPRIM_400000_NS6detail17trampoline_kernelINS0_14default_configENS1_25partition_config_selectorILNS1_17partition_subalgoE8ElNS0_10empty_typeEbEEZZNS1_14partition_implILS5_8ELb0ES3_jPKlPS6_PKS6_NS0_5tupleIJPlS6_EEENSE_IJSB_SB_EEENS0_18inequality_wrapperIN6hipcub16HIPCUB_304000_NS8EqualityEEESF_JS6_EEE10hipError_tPvRmT3_T4_T5_T6_T7_T9_mT8_P12ihipStream_tbDpT10_ENKUlT_T0_E_clISt17integral_constantIbLb1EES15_IbLb0EEEEDaS11_S12_EUlS11_E_NS1_11comp_targetILNS1_3genE2ELNS1_11target_archE906ELNS1_3gpuE6ELNS1_3repE0EEENS1_30default_config_static_selectorELNS0_4arch9wavefront6targetE0EEEvT1_
	.p2align	8
	.type	_ZN7rocprim17ROCPRIM_400000_NS6detail17trampoline_kernelINS0_14default_configENS1_25partition_config_selectorILNS1_17partition_subalgoE8ElNS0_10empty_typeEbEEZZNS1_14partition_implILS5_8ELb0ES3_jPKlPS6_PKS6_NS0_5tupleIJPlS6_EEENSE_IJSB_SB_EEENS0_18inequality_wrapperIN6hipcub16HIPCUB_304000_NS8EqualityEEESF_JS6_EEE10hipError_tPvRmT3_T4_T5_T6_T7_T9_mT8_P12ihipStream_tbDpT10_ENKUlT_T0_E_clISt17integral_constantIbLb1EES15_IbLb0EEEEDaS11_S12_EUlS11_E_NS1_11comp_targetILNS1_3genE2ELNS1_11target_archE906ELNS1_3gpuE6ELNS1_3repE0EEENS1_30default_config_static_selectorELNS0_4arch9wavefront6targetE0EEEvT1_,@function
_ZN7rocprim17ROCPRIM_400000_NS6detail17trampoline_kernelINS0_14default_configENS1_25partition_config_selectorILNS1_17partition_subalgoE8ElNS0_10empty_typeEbEEZZNS1_14partition_implILS5_8ELb0ES3_jPKlPS6_PKS6_NS0_5tupleIJPlS6_EEENSE_IJSB_SB_EEENS0_18inequality_wrapperIN6hipcub16HIPCUB_304000_NS8EqualityEEESF_JS6_EEE10hipError_tPvRmT3_T4_T5_T6_T7_T9_mT8_P12ihipStream_tbDpT10_ENKUlT_T0_E_clISt17integral_constantIbLb1EES15_IbLb0EEEEDaS11_S12_EUlS11_E_NS1_11comp_targetILNS1_3genE2ELNS1_11target_archE906ELNS1_3gpuE6ELNS1_3repE0EEENS1_30default_config_static_selectorELNS0_4arch9wavefront6targetE0EEEvT1_: ; @_ZN7rocprim17ROCPRIM_400000_NS6detail17trampoline_kernelINS0_14default_configENS1_25partition_config_selectorILNS1_17partition_subalgoE8ElNS0_10empty_typeEbEEZZNS1_14partition_implILS5_8ELb0ES3_jPKlPS6_PKS6_NS0_5tupleIJPlS6_EEENSE_IJSB_SB_EEENS0_18inequality_wrapperIN6hipcub16HIPCUB_304000_NS8EqualityEEESF_JS6_EEE10hipError_tPvRmT3_T4_T5_T6_T7_T9_mT8_P12ihipStream_tbDpT10_ENKUlT_T0_E_clISt17integral_constantIbLb1EES15_IbLb0EEEEDaS11_S12_EUlS11_E_NS1_11comp_targetILNS1_3genE2ELNS1_11target_archE906ELNS1_3gpuE6ELNS1_3repE0EEENS1_30default_config_static_selectorELNS0_4arch9wavefront6targetE0EEEvT1_
; %bb.0:
	.section	.rodata,"a",@progbits
	.p2align	6, 0x0
	.amdhsa_kernel _ZN7rocprim17ROCPRIM_400000_NS6detail17trampoline_kernelINS0_14default_configENS1_25partition_config_selectorILNS1_17partition_subalgoE8ElNS0_10empty_typeEbEEZZNS1_14partition_implILS5_8ELb0ES3_jPKlPS6_PKS6_NS0_5tupleIJPlS6_EEENSE_IJSB_SB_EEENS0_18inequality_wrapperIN6hipcub16HIPCUB_304000_NS8EqualityEEESF_JS6_EEE10hipError_tPvRmT3_T4_T5_T6_T7_T9_mT8_P12ihipStream_tbDpT10_ENKUlT_T0_E_clISt17integral_constantIbLb1EES15_IbLb0EEEEDaS11_S12_EUlS11_E_NS1_11comp_targetILNS1_3genE2ELNS1_11target_archE906ELNS1_3gpuE6ELNS1_3repE0EEENS1_30default_config_static_selectorELNS0_4arch9wavefront6targetE0EEEvT1_
		.amdhsa_group_segment_fixed_size 0
		.amdhsa_private_segment_fixed_size 0
		.amdhsa_kernarg_size 112
		.amdhsa_user_sgpr_count 6
		.amdhsa_user_sgpr_private_segment_buffer 1
		.amdhsa_user_sgpr_dispatch_ptr 0
		.amdhsa_user_sgpr_queue_ptr 0
		.amdhsa_user_sgpr_kernarg_segment_ptr 1
		.amdhsa_user_sgpr_dispatch_id 0
		.amdhsa_user_sgpr_flat_scratch_init 0
		.amdhsa_user_sgpr_private_segment_size 0
		.amdhsa_wavefront_size32 1
		.amdhsa_uses_dynamic_stack 0
		.amdhsa_system_sgpr_private_segment_wavefront_offset 0
		.amdhsa_system_sgpr_workgroup_id_x 1
		.amdhsa_system_sgpr_workgroup_id_y 0
		.amdhsa_system_sgpr_workgroup_id_z 0
		.amdhsa_system_sgpr_workgroup_info 0
		.amdhsa_system_vgpr_workitem_id 0
		.amdhsa_next_free_vgpr 1
		.amdhsa_next_free_sgpr 1
		.amdhsa_reserve_vcc 0
		.amdhsa_reserve_flat_scratch 0
		.amdhsa_float_round_mode_32 0
		.amdhsa_float_round_mode_16_64 0
		.amdhsa_float_denorm_mode_32 3
		.amdhsa_float_denorm_mode_16_64 3
		.amdhsa_dx10_clamp 1
		.amdhsa_ieee_mode 1
		.amdhsa_fp16_overflow 0
		.amdhsa_workgroup_processor_mode 1
		.amdhsa_memory_ordered 1
		.amdhsa_forward_progress 1
		.amdhsa_shared_vgpr_count 0
		.amdhsa_exception_fp_ieee_invalid_op 0
		.amdhsa_exception_fp_denorm_src 0
		.amdhsa_exception_fp_ieee_div_zero 0
		.amdhsa_exception_fp_ieee_overflow 0
		.amdhsa_exception_fp_ieee_underflow 0
		.amdhsa_exception_fp_ieee_inexact 0
		.amdhsa_exception_int_div_zero 0
	.end_amdhsa_kernel
	.section	.text._ZN7rocprim17ROCPRIM_400000_NS6detail17trampoline_kernelINS0_14default_configENS1_25partition_config_selectorILNS1_17partition_subalgoE8ElNS0_10empty_typeEbEEZZNS1_14partition_implILS5_8ELb0ES3_jPKlPS6_PKS6_NS0_5tupleIJPlS6_EEENSE_IJSB_SB_EEENS0_18inequality_wrapperIN6hipcub16HIPCUB_304000_NS8EqualityEEESF_JS6_EEE10hipError_tPvRmT3_T4_T5_T6_T7_T9_mT8_P12ihipStream_tbDpT10_ENKUlT_T0_E_clISt17integral_constantIbLb1EES15_IbLb0EEEEDaS11_S12_EUlS11_E_NS1_11comp_targetILNS1_3genE2ELNS1_11target_archE906ELNS1_3gpuE6ELNS1_3repE0EEENS1_30default_config_static_selectorELNS0_4arch9wavefront6targetE0EEEvT1_,"axG",@progbits,_ZN7rocprim17ROCPRIM_400000_NS6detail17trampoline_kernelINS0_14default_configENS1_25partition_config_selectorILNS1_17partition_subalgoE8ElNS0_10empty_typeEbEEZZNS1_14partition_implILS5_8ELb0ES3_jPKlPS6_PKS6_NS0_5tupleIJPlS6_EEENSE_IJSB_SB_EEENS0_18inequality_wrapperIN6hipcub16HIPCUB_304000_NS8EqualityEEESF_JS6_EEE10hipError_tPvRmT3_T4_T5_T6_T7_T9_mT8_P12ihipStream_tbDpT10_ENKUlT_T0_E_clISt17integral_constantIbLb1EES15_IbLb0EEEEDaS11_S12_EUlS11_E_NS1_11comp_targetILNS1_3genE2ELNS1_11target_archE906ELNS1_3gpuE6ELNS1_3repE0EEENS1_30default_config_static_selectorELNS0_4arch9wavefront6targetE0EEEvT1_,comdat
.Lfunc_end246:
	.size	_ZN7rocprim17ROCPRIM_400000_NS6detail17trampoline_kernelINS0_14default_configENS1_25partition_config_selectorILNS1_17partition_subalgoE8ElNS0_10empty_typeEbEEZZNS1_14partition_implILS5_8ELb0ES3_jPKlPS6_PKS6_NS0_5tupleIJPlS6_EEENSE_IJSB_SB_EEENS0_18inequality_wrapperIN6hipcub16HIPCUB_304000_NS8EqualityEEESF_JS6_EEE10hipError_tPvRmT3_T4_T5_T6_T7_T9_mT8_P12ihipStream_tbDpT10_ENKUlT_T0_E_clISt17integral_constantIbLb1EES15_IbLb0EEEEDaS11_S12_EUlS11_E_NS1_11comp_targetILNS1_3genE2ELNS1_11target_archE906ELNS1_3gpuE6ELNS1_3repE0EEENS1_30default_config_static_selectorELNS0_4arch9wavefront6targetE0EEEvT1_, .Lfunc_end246-_ZN7rocprim17ROCPRIM_400000_NS6detail17trampoline_kernelINS0_14default_configENS1_25partition_config_selectorILNS1_17partition_subalgoE8ElNS0_10empty_typeEbEEZZNS1_14partition_implILS5_8ELb0ES3_jPKlPS6_PKS6_NS0_5tupleIJPlS6_EEENSE_IJSB_SB_EEENS0_18inequality_wrapperIN6hipcub16HIPCUB_304000_NS8EqualityEEESF_JS6_EEE10hipError_tPvRmT3_T4_T5_T6_T7_T9_mT8_P12ihipStream_tbDpT10_ENKUlT_T0_E_clISt17integral_constantIbLb1EES15_IbLb0EEEEDaS11_S12_EUlS11_E_NS1_11comp_targetILNS1_3genE2ELNS1_11target_archE906ELNS1_3gpuE6ELNS1_3repE0EEENS1_30default_config_static_selectorELNS0_4arch9wavefront6targetE0EEEvT1_
                                        ; -- End function
	.set _ZN7rocprim17ROCPRIM_400000_NS6detail17trampoline_kernelINS0_14default_configENS1_25partition_config_selectorILNS1_17partition_subalgoE8ElNS0_10empty_typeEbEEZZNS1_14partition_implILS5_8ELb0ES3_jPKlPS6_PKS6_NS0_5tupleIJPlS6_EEENSE_IJSB_SB_EEENS0_18inequality_wrapperIN6hipcub16HIPCUB_304000_NS8EqualityEEESF_JS6_EEE10hipError_tPvRmT3_T4_T5_T6_T7_T9_mT8_P12ihipStream_tbDpT10_ENKUlT_T0_E_clISt17integral_constantIbLb1EES15_IbLb0EEEEDaS11_S12_EUlS11_E_NS1_11comp_targetILNS1_3genE2ELNS1_11target_archE906ELNS1_3gpuE6ELNS1_3repE0EEENS1_30default_config_static_selectorELNS0_4arch9wavefront6targetE0EEEvT1_.num_vgpr, 0
	.set _ZN7rocprim17ROCPRIM_400000_NS6detail17trampoline_kernelINS0_14default_configENS1_25partition_config_selectorILNS1_17partition_subalgoE8ElNS0_10empty_typeEbEEZZNS1_14partition_implILS5_8ELb0ES3_jPKlPS6_PKS6_NS0_5tupleIJPlS6_EEENSE_IJSB_SB_EEENS0_18inequality_wrapperIN6hipcub16HIPCUB_304000_NS8EqualityEEESF_JS6_EEE10hipError_tPvRmT3_T4_T5_T6_T7_T9_mT8_P12ihipStream_tbDpT10_ENKUlT_T0_E_clISt17integral_constantIbLb1EES15_IbLb0EEEEDaS11_S12_EUlS11_E_NS1_11comp_targetILNS1_3genE2ELNS1_11target_archE906ELNS1_3gpuE6ELNS1_3repE0EEENS1_30default_config_static_selectorELNS0_4arch9wavefront6targetE0EEEvT1_.num_agpr, 0
	.set _ZN7rocprim17ROCPRIM_400000_NS6detail17trampoline_kernelINS0_14default_configENS1_25partition_config_selectorILNS1_17partition_subalgoE8ElNS0_10empty_typeEbEEZZNS1_14partition_implILS5_8ELb0ES3_jPKlPS6_PKS6_NS0_5tupleIJPlS6_EEENSE_IJSB_SB_EEENS0_18inequality_wrapperIN6hipcub16HIPCUB_304000_NS8EqualityEEESF_JS6_EEE10hipError_tPvRmT3_T4_T5_T6_T7_T9_mT8_P12ihipStream_tbDpT10_ENKUlT_T0_E_clISt17integral_constantIbLb1EES15_IbLb0EEEEDaS11_S12_EUlS11_E_NS1_11comp_targetILNS1_3genE2ELNS1_11target_archE906ELNS1_3gpuE6ELNS1_3repE0EEENS1_30default_config_static_selectorELNS0_4arch9wavefront6targetE0EEEvT1_.numbered_sgpr, 0
	.set _ZN7rocprim17ROCPRIM_400000_NS6detail17trampoline_kernelINS0_14default_configENS1_25partition_config_selectorILNS1_17partition_subalgoE8ElNS0_10empty_typeEbEEZZNS1_14partition_implILS5_8ELb0ES3_jPKlPS6_PKS6_NS0_5tupleIJPlS6_EEENSE_IJSB_SB_EEENS0_18inequality_wrapperIN6hipcub16HIPCUB_304000_NS8EqualityEEESF_JS6_EEE10hipError_tPvRmT3_T4_T5_T6_T7_T9_mT8_P12ihipStream_tbDpT10_ENKUlT_T0_E_clISt17integral_constantIbLb1EES15_IbLb0EEEEDaS11_S12_EUlS11_E_NS1_11comp_targetILNS1_3genE2ELNS1_11target_archE906ELNS1_3gpuE6ELNS1_3repE0EEENS1_30default_config_static_selectorELNS0_4arch9wavefront6targetE0EEEvT1_.num_named_barrier, 0
	.set _ZN7rocprim17ROCPRIM_400000_NS6detail17trampoline_kernelINS0_14default_configENS1_25partition_config_selectorILNS1_17partition_subalgoE8ElNS0_10empty_typeEbEEZZNS1_14partition_implILS5_8ELb0ES3_jPKlPS6_PKS6_NS0_5tupleIJPlS6_EEENSE_IJSB_SB_EEENS0_18inequality_wrapperIN6hipcub16HIPCUB_304000_NS8EqualityEEESF_JS6_EEE10hipError_tPvRmT3_T4_T5_T6_T7_T9_mT8_P12ihipStream_tbDpT10_ENKUlT_T0_E_clISt17integral_constantIbLb1EES15_IbLb0EEEEDaS11_S12_EUlS11_E_NS1_11comp_targetILNS1_3genE2ELNS1_11target_archE906ELNS1_3gpuE6ELNS1_3repE0EEENS1_30default_config_static_selectorELNS0_4arch9wavefront6targetE0EEEvT1_.private_seg_size, 0
	.set _ZN7rocprim17ROCPRIM_400000_NS6detail17trampoline_kernelINS0_14default_configENS1_25partition_config_selectorILNS1_17partition_subalgoE8ElNS0_10empty_typeEbEEZZNS1_14partition_implILS5_8ELb0ES3_jPKlPS6_PKS6_NS0_5tupleIJPlS6_EEENSE_IJSB_SB_EEENS0_18inequality_wrapperIN6hipcub16HIPCUB_304000_NS8EqualityEEESF_JS6_EEE10hipError_tPvRmT3_T4_T5_T6_T7_T9_mT8_P12ihipStream_tbDpT10_ENKUlT_T0_E_clISt17integral_constantIbLb1EES15_IbLb0EEEEDaS11_S12_EUlS11_E_NS1_11comp_targetILNS1_3genE2ELNS1_11target_archE906ELNS1_3gpuE6ELNS1_3repE0EEENS1_30default_config_static_selectorELNS0_4arch9wavefront6targetE0EEEvT1_.uses_vcc, 0
	.set _ZN7rocprim17ROCPRIM_400000_NS6detail17trampoline_kernelINS0_14default_configENS1_25partition_config_selectorILNS1_17partition_subalgoE8ElNS0_10empty_typeEbEEZZNS1_14partition_implILS5_8ELb0ES3_jPKlPS6_PKS6_NS0_5tupleIJPlS6_EEENSE_IJSB_SB_EEENS0_18inequality_wrapperIN6hipcub16HIPCUB_304000_NS8EqualityEEESF_JS6_EEE10hipError_tPvRmT3_T4_T5_T6_T7_T9_mT8_P12ihipStream_tbDpT10_ENKUlT_T0_E_clISt17integral_constantIbLb1EES15_IbLb0EEEEDaS11_S12_EUlS11_E_NS1_11comp_targetILNS1_3genE2ELNS1_11target_archE906ELNS1_3gpuE6ELNS1_3repE0EEENS1_30default_config_static_selectorELNS0_4arch9wavefront6targetE0EEEvT1_.uses_flat_scratch, 0
	.set _ZN7rocprim17ROCPRIM_400000_NS6detail17trampoline_kernelINS0_14default_configENS1_25partition_config_selectorILNS1_17partition_subalgoE8ElNS0_10empty_typeEbEEZZNS1_14partition_implILS5_8ELb0ES3_jPKlPS6_PKS6_NS0_5tupleIJPlS6_EEENSE_IJSB_SB_EEENS0_18inequality_wrapperIN6hipcub16HIPCUB_304000_NS8EqualityEEESF_JS6_EEE10hipError_tPvRmT3_T4_T5_T6_T7_T9_mT8_P12ihipStream_tbDpT10_ENKUlT_T0_E_clISt17integral_constantIbLb1EES15_IbLb0EEEEDaS11_S12_EUlS11_E_NS1_11comp_targetILNS1_3genE2ELNS1_11target_archE906ELNS1_3gpuE6ELNS1_3repE0EEENS1_30default_config_static_selectorELNS0_4arch9wavefront6targetE0EEEvT1_.has_dyn_sized_stack, 0
	.set _ZN7rocprim17ROCPRIM_400000_NS6detail17trampoline_kernelINS0_14default_configENS1_25partition_config_selectorILNS1_17partition_subalgoE8ElNS0_10empty_typeEbEEZZNS1_14partition_implILS5_8ELb0ES3_jPKlPS6_PKS6_NS0_5tupleIJPlS6_EEENSE_IJSB_SB_EEENS0_18inequality_wrapperIN6hipcub16HIPCUB_304000_NS8EqualityEEESF_JS6_EEE10hipError_tPvRmT3_T4_T5_T6_T7_T9_mT8_P12ihipStream_tbDpT10_ENKUlT_T0_E_clISt17integral_constantIbLb1EES15_IbLb0EEEEDaS11_S12_EUlS11_E_NS1_11comp_targetILNS1_3genE2ELNS1_11target_archE906ELNS1_3gpuE6ELNS1_3repE0EEENS1_30default_config_static_selectorELNS0_4arch9wavefront6targetE0EEEvT1_.has_recursion, 0
	.set _ZN7rocprim17ROCPRIM_400000_NS6detail17trampoline_kernelINS0_14default_configENS1_25partition_config_selectorILNS1_17partition_subalgoE8ElNS0_10empty_typeEbEEZZNS1_14partition_implILS5_8ELb0ES3_jPKlPS6_PKS6_NS0_5tupleIJPlS6_EEENSE_IJSB_SB_EEENS0_18inequality_wrapperIN6hipcub16HIPCUB_304000_NS8EqualityEEESF_JS6_EEE10hipError_tPvRmT3_T4_T5_T6_T7_T9_mT8_P12ihipStream_tbDpT10_ENKUlT_T0_E_clISt17integral_constantIbLb1EES15_IbLb0EEEEDaS11_S12_EUlS11_E_NS1_11comp_targetILNS1_3genE2ELNS1_11target_archE906ELNS1_3gpuE6ELNS1_3repE0EEENS1_30default_config_static_selectorELNS0_4arch9wavefront6targetE0EEEvT1_.has_indirect_call, 0
	.section	.AMDGPU.csdata,"",@progbits
; Kernel info:
; codeLenInByte = 0
; TotalNumSgprs: 0
; NumVgprs: 0
; ScratchSize: 0
; MemoryBound: 0
; FloatMode: 240
; IeeeMode: 1
; LDSByteSize: 0 bytes/workgroup (compile time only)
; SGPRBlocks: 0
; VGPRBlocks: 0
; NumSGPRsForWavesPerEU: 1
; NumVGPRsForWavesPerEU: 1
; Occupancy: 16
; WaveLimiterHint : 0
; COMPUTE_PGM_RSRC2:SCRATCH_EN: 0
; COMPUTE_PGM_RSRC2:USER_SGPR: 6
; COMPUTE_PGM_RSRC2:TRAP_HANDLER: 0
; COMPUTE_PGM_RSRC2:TGID_X_EN: 1
; COMPUTE_PGM_RSRC2:TGID_Y_EN: 0
; COMPUTE_PGM_RSRC2:TGID_Z_EN: 0
; COMPUTE_PGM_RSRC2:TIDIG_COMP_CNT: 0
	.section	.text._ZN7rocprim17ROCPRIM_400000_NS6detail17trampoline_kernelINS0_14default_configENS1_25partition_config_selectorILNS1_17partition_subalgoE8ElNS0_10empty_typeEbEEZZNS1_14partition_implILS5_8ELb0ES3_jPKlPS6_PKS6_NS0_5tupleIJPlS6_EEENSE_IJSB_SB_EEENS0_18inequality_wrapperIN6hipcub16HIPCUB_304000_NS8EqualityEEESF_JS6_EEE10hipError_tPvRmT3_T4_T5_T6_T7_T9_mT8_P12ihipStream_tbDpT10_ENKUlT_T0_E_clISt17integral_constantIbLb1EES15_IbLb0EEEEDaS11_S12_EUlS11_E_NS1_11comp_targetILNS1_3genE10ELNS1_11target_archE1200ELNS1_3gpuE4ELNS1_3repE0EEENS1_30default_config_static_selectorELNS0_4arch9wavefront6targetE0EEEvT1_,"axG",@progbits,_ZN7rocprim17ROCPRIM_400000_NS6detail17trampoline_kernelINS0_14default_configENS1_25partition_config_selectorILNS1_17partition_subalgoE8ElNS0_10empty_typeEbEEZZNS1_14partition_implILS5_8ELb0ES3_jPKlPS6_PKS6_NS0_5tupleIJPlS6_EEENSE_IJSB_SB_EEENS0_18inequality_wrapperIN6hipcub16HIPCUB_304000_NS8EqualityEEESF_JS6_EEE10hipError_tPvRmT3_T4_T5_T6_T7_T9_mT8_P12ihipStream_tbDpT10_ENKUlT_T0_E_clISt17integral_constantIbLb1EES15_IbLb0EEEEDaS11_S12_EUlS11_E_NS1_11comp_targetILNS1_3genE10ELNS1_11target_archE1200ELNS1_3gpuE4ELNS1_3repE0EEENS1_30default_config_static_selectorELNS0_4arch9wavefront6targetE0EEEvT1_,comdat
	.protected	_ZN7rocprim17ROCPRIM_400000_NS6detail17trampoline_kernelINS0_14default_configENS1_25partition_config_selectorILNS1_17partition_subalgoE8ElNS0_10empty_typeEbEEZZNS1_14partition_implILS5_8ELb0ES3_jPKlPS6_PKS6_NS0_5tupleIJPlS6_EEENSE_IJSB_SB_EEENS0_18inequality_wrapperIN6hipcub16HIPCUB_304000_NS8EqualityEEESF_JS6_EEE10hipError_tPvRmT3_T4_T5_T6_T7_T9_mT8_P12ihipStream_tbDpT10_ENKUlT_T0_E_clISt17integral_constantIbLb1EES15_IbLb0EEEEDaS11_S12_EUlS11_E_NS1_11comp_targetILNS1_3genE10ELNS1_11target_archE1200ELNS1_3gpuE4ELNS1_3repE0EEENS1_30default_config_static_selectorELNS0_4arch9wavefront6targetE0EEEvT1_ ; -- Begin function _ZN7rocprim17ROCPRIM_400000_NS6detail17trampoline_kernelINS0_14default_configENS1_25partition_config_selectorILNS1_17partition_subalgoE8ElNS0_10empty_typeEbEEZZNS1_14partition_implILS5_8ELb0ES3_jPKlPS6_PKS6_NS0_5tupleIJPlS6_EEENSE_IJSB_SB_EEENS0_18inequality_wrapperIN6hipcub16HIPCUB_304000_NS8EqualityEEESF_JS6_EEE10hipError_tPvRmT3_T4_T5_T6_T7_T9_mT8_P12ihipStream_tbDpT10_ENKUlT_T0_E_clISt17integral_constantIbLb1EES15_IbLb0EEEEDaS11_S12_EUlS11_E_NS1_11comp_targetILNS1_3genE10ELNS1_11target_archE1200ELNS1_3gpuE4ELNS1_3repE0EEENS1_30default_config_static_selectorELNS0_4arch9wavefront6targetE0EEEvT1_
	.globl	_ZN7rocprim17ROCPRIM_400000_NS6detail17trampoline_kernelINS0_14default_configENS1_25partition_config_selectorILNS1_17partition_subalgoE8ElNS0_10empty_typeEbEEZZNS1_14partition_implILS5_8ELb0ES3_jPKlPS6_PKS6_NS0_5tupleIJPlS6_EEENSE_IJSB_SB_EEENS0_18inequality_wrapperIN6hipcub16HIPCUB_304000_NS8EqualityEEESF_JS6_EEE10hipError_tPvRmT3_T4_T5_T6_T7_T9_mT8_P12ihipStream_tbDpT10_ENKUlT_T0_E_clISt17integral_constantIbLb1EES15_IbLb0EEEEDaS11_S12_EUlS11_E_NS1_11comp_targetILNS1_3genE10ELNS1_11target_archE1200ELNS1_3gpuE4ELNS1_3repE0EEENS1_30default_config_static_selectorELNS0_4arch9wavefront6targetE0EEEvT1_
	.p2align	8
	.type	_ZN7rocprim17ROCPRIM_400000_NS6detail17trampoline_kernelINS0_14default_configENS1_25partition_config_selectorILNS1_17partition_subalgoE8ElNS0_10empty_typeEbEEZZNS1_14partition_implILS5_8ELb0ES3_jPKlPS6_PKS6_NS0_5tupleIJPlS6_EEENSE_IJSB_SB_EEENS0_18inequality_wrapperIN6hipcub16HIPCUB_304000_NS8EqualityEEESF_JS6_EEE10hipError_tPvRmT3_T4_T5_T6_T7_T9_mT8_P12ihipStream_tbDpT10_ENKUlT_T0_E_clISt17integral_constantIbLb1EES15_IbLb0EEEEDaS11_S12_EUlS11_E_NS1_11comp_targetILNS1_3genE10ELNS1_11target_archE1200ELNS1_3gpuE4ELNS1_3repE0EEENS1_30default_config_static_selectorELNS0_4arch9wavefront6targetE0EEEvT1_,@function
_ZN7rocprim17ROCPRIM_400000_NS6detail17trampoline_kernelINS0_14default_configENS1_25partition_config_selectorILNS1_17partition_subalgoE8ElNS0_10empty_typeEbEEZZNS1_14partition_implILS5_8ELb0ES3_jPKlPS6_PKS6_NS0_5tupleIJPlS6_EEENSE_IJSB_SB_EEENS0_18inequality_wrapperIN6hipcub16HIPCUB_304000_NS8EqualityEEESF_JS6_EEE10hipError_tPvRmT3_T4_T5_T6_T7_T9_mT8_P12ihipStream_tbDpT10_ENKUlT_T0_E_clISt17integral_constantIbLb1EES15_IbLb0EEEEDaS11_S12_EUlS11_E_NS1_11comp_targetILNS1_3genE10ELNS1_11target_archE1200ELNS1_3gpuE4ELNS1_3repE0EEENS1_30default_config_static_selectorELNS0_4arch9wavefront6targetE0EEEvT1_: ; @_ZN7rocprim17ROCPRIM_400000_NS6detail17trampoline_kernelINS0_14default_configENS1_25partition_config_selectorILNS1_17partition_subalgoE8ElNS0_10empty_typeEbEEZZNS1_14partition_implILS5_8ELb0ES3_jPKlPS6_PKS6_NS0_5tupleIJPlS6_EEENSE_IJSB_SB_EEENS0_18inequality_wrapperIN6hipcub16HIPCUB_304000_NS8EqualityEEESF_JS6_EEE10hipError_tPvRmT3_T4_T5_T6_T7_T9_mT8_P12ihipStream_tbDpT10_ENKUlT_T0_E_clISt17integral_constantIbLb1EES15_IbLb0EEEEDaS11_S12_EUlS11_E_NS1_11comp_targetILNS1_3genE10ELNS1_11target_archE1200ELNS1_3gpuE4ELNS1_3repE0EEENS1_30default_config_static_selectorELNS0_4arch9wavefront6targetE0EEEvT1_
; %bb.0:
	.section	.rodata,"a",@progbits
	.p2align	6, 0x0
	.amdhsa_kernel _ZN7rocprim17ROCPRIM_400000_NS6detail17trampoline_kernelINS0_14default_configENS1_25partition_config_selectorILNS1_17partition_subalgoE8ElNS0_10empty_typeEbEEZZNS1_14partition_implILS5_8ELb0ES3_jPKlPS6_PKS6_NS0_5tupleIJPlS6_EEENSE_IJSB_SB_EEENS0_18inequality_wrapperIN6hipcub16HIPCUB_304000_NS8EqualityEEESF_JS6_EEE10hipError_tPvRmT3_T4_T5_T6_T7_T9_mT8_P12ihipStream_tbDpT10_ENKUlT_T0_E_clISt17integral_constantIbLb1EES15_IbLb0EEEEDaS11_S12_EUlS11_E_NS1_11comp_targetILNS1_3genE10ELNS1_11target_archE1200ELNS1_3gpuE4ELNS1_3repE0EEENS1_30default_config_static_selectorELNS0_4arch9wavefront6targetE0EEEvT1_
		.amdhsa_group_segment_fixed_size 0
		.amdhsa_private_segment_fixed_size 0
		.amdhsa_kernarg_size 112
		.amdhsa_user_sgpr_count 6
		.amdhsa_user_sgpr_private_segment_buffer 1
		.amdhsa_user_sgpr_dispatch_ptr 0
		.amdhsa_user_sgpr_queue_ptr 0
		.amdhsa_user_sgpr_kernarg_segment_ptr 1
		.amdhsa_user_sgpr_dispatch_id 0
		.amdhsa_user_sgpr_flat_scratch_init 0
		.amdhsa_user_sgpr_private_segment_size 0
		.amdhsa_wavefront_size32 1
		.amdhsa_uses_dynamic_stack 0
		.amdhsa_system_sgpr_private_segment_wavefront_offset 0
		.amdhsa_system_sgpr_workgroup_id_x 1
		.amdhsa_system_sgpr_workgroup_id_y 0
		.amdhsa_system_sgpr_workgroup_id_z 0
		.amdhsa_system_sgpr_workgroup_info 0
		.amdhsa_system_vgpr_workitem_id 0
		.amdhsa_next_free_vgpr 1
		.amdhsa_next_free_sgpr 1
		.amdhsa_reserve_vcc 0
		.amdhsa_reserve_flat_scratch 0
		.amdhsa_float_round_mode_32 0
		.amdhsa_float_round_mode_16_64 0
		.amdhsa_float_denorm_mode_32 3
		.amdhsa_float_denorm_mode_16_64 3
		.amdhsa_dx10_clamp 1
		.amdhsa_ieee_mode 1
		.amdhsa_fp16_overflow 0
		.amdhsa_workgroup_processor_mode 1
		.amdhsa_memory_ordered 1
		.amdhsa_forward_progress 1
		.amdhsa_shared_vgpr_count 0
		.amdhsa_exception_fp_ieee_invalid_op 0
		.amdhsa_exception_fp_denorm_src 0
		.amdhsa_exception_fp_ieee_div_zero 0
		.amdhsa_exception_fp_ieee_overflow 0
		.amdhsa_exception_fp_ieee_underflow 0
		.amdhsa_exception_fp_ieee_inexact 0
		.amdhsa_exception_int_div_zero 0
	.end_amdhsa_kernel
	.section	.text._ZN7rocprim17ROCPRIM_400000_NS6detail17trampoline_kernelINS0_14default_configENS1_25partition_config_selectorILNS1_17partition_subalgoE8ElNS0_10empty_typeEbEEZZNS1_14partition_implILS5_8ELb0ES3_jPKlPS6_PKS6_NS0_5tupleIJPlS6_EEENSE_IJSB_SB_EEENS0_18inequality_wrapperIN6hipcub16HIPCUB_304000_NS8EqualityEEESF_JS6_EEE10hipError_tPvRmT3_T4_T5_T6_T7_T9_mT8_P12ihipStream_tbDpT10_ENKUlT_T0_E_clISt17integral_constantIbLb1EES15_IbLb0EEEEDaS11_S12_EUlS11_E_NS1_11comp_targetILNS1_3genE10ELNS1_11target_archE1200ELNS1_3gpuE4ELNS1_3repE0EEENS1_30default_config_static_selectorELNS0_4arch9wavefront6targetE0EEEvT1_,"axG",@progbits,_ZN7rocprim17ROCPRIM_400000_NS6detail17trampoline_kernelINS0_14default_configENS1_25partition_config_selectorILNS1_17partition_subalgoE8ElNS0_10empty_typeEbEEZZNS1_14partition_implILS5_8ELb0ES3_jPKlPS6_PKS6_NS0_5tupleIJPlS6_EEENSE_IJSB_SB_EEENS0_18inequality_wrapperIN6hipcub16HIPCUB_304000_NS8EqualityEEESF_JS6_EEE10hipError_tPvRmT3_T4_T5_T6_T7_T9_mT8_P12ihipStream_tbDpT10_ENKUlT_T0_E_clISt17integral_constantIbLb1EES15_IbLb0EEEEDaS11_S12_EUlS11_E_NS1_11comp_targetILNS1_3genE10ELNS1_11target_archE1200ELNS1_3gpuE4ELNS1_3repE0EEENS1_30default_config_static_selectorELNS0_4arch9wavefront6targetE0EEEvT1_,comdat
.Lfunc_end247:
	.size	_ZN7rocprim17ROCPRIM_400000_NS6detail17trampoline_kernelINS0_14default_configENS1_25partition_config_selectorILNS1_17partition_subalgoE8ElNS0_10empty_typeEbEEZZNS1_14partition_implILS5_8ELb0ES3_jPKlPS6_PKS6_NS0_5tupleIJPlS6_EEENSE_IJSB_SB_EEENS0_18inequality_wrapperIN6hipcub16HIPCUB_304000_NS8EqualityEEESF_JS6_EEE10hipError_tPvRmT3_T4_T5_T6_T7_T9_mT8_P12ihipStream_tbDpT10_ENKUlT_T0_E_clISt17integral_constantIbLb1EES15_IbLb0EEEEDaS11_S12_EUlS11_E_NS1_11comp_targetILNS1_3genE10ELNS1_11target_archE1200ELNS1_3gpuE4ELNS1_3repE0EEENS1_30default_config_static_selectorELNS0_4arch9wavefront6targetE0EEEvT1_, .Lfunc_end247-_ZN7rocprim17ROCPRIM_400000_NS6detail17trampoline_kernelINS0_14default_configENS1_25partition_config_selectorILNS1_17partition_subalgoE8ElNS0_10empty_typeEbEEZZNS1_14partition_implILS5_8ELb0ES3_jPKlPS6_PKS6_NS0_5tupleIJPlS6_EEENSE_IJSB_SB_EEENS0_18inequality_wrapperIN6hipcub16HIPCUB_304000_NS8EqualityEEESF_JS6_EEE10hipError_tPvRmT3_T4_T5_T6_T7_T9_mT8_P12ihipStream_tbDpT10_ENKUlT_T0_E_clISt17integral_constantIbLb1EES15_IbLb0EEEEDaS11_S12_EUlS11_E_NS1_11comp_targetILNS1_3genE10ELNS1_11target_archE1200ELNS1_3gpuE4ELNS1_3repE0EEENS1_30default_config_static_selectorELNS0_4arch9wavefront6targetE0EEEvT1_
                                        ; -- End function
	.set _ZN7rocprim17ROCPRIM_400000_NS6detail17trampoline_kernelINS0_14default_configENS1_25partition_config_selectorILNS1_17partition_subalgoE8ElNS0_10empty_typeEbEEZZNS1_14partition_implILS5_8ELb0ES3_jPKlPS6_PKS6_NS0_5tupleIJPlS6_EEENSE_IJSB_SB_EEENS0_18inequality_wrapperIN6hipcub16HIPCUB_304000_NS8EqualityEEESF_JS6_EEE10hipError_tPvRmT3_T4_T5_T6_T7_T9_mT8_P12ihipStream_tbDpT10_ENKUlT_T0_E_clISt17integral_constantIbLb1EES15_IbLb0EEEEDaS11_S12_EUlS11_E_NS1_11comp_targetILNS1_3genE10ELNS1_11target_archE1200ELNS1_3gpuE4ELNS1_3repE0EEENS1_30default_config_static_selectorELNS0_4arch9wavefront6targetE0EEEvT1_.num_vgpr, 0
	.set _ZN7rocprim17ROCPRIM_400000_NS6detail17trampoline_kernelINS0_14default_configENS1_25partition_config_selectorILNS1_17partition_subalgoE8ElNS0_10empty_typeEbEEZZNS1_14partition_implILS5_8ELb0ES3_jPKlPS6_PKS6_NS0_5tupleIJPlS6_EEENSE_IJSB_SB_EEENS0_18inequality_wrapperIN6hipcub16HIPCUB_304000_NS8EqualityEEESF_JS6_EEE10hipError_tPvRmT3_T4_T5_T6_T7_T9_mT8_P12ihipStream_tbDpT10_ENKUlT_T0_E_clISt17integral_constantIbLb1EES15_IbLb0EEEEDaS11_S12_EUlS11_E_NS1_11comp_targetILNS1_3genE10ELNS1_11target_archE1200ELNS1_3gpuE4ELNS1_3repE0EEENS1_30default_config_static_selectorELNS0_4arch9wavefront6targetE0EEEvT1_.num_agpr, 0
	.set _ZN7rocprim17ROCPRIM_400000_NS6detail17trampoline_kernelINS0_14default_configENS1_25partition_config_selectorILNS1_17partition_subalgoE8ElNS0_10empty_typeEbEEZZNS1_14partition_implILS5_8ELb0ES3_jPKlPS6_PKS6_NS0_5tupleIJPlS6_EEENSE_IJSB_SB_EEENS0_18inequality_wrapperIN6hipcub16HIPCUB_304000_NS8EqualityEEESF_JS6_EEE10hipError_tPvRmT3_T4_T5_T6_T7_T9_mT8_P12ihipStream_tbDpT10_ENKUlT_T0_E_clISt17integral_constantIbLb1EES15_IbLb0EEEEDaS11_S12_EUlS11_E_NS1_11comp_targetILNS1_3genE10ELNS1_11target_archE1200ELNS1_3gpuE4ELNS1_3repE0EEENS1_30default_config_static_selectorELNS0_4arch9wavefront6targetE0EEEvT1_.numbered_sgpr, 0
	.set _ZN7rocprim17ROCPRIM_400000_NS6detail17trampoline_kernelINS0_14default_configENS1_25partition_config_selectorILNS1_17partition_subalgoE8ElNS0_10empty_typeEbEEZZNS1_14partition_implILS5_8ELb0ES3_jPKlPS6_PKS6_NS0_5tupleIJPlS6_EEENSE_IJSB_SB_EEENS0_18inequality_wrapperIN6hipcub16HIPCUB_304000_NS8EqualityEEESF_JS6_EEE10hipError_tPvRmT3_T4_T5_T6_T7_T9_mT8_P12ihipStream_tbDpT10_ENKUlT_T0_E_clISt17integral_constantIbLb1EES15_IbLb0EEEEDaS11_S12_EUlS11_E_NS1_11comp_targetILNS1_3genE10ELNS1_11target_archE1200ELNS1_3gpuE4ELNS1_3repE0EEENS1_30default_config_static_selectorELNS0_4arch9wavefront6targetE0EEEvT1_.num_named_barrier, 0
	.set _ZN7rocprim17ROCPRIM_400000_NS6detail17trampoline_kernelINS0_14default_configENS1_25partition_config_selectorILNS1_17partition_subalgoE8ElNS0_10empty_typeEbEEZZNS1_14partition_implILS5_8ELb0ES3_jPKlPS6_PKS6_NS0_5tupleIJPlS6_EEENSE_IJSB_SB_EEENS0_18inequality_wrapperIN6hipcub16HIPCUB_304000_NS8EqualityEEESF_JS6_EEE10hipError_tPvRmT3_T4_T5_T6_T7_T9_mT8_P12ihipStream_tbDpT10_ENKUlT_T0_E_clISt17integral_constantIbLb1EES15_IbLb0EEEEDaS11_S12_EUlS11_E_NS1_11comp_targetILNS1_3genE10ELNS1_11target_archE1200ELNS1_3gpuE4ELNS1_3repE0EEENS1_30default_config_static_selectorELNS0_4arch9wavefront6targetE0EEEvT1_.private_seg_size, 0
	.set _ZN7rocprim17ROCPRIM_400000_NS6detail17trampoline_kernelINS0_14default_configENS1_25partition_config_selectorILNS1_17partition_subalgoE8ElNS0_10empty_typeEbEEZZNS1_14partition_implILS5_8ELb0ES3_jPKlPS6_PKS6_NS0_5tupleIJPlS6_EEENSE_IJSB_SB_EEENS0_18inequality_wrapperIN6hipcub16HIPCUB_304000_NS8EqualityEEESF_JS6_EEE10hipError_tPvRmT3_T4_T5_T6_T7_T9_mT8_P12ihipStream_tbDpT10_ENKUlT_T0_E_clISt17integral_constantIbLb1EES15_IbLb0EEEEDaS11_S12_EUlS11_E_NS1_11comp_targetILNS1_3genE10ELNS1_11target_archE1200ELNS1_3gpuE4ELNS1_3repE0EEENS1_30default_config_static_selectorELNS0_4arch9wavefront6targetE0EEEvT1_.uses_vcc, 0
	.set _ZN7rocprim17ROCPRIM_400000_NS6detail17trampoline_kernelINS0_14default_configENS1_25partition_config_selectorILNS1_17partition_subalgoE8ElNS0_10empty_typeEbEEZZNS1_14partition_implILS5_8ELb0ES3_jPKlPS6_PKS6_NS0_5tupleIJPlS6_EEENSE_IJSB_SB_EEENS0_18inequality_wrapperIN6hipcub16HIPCUB_304000_NS8EqualityEEESF_JS6_EEE10hipError_tPvRmT3_T4_T5_T6_T7_T9_mT8_P12ihipStream_tbDpT10_ENKUlT_T0_E_clISt17integral_constantIbLb1EES15_IbLb0EEEEDaS11_S12_EUlS11_E_NS1_11comp_targetILNS1_3genE10ELNS1_11target_archE1200ELNS1_3gpuE4ELNS1_3repE0EEENS1_30default_config_static_selectorELNS0_4arch9wavefront6targetE0EEEvT1_.uses_flat_scratch, 0
	.set _ZN7rocprim17ROCPRIM_400000_NS6detail17trampoline_kernelINS0_14default_configENS1_25partition_config_selectorILNS1_17partition_subalgoE8ElNS0_10empty_typeEbEEZZNS1_14partition_implILS5_8ELb0ES3_jPKlPS6_PKS6_NS0_5tupleIJPlS6_EEENSE_IJSB_SB_EEENS0_18inequality_wrapperIN6hipcub16HIPCUB_304000_NS8EqualityEEESF_JS6_EEE10hipError_tPvRmT3_T4_T5_T6_T7_T9_mT8_P12ihipStream_tbDpT10_ENKUlT_T0_E_clISt17integral_constantIbLb1EES15_IbLb0EEEEDaS11_S12_EUlS11_E_NS1_11comp_targetILNS1_3genE10ELNS1_11target_archE1200ELNS1_3gpuE4ELNS1_3repE0EEENS1_30default_config_static_selectorELNS0_4arch9wavefront6targetE0EEEvT1_.has_dyn_sized_stack, 0
	.set _ZN7rocprim17ROCPRIM_400000_NS6detail17trampoline_kernelINS0_14default_configENS1_25partition_config_selectorILNS1_17partition_subalgoE8ElNS0_10empty_typeEbEEZZNS1_14partition_implILS5_8ELb0ES3_jPKlPS6_PKS6_NS0_5tupleIJPlS6_EEENSE_IJSB_SB_EEENS0_18inequality_wrapperIN6hipcub16HIPCUB_304000_NS8EqualityEEESF_JS6_EEE10hipError_tPvRmT3_T4_T5_T6_T7_T9_mT8_P12ihipStream_tbDpT10_ENKUlT_T0_E_clISt17integral_constantIbLb1EES15_IbLb0EEEEDaS11_S12_EUlS11_E_NS1_11comp_targetILNS1_3genE10ELNS1_11target_archE1200ELNS1_3gpuE4ELNS1_3repE0EEENS1_30default_config_static_selectorELNS0_4arch9wavefront6targetE0EEEvT1_.has_recursion, 0
	.set _ZN7rocprim17ROCPRIM_400000_NS6detail17trampoline_kernelINS0_14default_configENS1_25partition_config_selectorILNS1_17partition_subalgoE8ElNS0_10empty_typeEbEEZZNS1_14partition_implILS5_8ELb0ES3_jPKlPS6_PKS6_NS0_5tupleIJPlS6_EEENSE_IJSB_SB_EEENS0_18inequality_wrapperIN6hipcub16HIPCUB_304000_NS8EqualityEEESF_JS6_EEE10hipError_tPvRmT3_T4_T5_T6_T7_T9_mT8_P12ihipStream_tbDpT10_ENKUlT_T0_E_clISt17integral_constantIbLb1EES15_IbLb0EEEEDaS11_S12_EUlS11_E_NS1_11comp_targetILNS1_3genE10ELNS1_11target_archE1200ELNS1_3gpuE4ELNS1_3repE0EEENS1_30default_config_static_selectorELNS0_4arch9wavefront6targetE0EEEvT1_.has_indirect_call, 0
	.section	.AMDGPU.csdata,"",@progbits
; Kernel info:
; codeLenInByte = 0
; TotalNumSgprs: 0
; NumVgprs: 0
; ScratchSize: 0
; MemoryBound: 0
; FloatMode: 240
; IeeeMode: 1
; LDSByteSize: 0 bytes/workgroup (compile time only)
; SGPRBlocks: 0
; VGPRBlocks: 0
; NumSGPRsForWavesPerEU: 1
; NumVGPRsForWavesPerEU: 1
; Occupancy: 16
; WaveLimiterHint : 0
; COMPUTE_PGM_RSRC2:SCRATCH_EN: 0
; COMPUTE_PGM_RSRC2:USER_SGPR: 6
; COMPUTE_PGM_RSRC2:TRAP_HANDLER: 0
; COMPUTE_PGM_RSRC2:TGID_X_EN: 1
; COMPUTE_PGM_RSRC2:TGID_Y_EN: 0
; COMPUTE_PGM_RSRC2:TGID_Z_EN: 0
; COMPUTE_PGM_RSRC2:TIDIG_COMP_CNT: 0
	.section	.text._ZN7rocprim17ROCPRIM_400000_NS6detail17trampoline_kernelINS0_14default_configENS1_25partition_config_selectorILNS1_17partition_subalgoE8ElNS0_10empty_typeEbEEZZNS1_14partition_implILS5_8ELb0ES3_jPKlPS6_PKS6_NS0_5tupleIJPlS6_EEENSE_IJSB_SB_EEENS0_18inequality_wrapperIN6hipcub16HIPCUB_304000_NS8EqualityEEESF_JS6_EEE10hipError_tPvRmT3_T4_T5_T6_T7_T9_mT8_P12ihipStream_tbDpT10_ENKUlT_T0_E_clISt17integral_constantIbLb1EES15_IbLb0EEEEDaS11_S12_EUlS11_E_NS1_11comp_targetILNS1_3genE9ELNS1_11target_archE1100ELNS1_3gpuE3ELNS1_3repE0EEENS1_30default_config_static_selectorELNS0_4arch9wavefront6targetE0EEEvT1_,"axG",@progbits,_ZN7rocprim17ROCPRIM_400000_NS6detail17trampoline_kernelINS0_14default_configENS1_25partition_config_selectorILNS1_17partition_subalgoE8ElNS0_10empty_typeEbEEZZNS1_14partition_implILS5_8ELb0ES3_jPKlPS6_PKS6_NS0_5tupleIJPlS6_EEENSE_IJSB_SB_EEENS0_18inequality_wrapperIN6hipcub16HIPCUB_304000_NS8EqualityEEESF_JS6_EEE10hipError_tPvRmT3_T4_T5_T6_T7_T9_mT8_P12ihipStream_tbDpT10_ENKUlT_T0_E_clISt17integral_constantIbLb1EES15_IbLb0EEEEDaS11_S12_EUlS11_E_NS1_11comp_targetILNS1_3genE9ELNS1_11target_archE1100ELNS1_3gpuE3ELNS1_3repE0EEENS1_30default_config_static_selectorELNS0_4arch9wavefront6targetE0EEEvT1_,comdat
	.protected	_ZN7rocprim17ROCPRIM_400000_NS6detail17trampoline_kernelINS0_14default_configENS1_25partition_config_selectorILNS1_17partition_subalgoE8ElNS0_10empty_typeEbEEZZNS1_14partition_implILS5_8ELb0ES3_jPKlPS6_PKS6_NS0_5tupleIJPlS6_EEENSE_IJSB_SB_EEENS0_18inequality_wrapperIN6hipcub16HIPCUB_304000_NS8EqualityEEESF_JS6_EEE10hipError_tPvRmT3_T4_T5_T6_T7_T9_mT8_P12ihipStream_tbDpT10_ENKUlT_T0_E_clISt17integral_constantIbLb1EES15_IbLb0EEEEDaS11_S12_EUlS11_E_NS1_11comp_targetILNS1_3genE9ELNS1_11target_archE1100ELNS1_3gpuE3ELNS1_3repE0EEENS1_30default_config_static_selectorELNS0_4arch9wavefront6targetE0EEEvT1_ ; -- Begin function _ZN7rocprim17ROCPRIM_400000_NS6detail17trampoline_kernelINS0_14default_configENS1_25partition_config_selectorILNS1_17partition_subalgoE8ElNS0_10empty_typeEbEEZZNS1_14partition_implILS5_8ELb0ES3_jPKlPS6_PKS6_NS0_5tupleIJPlS6_EEENSE_IJSB_SB_EEENS0_18inequality_wrapperIN6hipcub16HIPCUB_304000_NS8EqualityEEESF_JS6_EEE10hipError_tPvRmT3_T4_T5_T6_T7_T9_mT8_P12ihipStream_tbDpT10_ENKUlT_T0_E_clISt17integral_constantIbLb1EES15_IbLb0EEEEDaS11_S12_EUlS11_E_NS1_11comp_targetILNS1_3genE9ELNS1_11target_archE1100ELNS1_3gpuE3ELNS1_3repE0EEENS1_30default_config_static_selectorELNS0_4arch9wavefront6targetE0EEEvT1_
	.globl	_ZN7rocprim17ROCPRIM_400000_NS6detail17trampoline_kernelINS0_14default_configENS1_25partition_config_selectorILNS1_17partition_subalgoE8ElNS0_10empty_typeEbEEZZNS1_14partition_implILS5_8ELb0ES3_jPKlPS6_PKS6_NS0_5tupleIJPlS6_EEENSE_IJSB_SB_EEENS0_18inequality_wrapperIN6hipcub16HIPCUB_304000_NS8EqualityEEESF_JS6_EEE10hipError_tPvRmT3_T4_T5_T6_T7_T9_mT8_P12ihipStream_tbDpT10_ENKUlT_T0_E_clISt17integral_constantIbLb1EES15_IbLb0EEEEDaS11_S12_EUlS11_E_NS1_11comp_targetILNS1_3genE9ELNS1_11target_archE1100ELNS1_3gpuE3ELNS1_3repE0EEENS1_30default_config_static_selectorELNS0_4arch9wavefront6targetE0EEEvT1_
	.p2align	8
	.type	_ZN7rocprim17ROCPRIM_400000_NS6detail17trampoline_kernelINS0_14default_configENS1_25partition_config_selectorILNS1_17partition_subalgoE8ElNS0_10empty_typeEbEEZZNS1_14partition_implILS5_8ELb0ES3_jPKlPS6_PKS6_NS0_5tupleIJPlS6_EEENSE_IJSB_SB_EEENS0_18inequality_wrapperIN6hipcub16HIPCUB_304000_NS8EqualityEEESF_JS6_EEE10hipError_tPvRmT3_T4_T5_T6_T7_T9_mT8_P12ihipStream_tbDpT10_ENKUlT_T0_E_clISt17integral_constantIbLb1EES15_IbLb0EEEEDaS11_S12_EUlS11_E_NS1_11comp_targetILNS1_3genE9ELNS1_11target_archE1100ELNS1_3gpuE3ELNS1_3repE0EEENS1_30default_config_static_selectorELNS0_4arch9wavefront6targetE0EEEvT1_,@function
_ZN7rocprim17ROCPRIM_400000_NS6detail17trampoline_kernelINS0_14default_configENS1_25partition_config_selectorILNS1_17partition_subalgoE8ElNS0_10empty_typeEbEEZZNS1_14partition_implILS5_8ELb0ES3_jPKlPS6_PKS6_NS0_5tupleIJPlS6_EEENSE_IJSB_SB_EEENS0_18inequality_wrapperIN6hipcub16HIPCUB_304000_NS8EqualityEEESF_JS6_EEE10hipError_tPvRmT3_T4_T5_T6_T7_T9_mT8_P12ihipStream_tbDpT10_ENKUlT_T0_E_clISt17integral_constantIbLb1EES15_IbLb0EEEEDaS11_S12_EUlS11_E_NS1_11comp_targetILNS1_3genE9ELNS1_11target_archE1100ELNS1_3gpuE3ELNS1_3repE0EEENS1_30default_config_static_selectorELNS0_4arch9wavefront6targetE0EEEvT1_: ; @_ZN7rocprim17ROCPRIM_400000_NS6detail17trampoline_kernelINS0_14default_configENS1_25partition_config_selectorILNS1_17partition_subalgoE8ElNS0_10empty_typeEbEEZZNS1_14partition_implILS5_8ELb0ES3_jPKlPS6_PKS6_NS0_5tupleIJPlS6_EEENSE_IJSB_SB_EEENS0_18inequality_wrapperIN6hipcub16HIPCUB_304000_NS8EqualityEEESF_JS6_EEE10hipError_tPvRmT3_T4_T5_T6_T7_T9_mT8_P12ihipStream_tbDpT10_ENKUlT_T0_E_clISt17integral_constantIbLb1EES15_IbLb0EEEEDaS11_S12_EUlS11_E_NS1_11comp_targetILNS1_3genE9ELNS1_11target_archE1100ELNS1_3gpuE3ELNS1_3repE0EEENS1_30default_config_static_selectorELNS0_4arch9wavefront6targetE0EEEvT1_
; %bb.0:
	.section	.rodata,"a",@progbits
	.p2align	6, 0x0
	.amdhsa_kernel _ZN7rocprim17ROCPRIM_400000_NS6detail17trampoline_kernelINS0_14default_configENS1_25partition_config_selectorILNS1_17partition_subalgoE8ElNS0_10empty_typeEbEEZZNS1_14partition_implILS5_8ELb0ES3_jPKlPS6_PKS6_NS0_5tupleIJPlS6_EEENSE_IJSB_SB_EEENS0_18inequality_wrapperIN6hipcub16HIPCUB_304000_NS8EqualityEEESF_JS6_EEE10hipError_tPvRmT3_T4_T5_T6_T7_T9_mT8_P12ihipStream_tbDpT10_ENKUlT_T0_E_clISt17integral_constantIbLb1EES15_IbLb0EEEEDaS11_S12_EUlS11_E_NS1_11comp_targetILNS1_3genE9ELNS1_11target_archE1100ELNS1_3gpuE3ELNS1_3repE0EEENS1_30default_config_static_selectorELNS0_4arch9wavefront6targetE0EEEvT1_
		.amdhsa_group_segment_fixed_size 0
		.amdhsa_private_segment_fixed_size 0
		.amdhsa_kernarg_size 112
		.amdhsa_user_sgpr_count 6
		.amdhsa_user_sgpr_private_segment_buffer 1
		.amdhsa_user_sgpr_dispatch_ptr 0
		.amdhsa_user_sgpr_queue_ptr 0
		.amdhsa_user_sgpr_kernarg_segment_ptr 1
		.amdhsa_user_sgpr_dispatch_id 0
		.amdhsa_user_sgpr_flat_scratch_init 0
		.amdhsa_user_sgpr_private_segment_size 0
		.amdhsa_wavefront_size32 1
		.amdhsa_uses_dynamic_stack 0
		.amdhsa_system_sgpr_private_segment_wavefront_offset 0
		.amdhsa_system_sgpr_workgroup_id_x 1
		.amdhsa_system_sgpr_workgroup_id_y 0
		.amdhsa_system_sgpr_workgroup_id_z 0
		.amdhsa_system_sgpr_workgroup_info 0
		.amdhsa_system_vgpr_workitem_id 0
		.amdhsa_next_free_vgpr 1
		.amdhsa_next_free_sgpr 1
		.amdhsa_reserve_vcc 0
		.amdhsa_reserve_flat_scratch 0
		.amdhsa_float_round_mode_32 0
		.amdhsa_float_round_mode_16_64 0
		.amdhsa_float_denorm_mode_32 3
		.amdhsa_float_denorm_mode_16_64 3
		.amdhsa_dx10_clamp 1
		.amdhsa_ieee_mode 1
		.amdhsa_fp16_overflow 0
		.amdhsa_workgroup_processor_mode 1
		.amdhsa_memory_ordered 1
		.amdhsa_forward_progress 1
		.amdhsa_shared_vgpr_count 0
		.amdhsa_exception_fp_ieee_invalid_op 0
		.amdhsa_exception_fp_denorm_src 0
		.amdhsa_exception_fp_ieee_div_zero 0
		.amdhsa_exception_fp_ieee_overflow 0
		.amdhsa_exception_fp_ieee_underflow 0
		.amdhsa_exception_fp_ieee_inexact 0
		.amdhsa_exception_int_div_zero 0
	.end_amdhsa_kernel
	.section	.text._ZN7rocprim17ROCPRIM_400000_NS6detail17trampoline_kernelINS0_14default_configENS1_25partition_config_selectorILNS1_17partition_subalgoE8ElNS0_10empty_typeEbEEZZNS1_14partition_implILS5_8ELb0ES3_jPKlPS6_PKS6_NS0_5tupleIJPlS6_EEENSE_IJSB_SB_EEENS0_18inequality_wrapperIN6hipcub16HIPCUB_304000_NS8EqualityEEESF_JS6_EEE10hipError_tPvRmT3_T4_T5_T6_T7_T9_mT8_P12ihipStream_tbDpT10_ENKUlT_T0_E_clISt17integral_constantIbLb1EES15_IbLb0EEEEDaS11_S12_EUlS11_E_NS1_11comp_targetILNS1_3genE9ELNS1_11target_archE1100ELNS1_3gpuE3ELNS1_3repE0EEENS1_30default_config_static_selectorELNS0_4arch9wavefront6targetE0EEEvT1_,"axG",@progbits,_ZN7rocprim17ROCPRIM_400000_NS6detail17trampoline_kernelINS0_14default_configENS1_25partition_config_selectorILNS1_17partition_subalgoE8ElNS0_10empty_typeEbEEZZNS1_14partition_implILS5_8ELb0ES3_jPKlPS6_PKS6_NS0_5tupleIJPlS6_EEENSE_IJSB_SB_EEENS0_18inequality_wrapperIN6hipcub16HIPCUB_304000_NS8EqualityEEESF_JS6_EEE10hipError_tPvRmT3_T4_T5_T6_T7_T9_mT8_P12ihipStream_tbDpT10_ENKUlT_T0_E_clISt17integral_constantIbLb1EES15_IbLb0EEEEDaS11_S12_EUlS11_E_NS1_11comp_targetILNS1_3genE9ELNS1_11target_archE1100ELNS1_3gpuE3ELNS1_3repE0EEENS1_30default_config_static_selectorELNS0_4arch9wavefront6targetE0EEEvT1_,comdat
.Lfunc_end248:
	.size	_ZN7rocprim17ROCPRIM_400000_NS6detail17trampoline_kernelINS0_14default_configENS1_25partition_config_selectorILNS1_17partition_subalgoE8ElNS0_10empty_typeEbEEZZNS1_14partition_implILS5_8ELb0ES3_jPKlPS6_PKS6_NS0_5tupleIJPlS6_EEENSE_IJSB_SB_EEENS0_18inequality_wrapperIN6hipcub16HIPCUB_304000_NS8EqualityEEESF_JS6_EEE10hipError_tPvRmT3_T4_T5_T6_T7_T9_mT8_P12ihipStream_tbDpT10_ENKUlT_T0_E_clISt17integral_constantIbLb1EES15_IbLb0EEEEDaS11_S12_EUlS11_E_NS1_11comp_targetILNS1_3genE9ELNS1_11target_archE1100ELNS1_3gpuE3ELNS1_3repE0EEENS1_30default_config_static_selectorELNS0_4arch9wavefront6targetE0EEEvT1_, .Lfunc_end248-_ZN7rocprim17ROCPRIM_400000_NS6detail17trampoline_kernelINS0_14default_configENS1_25partition_config_selectorILNS1_17partition_subalgoE8ElNS0_10empty_typeEbEEZZNS1_14partition_implILS5_8ELb0ES3_jPKlPS6_PKS6_NS0_5tupleIJPlS6_EEENSE_IJSB_SB_EEENS0_18inequality_wrapperIN6hipcub16HIPCUB_304000_NS8EqualityEEESF_JS6_EEE10hipError_tPvRmT3_T4_T5_T6_T7_T9_mT8_P12ihipStream_tbDpT10_ENKUlT_T0_E_clISt17integral_constantIbLb1EES15_IbLb0EEEEDaS11_S12_EUlS11_E_NS1_11comp_targetILNS1_3genE9ELNS1_11target_archE1100ELNS1_3gpuE3ELNS1_3repE0EEENS1_30default_config_static_selectorELNS0_4arch9wavefront6targetE0EEEvT1_
                                        ; -- End function
	.set _ZN7rocprim17ROCPRIM_400000_NS6detail17trampoline_kernelINS0_14default_configENS1_25partition_config_selectorILNS1_17partition_subalgoE8ElNS0_10empty_typeEbEEZZNS1_14partition_implILS5_8ELb0ES3_jPKlPS6_PKS6_NS0_5tupleIJPlS6_EEENSE_IJSB_SB_EEENS0_18inequality_wrapperIN6hipcub16HIPCUB_304000_NS8EqualityEEESF_JS6_EEE10hipError_tPvRmT3_T4_T5_T6_T7_T9_mT8_P12ihipStream_tbDpT10_ENKUlT_T0_E_clISt17integral_constantIbLb1EES15_IbLb0EEEEDaS11_S12_EUlS11_E_NS1_11comp_targetILNS1_3genE9ELNS1_11target_archE1100ELNS1_3gpuE3ELNS1_3repE0EEENS1_30default_config_static_selectorELNS0_4arch9wavefront6targetE0EEEvT1_.num_vgpr, 0
	.set _ZN7rocprim17ROCPRIM_400000_NS6detail17trampoline_kernelINS0_14default_configENS1_25partition_config_selectorILNS1_17partition_subalgoE8ElNS0_10empty_typeEbEEZZNS1_14partition_implILS5_8ELb0ES3_jPKlPS6_PKS6_NS0_5tupleIJPlS6_EEENSE_IJSB_SB_EEENS0_18inequality_wrapperIN6hipcub16HIPCUB_304000_NS8EqualityEEESF_JS6_EEE10hipError_tPvRmT3_T4_T5_T6_T7_T9_mT8_P12ihipStream_tbDpT10_ENKUlT_T0_E_clISt17integral_constantIbLb1EES15_IbLb0EEEEDaS11_S12_EUlS11_E_NS1_11comp_targetILNS1_3genE9ELNS1_11target_archE1100ELNS1_3gpuE3ELNS1_3repE0EEENS1_30default_config_static_selectorELNS0_4arch9wavefront6targetE0EEEvT1_.num_agpr, 0
	.set _ZN7rocprim17ROCPRIM_400000_NS6detail17trampoline_kernelINS0_14default_configENS1_25partition_config_selectorILNS1_17partition_subalgoE8ElNS0_10empty_typeEbEEZZNS1_14partition_implILS5_8ELb0ES3_jPKlPS6_PKS6_NS0_5tupleIJPlS6_EEENSE_IJSB_SB_EEENS0_18inequality_wrapperIN6hipcub16HIPCUB_304000_NS8EqualityEEESF_JS6_EEE10hipError_tPvRmT3_T4_T5_T6_T7_T9_mT8_P12ihipStream_tbDpT10_ENKUlT_T0_E_clISt17integral_constantIbLb1EES15_IbLb0EEEEDaS11_S12_EUlS11_E_NS1_11comp_targetILNS1_3genE9ELNS1_11target_archE1100ELNS1_3gpuE3ELNS1_3repE0EEENS1_30default_config_static_selectorELNS0_4arch9wavefront6targetE0EEEvT1_.numbered_sgpr, 0
	.set _ZN7rocprim17ROCPRIM_400000_NS6detail17trampoline_kernelINS0_14default_configENS1_25partition_config_selectorILNS1_17partition_subalgoE8ElNS0_10empty_typeEbEEZZNS1_14partition_implILS5_8ELb0ES3_jPKlPS6_PKS6_NS0_5tupleIJPlS6_EEENSE_IJSB_SB_EEENS0_18inequality_wrapperIN6hipcub16HIPCUB_304000_NS8EqualityEEESF_JS6_EEE10hipError_tPvRmT3_T4_T5_T6_T7_T9_mT8_P12ihipStream_tbDpT10_ENKUlT_T0_E_clISt17integral_constantIbLb1EES15_IbLb0EEEEDaS11_S12_EUlS11_E_NS1_11comp_targetILNS1_3genE9ELNS1_11target_archE1100ELNS1_3gpuE3ELNS1_3repE0EEENS1_30default_config_static_selectorELNS0_4arch9wavefront6targetE0EEEvT1_.num_named_barrier, 0
	.set _ZN7rocprim17ROCPRIM_400000_NS6detail17trampoline_kernelINS0_14default_configENS1_25partition_config_selectorILNS1_17partition_subalgoE8ElNS0_10empty_typeEbEEZZNS1_14partition_implILS5_8ELb0ES3_jPKlPS6_PKS6_NS0_5tupleIJPlS6_EEENSE_IJSB_SB_EEENS0_18inequality_wrapperIN6hipcub16HIPCUB_304000_NS8EqualityEEESF_JS6_EEE10hipError_tPvRmT3_T4_T5_T6_T7_T9_mT8_P12ihipStream_tbDpT10_ENKUlT_T0_E_clISt17integral_constantIbLb1EES15_IbLb0EEEEDaS11_S12_EUlS11_E_NS1_11comp_targetILNS1_3genE9ELNS1_11target_archE1100ELNS1_3gpuE3ELNS1_3repE0EEENS1_30default_config_static_selectorELNS0_4arch9wavefront6targetE0EEEvT1_.private_seg_size, 0
	.set _ZN7rocprim17ROCPRIM_400000_NS6detail17trampoline_kernelINS0_14default_configENS1_25partition_config_selectorILNS1_17partition_subalgoE8ElNS0_10empty_typeEbEEZZNS1_14partition_implILS5_8ELb0ES3_jPKlPS6_PKS6_NS0_5tupleIJPlS6_EEENSE_IJSB_SB_EEENS0_18inequality_wrapperIN6hipcub16HIPCUB_304000_NS8EqualityEEESF_JS6_EEE10hipError_tPvRmT3_T4_T5_T6_T7_T9_mT8_P12ihipStream_tbDpT10_ENKUlT_T0_E_clISt17integral_constantIbLb1EES15_IbLb0EEEEDaS11_S12_EUlS11_E_NS1_11comp_targetILNS1_3genE9ELNS1_11target_archE1100ELNS1_3gpuE3ELNS1_3repE0EEENS1_30default_config_static_selectorELNS0_4arch9wavefront6targetE0EEEvT1_.uses_vcc, 0
	.set _ZN7rocprim17ROCPRIM_400000_NS6detail17trampoline_kernelINS0_14default_configENS1_25partition_config_selectorILNS1_17partition_subalgoE8ElNS0_10empty_typeEbEEZZNS1_14partition_implILS5_8ELb0ES3_jPKlPS6_PKS6_NS0_5tupleIJPlS6_EEENSE_IJSB_SB_EEENS0_18inequality_wrapperIN6hipcub16HIPCUB_304000_NS8EqualityEEESF_JS6_EEE10hipError_tPvRmT3_T4_T5_T6_T7_T9_mT8_P12ihipStream_tbDpT10_ENKUlT_T0_E_clISt17integral_constantIbLb1EES15_IbLb0EEEEDaS11_S12_EUlS11_E_NS1_11comp_targetILNS1_3genE9ELNS1_11target_archE1100ELNS1_3gpuE3ELNS1_3repE0EEENS1_30default_config_static_selectorELNS0_4arch9wavefront6targetE0EEEvT1_.uses_flat_scratch, 0
	.set _ZN7rocprim17ROCPRIM_400000_NS6detail17trampoline_kernelINS0_14default_configENS1_25partition_config_selectorILNS1_17partition_subalgoE8ElNS0_10empty_typeEbEEZZNS1_14partition_implILS5_8ELb0ES3_jPKlPS6_PKS6_NS0_5tupleIJPlS6_EEENSE_IJSB_SB_EEENS0_18inequality_wrapperIN6hipcub16HIPCUB_304000_NS8EqualityEEESF_JS6_EEE10hipError_tPvRmT3_T4_T5_T6_T7_T9_mT8_P12ihipStream_tbDpT10_ENKUlT_T0_E_clISt17integral_constantIbLb1EES15_IbLb0EEEEDaS11_S12_EUlS11_E_NS1_11comp_targetILNS1_3genE9ELNS1_11target_archE1100ELNS1_3gpuE3ELNS1_3repE0EEENS1_30default_config_static_selectorELNS0_4arch9wavefront6targetE0EEEvT1_.has_dyn_sized_stack, 0
	.set _ZN7rocprim17ROCPRIM_400000_NS6detail17trampoline_kernelINS0_14default_configENS1_25partition_config_selectorILNS1_17partition_subalgoE8ElNS0_10empty_typeEbEEZZNS1_14partition_implILS5_8ELb0ES3_jPKlPS6_PKS6_NS0_5tupleIJPlS6_EEENSE_IJSB_SB_EEENS0_18inequality_wrapperIN6hipcub16HIPCUB_304000_NS8EqualityEEESF_JS6_EEE10hipError_tPvRmT3_T4_T5_T6_T7_T9_mT8_P12ihipStream_tbDpT10_ENKUlT_T0_E_clISt17integral_constantIbLb1EES15_IbLb0EEEEDaS11_S12_EUlS11_E_NS1_11comp_targetILNS1_3genE9ELNS1_11target_archE1100ELNS1_3gpuE3ELNS1_3repE0EEENS1_30default_config_static_selectorELNS0_4arch9wavefront6targetE0EEEvT1_.has_recursion, 0
	.set _ZN7rocprim17ROCPRIM_400000_NS6detail17trampoline_kernelINS0_14default_configENS1_25partition_config_selectorILNS1_17partition_subalgoE8ElNS0_10empty_typeEbEEZZNS1_14partition_implILS5_8ELb0ES3_jPKlPS6_PKS6_NS0_5tupleIJPlS6_EEENSE_IJSB_SB_EEENS0_18inequality_wrapperIN6hipcub16HIPCUB_304000_NS8EqualityEEESF_JS6_EEE10hipError_tPvRmT3_T4_T5_T6_T7_T9_mT8_P12ihipStream_tbDpT10_ENKUlT_T0_E_clISt17integral_constantIbLb1EES15_IbLb0EEEEDaS11_S12_EUlS11_E_NS1_11comp_targetILNS1_3genE9ELNS1_11target_archE1100ELNS1_3gpuE3ELNS1_3repE0EEENS1_30default_config_static_selectorELNS0_4arch9wavefront6targetE0EEEvT1_.has_indirect_call, 0
	.section	.AMDGPU.csdata,"",@progbits
; Kernel info:
; codeLenInByte = 0
; TotalNumSgprs: 0
; NumVgprs: 0
; ScratchSize: 0
; MemoryBound: 0
; FloatMode: 240
; IeeeMode: 1
; LDSByteSize: 0 bytes/workgroup (compile time only)
; SGPRBlocks: 0
; VGPRBlocks: 0
; NumSGPRsForWavesPerEU: 1
; NumVGPRsForWavesPerEU: 1
; Occupancy: 16
; WaveLimiterHint : 0
; COMPUTE_PGM_RSRC2:SCRATCH_EN: 0
; COMPUTE_PGM_RSRC2:USER_SGPR: 6
; COMPUTE_PGM_RSRC2:TRAP_HANDLER: 0
; COMPUTE_PGM_RSRC2:TGID_X_EN: 1
; COMPUTE_PGM_RSRC2:TGID_Y_EN: 0
; COMPUTE_PGM_RSRC2:TGID_Z_EN: 0
; COMPUTE_PGM_RSRC2:TIDIG_COMP_CNT: 0
	.section	.text._ZN7rocprim17ROCPRIM_400000_NS6detail17trampoline_kernelINS0_14default_configENS1_25partition_config_selectorILNS1_17partition_subalgoE8ElNS0_10empty_typeEbEEZZNS1_14partition_implILS5_8ELb0ES3_jPKlPS6_PKS6_NS0_5tupleIJPlS6_EEENSE_IJSB_SB_EEENS0_18inequality_wrapperIN6hipcub16HIPCUB_304000_NS8EqualityEEESF_JS6_EEE10hipError_tPvRmT3_T4_T5_T6_T7_T9_mT8_P12ihipStream_tbDpT10_ENKUlT_T0_E_clISt17integral_constantIbLb1EES15_IbLb0EEEEDaS11_S12_EUlS11_E_NS1_11comp_targetILNS1_3genE8ELNS1_11target_archE1030ELNS1_3gpuE2ELNS1_3repE0EEENS1_30default_config_static_selectorELNS0_4arch9wavefront6targetE0EEEvT1_,"axG",@progbits,_ZN7rocprim17ROCPRIM_400000_NS6detail17trampoline_kernelINS0_14default_configENS1_25partition_config_selectorILNS1_17partition_subalgoE8ElNS0_10empty_typeEbEEZZNS1_14partition_implILS5_8ELb0ES3_jPKlPS6_PKS6_NS0_5tupleIJPlS6_EEENSE_IJSB_SB_EEENS0_18inequality_wrapperIN6hipcub16HIPCUB_304000_NS8EqualityEEESF_JS6_EEE10hipError_tPvRmT3_T4_T5_T6_T7_T9_mT8_P12ihipStream_tbDpT10_ENKUlT_T0_E_clISt17integral_constantIbLb1EES15_IbLb0EEEEDaS11_S12_EUlS11_E_NS1_11comp_targetILNS1_3genE8ELNS1_11target_archE1030ELNS1_3gpuE2ELNS1_3repE0EEENS1_30default_config_static_selectorELNS0_4arch9wavefront6targetE0EEEvT1_,comdat
	.protected	_ZN7rocprim17ROCPRIM_400000_NS6detail17trampoline_kernelINS0_14default_configENS1_25partition_config_selectorILNS1_17partition_subalgoE8ElNS0_10empty_typeEbEEZZNS1_14partition_implILS5_8ELb0ES3_jPKlPS6_PKS6_NS0_5tupleIJPlS6_EEENSE_IJSB_SB_EEENS0_18inequality_wrapperIN6hipcub16HIPCUB_304000_NS8EqualityEEESF_JS6_EEE10hipError_tPvRmT3_T4_T5_T6_T7_T9_mT8_P12ihipStream_tbDpT10_ENKUlT_T0_E_clISt17integral_constantIbLb1EES15_IbLb0EEEEDaS11_S12_EUlS11_E_NS1_11comp_targetILNS1_3genE8ELNS1_11target_archE1030ELNS1_3gpuE2ELNS1_3repE0EEENS1_30default_config_static_selectorELNS0_4arch9wavefront6targetE0EEEvT1_ ; -- Begin function _ZN7rocprim17ROCPRIM_400000_NS6detail17trampoline_kernelINS0_14default_configENS1_25partition_config_selectorILNS1_17partition_subalgoE8ElNS0_10empty_typeEbEEZZNS1_14partition_implILS5_8ELb0ES3_jPKlPS6_PKS6_NS0_5tupleIJPlS6_EEENSE_IJSB_SB_EEENS0_18inequality_wrapperIN6hipcub16HIPCUB_304000_NS8EqualityEEESF_JS6_EEE10hipError_tPvRmT3_T4_T5_T6_T7_T9_mT8_P12ihipStream_tbDpT10_ENKUlT_T0_E_clISt17integral_constantIbLb1EES15_IbLb0EEEEDaS11_S12_EUlS11_E_NS1_11comp_targetILNS1_3genE8ELNS1_11target_archE1030ELNS1_3gpuE2ELNS1_3repE0EEENS1_30default_config_static_selectorELNS0_4arch9wavefront6targetE0EEEvT1_
	.globl	_ZN7rocprim17ROCPRIM_400000_NS6detail17trampoline_kernelINS0_14default_configENS1_25partition_config_selectorILNS1_17partition_subalgoE8ElNS0_10empty_typeEbEEZZNS1_14partition_implILS5_8ELb0ES3_jPKlPS6_PKS6_NS0_5tupleIJPlS6_EEENSE_IJSB_SB_EEENS0_18inequality_wrapperIN6hipcub16HIPCUB_304000_NS8EqualityEEESF_JS6_EEE10hipError_tPvRmT3_T4_T5_T6_T7_T9_mT8_P12ihipStream_tbDpT10_ENKUlT_T0_E_clISt17integral_constantIbLb1EES15_IbLb0EEEEDaS11_S12_EUlS11_E_NS1_11comp_targetILNS1_3genE8ELNS1_11target_archE1030ELNS1_3gpuE2ELNS1_3repE0EEENS1_30default_config_static_selectorELNS0_4arch9wavefront6targetE0EEEvT1_
	.p2align	8
	.type	_ZN7rocprim17ROCPRIM_400000_NS6detail17trampoline_kernelINS0_14default_configENS1_25partition_config_selectorILNS1_17partition_subalgoE8ElNS0_10empty_typeEbEEZZNS1_14partition_implILS5_8ELb0ES3_jPKlPS6_PKS6_NS0_5tupleIJPlS6_EEENSE_IJSB_SB_EEENS0_18inequality_wrapperIN6hipcub16HIPCUB_304000_NS8EqualityEEESF_JS6_EEE10hipError_tPvRmT3_T4_T5_T6_T7_T9_mT8_P12ihipStream_tbDpT10_ENKUlT_T0_E_clISt17integral_constantIbLb1EES15_IbLb0EEEEDaS11_S12_EUlS11_E_NS1_11comp_targetILNS1_3genE8ELNS1_11target_archE1030ELNS1_3gpuE2ELNS1_3repE0EEENS1_30default_config_static_selectorELNS0_4arch9wavefront6targetE0EEEvT1_,@function
_ZN7rocprim17ROCPRIM_400000_NS6detail17trampoline_kernelINS0_14default_configENS1_25partition_config_selectorILNS1_17partition_subalgoE8ElNS0_10empty_typeEbEEZZNS1_14partition_implILS5_8ELb0ES3_jPKlPS6_PKS6_NS0_5tupleIJPlS6_EEENSE_IJSB_SB_EEENS0_18inequality_wrapperIN6hipcub16HIPCUB_304000_NS8EqualityEEESF_JS6_EEE10hipError_tPvRmT3_T4_T5_T6_T7_T9_mT8_P12ihipStream_tbDpT10_ENKUlT_T0_E_clISt17integral_constantIbLb1EES15_IbLb0EEEEDaS11_S12_EUlS11_E_NS1_11comp_targetILNS1_3genE8ELNS1_11target_archE1030ELNS1_3gpuE2ELNS1_3repE0EEENS1_30default_config_static_selectorELNS0_4arch9wavefront6targetE0EEEvT1_: ; @_ZN7rocprim17ROCPRIM_400000_NS6detail17trampoline_kernelINS0_14default_configENS1_25partition_config_selectorILNS1_17partition_subalgoE8ElNS0_10empty_typeEbEEZZNS1_14partition_implILS5_8ELb0ES3_jPKlPS6_PKS6_NS0_5tupleIJPlS6_EEENSE_IJSB_SB_EEENS0_18inequality_wrapperIN6hipcub16HIPCUB_304000_NS8EqualityEEESF_JS6_EEE10hipError_tPvRmT3_T4_T5_T6_T7_T9_mT8_P12ihipStream_tbDpT10_ENKUlT_T0_E_clISt17integral_constantIbLb1EES15_IbLb0EEEEDaS11_S12_EUlS11_E_NS1_11comp_targetILNS1_3genE8ELNS1_11target_archE1030ELNS1_3gpuE2ELNS1_3repE0EEENS1_30default_config_static_selectorELNS0_4arch9wavefront6targetE0EEEvT1_
; %bb.0:
	s_endpgm
	.section	.rodata,"a",@progbits
	.p2align	6, 0x0
	.amdhsa_kernel _ZN7rocprim17ROCPRIM_400000_NS6detail17trampoline_kernelINS0_14default_configENS1_25partition_config_selectorILNS1_17partition_subalgoE8ElNS0_10empty_typeEbEEZZNS1_14partition_implILS5_8ELb0ES3_jPKlPS6_PKS6_NS0_5tupleIJPlS6_EEENSE_IJSB_SB_EEENS0_18inequality_wrapperIN6hipcub16HIPCUB_304000_NS8EqualityEEESF_JS6_EEE10hipError_tPvRmT3_T4_T5_T6_T7_T9_mT8_P12ihipStream_tbDpT10_ENKUlT_T0_E_clISt17integral_constantIbLb1EES15_IbLb0EEEEDaS11_S12_EUlS11_E_NS1_11comp_targetILNS1_3genE8ELNS1_11target_archE1030ELNS1_3gpuE2ELNS1_3repE0EEENS1_30default_config_static_selectorELNS0_4arch9wavefront6targetE0EEEvT1_
		.amdhsa_group_segment_fixed_size 0
		.amdhsa_private_segment_fixed_size 0
		.amdhsa_kernarg_size 112
		.amdhsa_user_sgpr_count 6
		.amdhsa_user_sgpr_private_segment_buffer 1
		.amdhsa_user_sgpr_dispatch_ptr 0
		.amdhsa_user_sgpr_queue_ptr 0
		.amdhsa_user_sgpr_kernarg_segment_ptr 1
		.amdhsa_user_sgpr_dispatch_id 0
		.amdhsa_user_sgpr_flat_scratch_init 0
		.amdhsa_user_sgpr_private_segment_size 0
		.amdhsa_wavefront_size32 1
		.amdhsa_uses_dynamic_stack 0
		.amdhsa_system_sgpr_private_segment_wavefront_offset 0
		.amdhsa_system_sgpr_workgroup_id_x 1
		.amdhsa_system_sgpr_workgroup_id_y 0
		.amdhsa_system_sgpr_workgroup_id_z 0
		.amdhsa_system_sgpr_workgroup_info 0
		.amdhsa_system_vgpr_workitem_id 0
		.amdhsa_next_free_vgpr 1
		.amdhsa_next_free_sgpr 1
		.amdhsa_reserve_vcc 0
		.amdhsa_reserve_flat_scratch 0
		.amdhsa_float_round_mode_32 0
		.amdhsa_float_round_mode_16_64 0
		.amdhsa_float_denorm_mode_32 3
		.amdhsa_float_denorm_mode_16_64 3
		.amdhsa_dx10_clamp 1
		.amdhsa_ieee_mode 1
		.amdhsa_fp16_overflow 0
		.amdhsa_workgroup_processor_mode 1
		.amdhsa_memory_ordered 1
		.amdhsa_forward_progress 1
		.amdhsa_shared_vgpr_count 0
		.amdhsa_exception_fp_ieee_invalid_op 0
		.amdhsa_exception_fp_denorm_src 0
		.amdhsa_exception_fp_ieee_div_zero 0
		.amdhsa_exception_fp_ieee_overflow 0
		.amdhsa_exception_fp_ieee_underflow 0
		.amdhsa_exception_fp_ieee_inexact 0
		.amdhsa_exception_int_div_zero 0
	.end_amdhsa_kernel
	.section	.text._ZN7rocprim17ROCPRIM_400000_NS6detail17trampoline_kernelINS0_14default_configENS1_25partition_config_selectorILNS1_17partition_subalgoE8ElNS0_10empty_typeEbEEZZNS1_14partition_implILS5_8ELb0ES3_jPKlPS6_PKS6_NS0_5tupleIJPlS6_EEENSE_IJSB_SB_EEENS0_18inequality_wrapperIN6hipcub16HIPCUB_304000_NS8EqualityEEESF_JS6_EEE10hipError_tPvRmT3_T4_T5_T6_T7_T9_mT8_P12ihipStream_tbDpT10_ENKUlT_T0_E_clISt17integral_constantIbLb1EES15_IbLb0EEEEDaS11_S12_EUlS11_E_NS1_11comp_targetILNS1_3genE8ELNS1_11target_archE1030ELNS1_3gpuE2ELNS1_3repE0EEENS1_30default_config_static_selectorELNS0_4arch9wavefront6targetE0EEEvT1_,"axG",@progbits,_ZN7rocprim17ROCPRIM_400000_NS6detail17trampoline_kernelINS0_14default_configENS1_25partition_config_selectorILNS1_17partition_subalgoE8ElNS0_10empty_typeEbEEZZNS1_14partition_implILS5_8ELb0ES3_jPKlPS6_PKS6_NS0_5tupleIJPlS6_EEENSE_IJSB_SB_EEENS0_18inequality_wrapperIN6hipcub16HIPCUB_304000_NS8EqualityEEESF_JS6_EEE10hipError_tPvRmT3_T4_T5_T6_T7_T9_mT8_P12ihipStream_tbDpT10_ENKUlT_T0_E_clISt17integral_constantIbLb1EES15_IbLb0EEEEDaS11_S12_EUlS11_E_NS1_11comp_targetILNS1_3genE8ELNS1_11target_archE1030ELNS1_3gpuE2ELNS1_3repE0EEENS1_30default_config_static_selectorELNS0_4arch9wavefront6targetE0EEEvT1_,comdat
.Lfunc_end249:
	.size	_ZN7rocprim17ROCPRIM_400000_NS6detail17trampoline_kernelINS0_14default_configENS1_25partition_config_selectorILNS1_17partition_subalgoE8ElNS0_10empty_typeEbEEZZNS1_14partition_implILS5_8ELb0ES3_jPKlPS6_PKS6_NS0_5tupleIJPlS6_EEENSE_IJSB_SB_EEENS0_18inequality_wrapperIN6hipcub16HIPCUB_304000_NS8EqualityEEESF_JS6_EEE10hipError_tPvRmT3_T4_T5_T6_T7_T9_mT8_P12ihipStream_tbDpT10_ENKUlT_T0_E_clISt17integral_constantIbLb1EES15_IbLb0EEEEDaS11_S12_EUlS11_E_NS1_11comp_targetILNS1_3genE8ELNS1_11target_archE1030ELNS1_3gpuE2ELNS1_3repE0EEENS1_30default_config_static_selectorELNS0_4arch9wavefront6targetE0EEEvT1_, .Lfunc_end249-_ZN7rocprim17ROCPRIM_400000_NS6detail17trampoline_kernelINS0_14default_configENS1_25partition_config_selectorILNS1_17partition_subalgoE8ElNS0_10empty_typeEbEEZZNS1_14partition_implILS5_8ELb0ES3_jPKlPS6_PKS6_NS0_5tupleIJPlS6_EEENSE_IJSB_SB_EEENS0_18inequality_wrapperIN6hipcub16HIPCUB_304000_NS8EqualityEEESF_JS6_EEE10hipError_tPvRmT3_T4_T5_T6_T7_T9_mT8_P12ihipStream_tbDpT10_ENKUlT_T0_E_clISt17integral_constantIbLb1EES15_IbLb0EEEEDaS11_S12_EUlS11_E_NS1_11comp_targetILNS1_3genE8ELNS1_11target_archE1030ELNS1_3gpuE2ELNS1_3repE0EEENS1_30default_config_static_selectorELNS0_4arch9wavefront6targetE0EEEvT1_
                                        ; -- End function
	.set _ZN7rocprim17ROCPRIM_400000_NS6detail17trampoline_kernelINS0_14default_configENS1_25partition_config_selectorILNS1_17partition_subalgoE8ElNS0_10empty_typeEbEEZZNS1_14partition_implILS5_8ELb0ES3_jPKlPS6_PKS6_NS0_5tupleIJPlS6_EEENSE_IJSB_SB_EEENS0_18inequality_wrapperIN6hipcub16HIPCUB_304000_NS8EqualityEEESF_JS6_EEE10hipError_tPvRmT3_T4_T5_T6_T7_T9_mT8_P12ihipStream_tbDpT10_ENKUlT_T0_E_clISt17integral_constantIbLb1EES15_IbLb0EEEEDaS11_S12_EUlS11_E_NS1_11comp_targetILNS1_3genE8ELNS1_11target_archE1030ELNS1_3gpuE2ELNS1_3repE0EEENS1_30default_config_static_selectorELNS0_4arch9wavefront6targetE0EEEvT1_.num_vgpr, 0
	.set _ZN7rocprim17ROCPRIM_400000_NS6detail17trampoline_kernelINS0_14default_configENS1_25partition_config_selectorILNS1_17partition_subalgoE8ElNS0_10empty_typeEbEEZZNS1_14partition_implILS5_8ELb0ES3_jPKlPS6_PKS6_NS0_5tupleIJPlS6_EEENSE_IJSB_SB_EEENS0_18inequality_wrapperIN6hipcub16HIPCUB_304000_NS8EqualityEEESF_JS6_EEE10hipError_tPvRmT3_T4_T5_T6_T7_T9_mT8_P12ihipStream_tbDpT10_ENKUlT_T0_E_clISt17integral_constantIbLb1EES15_IbLb0EEEEDaS11_S12_EUlS11_E_NS1_11comp_targetILNS1_3genE8ELNS1_11target_archE1030ELNS1_3gpuE2ELNS1_3repE0EEENS1_30default_config_static_selectorELNS0_4arch9wavefront6targetE0EEEvT1_.num_agpr, 0
	.set _ZN7rocprim17ROCPRIM_400000_NS6detail17trampoline_kernelINS0_14default_configENS1_25partition_config_selectorILNS1_17partition_subalgoE8ElNS0_10empty_typeEbEEZZNS1_14partition_implILS5_8ELb0ES3_jPKlPS6_PKS6_NS0_5tupleIJPlS6_EEENSE_IJSB_SB_EEENS0_18inequality_wrapperIN6hipcub16HIPCUB_304000_NS8EqualityEEESF_JS6_EEE10hipError_tPvRmT3_T4_T5_T6_T7_T9_mT8_P12ihipStream_tbDpT10_ENKUlT_T0_E_clISt17integral_constantIbLb1EES15_IbLb0EEEEDaS11_S12_EUlS11_E_NS1_11comp_targetILNS1_3genE8ELNS1_11target_archE1030ELNS1_3gpuE2ELNS1_3repE0EEENS1_30default_config_static_selectorELNS0_4arch9wavefront6targetE0EEEvT1_.numbered_sgpr, 0
	.set _ZN7rocprim17ROCPRIM_400000_NS6detail17trampoline_kernelINS0_14default_configENS1_25partition_config_selectorILNS1_17partition_subalgoE8ElNS0_10empty_typeEbEEZZNS1_14partition_implILS5_8ELb0ES3_jPKlPS6_PKS6_NS0_5tupleIJPlS6_EEENSE_IJSB_SB_EEENS0_18inequality_wrapperIN6hipcub16HIPCUB_304000_NS8EqualityEEESF_JS6_EEE10hipError_tPvRmT3_T4_T5_T6_T7_T9_mT8_P12ihipStream_tbDpT10_ENKUlT_T0_E_clISt17integral_constantIbLb1EES15_IbLb0EEEEDaS11_S12_EUlS11_E_NS1_11comp_targetILNS1_3genE8ELNS1_11target_archE1030ELNS1_3gpuE2ELNS1_3repE0EEENS1_30default_config_static_selectorELNS0_4arch9wavefront6targetE0EEEvT1_.num_named_barrier, 0
	.set _ZN7rocprim17ROCPRIM_400000_NS6detail17trampoline_kernelINS0_14default_configENS1_25partition_config_selectorILNS1_17partition_subalgoE8ElNS0_10empty_typeEbEEZZNS1_14partition_implILS5_8ELb0ES3_jPKlPS6_PKS6_NS0_5tupleIJPlS6_EEENSE_IJSB_SB_EEENS0_18inequality_wrapperIN6hipcub16HIPCUB_304000_NS8EqualityEEESF_JS6_EEE10hipError_tPvRmT3_T4_T5_T6_T7_T9_mT8_P12ihipStream_tbDpT10_ENKUlT_T0_E_clISt17integral_constantIbLb1EES15_IbLb0EEEEDaS11_S12_EUlS11_E_NS1_11comp_targetILNS1_3genE8ELNS1_11target_archE1030ELNS1_3gpuE2ELNS1_3repE0EEENS1_30default_config_static_selectorELNS0_4arch9wavefront6targetE0EEEvT1_.private_seg_size, 0
	.set _ZN7rocprim17ROCPRIM_400000_NS6detail17trampoline_kernelINS0_14default_configENS1_25partition_config_selectorILNS1_17partition_subalgoE8ElNS0_10empty_typeEbEEZZNS1_14partition_implILS5_8ELb0ES3_jPKlPS6_PKS6_NS0_5tupleIJPlS6_EEENSE_IJSB_SB_EEENS0_18inequality_wrapperIN6hipcub16HIPCUB_304000_NS8EqualityEEESF_JS6_EEE10hipError_tPvRmT3_T4_T5_T6_T7_T9_mT8_P12ihipStream_tbDpT10_ENKUlT_T0_E_clISt17integral_constantIbLb1EES15_IbLb0EEEEDaS11_S12_EUlS11_E_NS1_11comp_targetILNS1_3genE8ELNS1_11target_archE1030ELNS1_3gpuE2ELNS1_3repE0EEENS1_30default_config_static_selectorELNS0_4arch9wavefront6targetE0EEEvT1_.uses_vcc, 0
	.set _ZN7rocprim17ROCPRIM_400000_NS6detail17trampoline_kernelINS0_14default_configENS1_25partition_config_selectorILNS1_17partition_subalgoE8ElNS0_10empty_typeEbEEZZNS1_14partition_implILS5_8ELb0ES3_jPKlPS6_PKS6_NS0_5tupleIJPlS6_EEENSE_IJSB_SB_EEENS0_18inequality_wrapperIN6hipcub16HIPCUB_304000_NS8EqualityEEESF_JS6_EEE10hipError_tPvRmT3_T4_T5_T6_T7_T9_mT8_P12ihipStream_tbDpT10_ENKUlT_T0_E_clISt17integral_constantIbLb1EES15_IbLb0EEEEDaS11_S12_EUlS11_E_NS1_11comp_targetILNS1_3genE8ELNS1_11target_archE1030ELNS1_3gpuE2ELNS1_3repE0EEENS1_30default_config_static_selectorELNS0_4arch9wavefront6targetE0EEEvT1_.uses_flat_scratch, 0
	.set _ZN7rocprim17ROCPRIM_400000_NS6detail17trampoline_kernelINS0_14default_configENS1_25partition_config_selectorILNS1_17partition_subalgoE8ElNS0_10empty_typeEbEEZZNS1_14partition_implILS5_8ELb0ES3_jPKlPS6_PKS6_NS0_5tupleIJPlS6_EEENSE_IJSB_SB_EEENS0_18inequality_wrapperIN6hipcub16HIPCUB_304000_NS8EqualityEEESF_JS6_EEE10hipError_tPvRmT3_T4_T5_T6_T7_T9_mT8_P12ihipStream_tbDpT10_ENKUlT_T0_E_clISt17integral_constantIbLb1EES15_IbLb0EEEEDaS11_S12_EUlS11_E_NS1_11comp_targetILNS1_3genE8ELNS1_11target_archE1030ELNS1_3gpuE2ELNS1_3repE0EEENS1_30default_config_static_selectorELNS0_4arch9wavefront6targetE0EEEvT1_.has_dyn_sized_stack, 0
	.set _ZN7rocprim17ROCPRIM_400000_NS6detail17trampoline_kernelINS0_14default_configENS1_25partition_config_selectorILNS1_17partition_subalgoE8ElNS0_10empty_typeEbEEZZNS1_14partition_implILS5_8ELb0ES3_jPKlPS6_PKS6_NS0_5tupleIJPlS6_EEENSE_IJSB_SB_EEENS0_18inequality_wrapperIN6hipcub16HIPCUB_304000_NS8EqualityEEESF_JS6_EEE10hipError_tPvRmT3_T4_T5_T6_T7_T9_mT8_P12ihipStream_tbDpT10_ENKUlT_T0_E_clISt17integral_constantIbLb1EES15_IbLb0EEEEDaS11_S12_EUlS11_E_NS1_11comp_targetILNS1_3genE8ELNS1_11target_archE1030ELNS1_3gpuE2ELNS1_3repE0EEENS1_30default_config_static_selectorELNS0_4arch9wavefront6targetE0EEEvT1_.has_recursion, 0
	.set _ZN7rocprim17ROCPRIM_400000_NS6detail17trampoline_kernelINS0_14default_configENS1_25partition_config_selectorILNS1_17partition_subalgoE8ElNS0_10empty_typeEbEEZZNS1_14partition_implILS5_8ELb0ES3_jPKlPS6_PKS6_NS0_5tupleIJPlS6_EEENSE_IJSB_SB_EEENS0_18inequality_wrapperIN6hipcub16HIPCUB_304000_NS8EqualityEEESF_JS6_EEE10hipError_tPvRmT3_T4_T5_T6_T7_T9_mT8_P12ihipStream_tbDpT10_ENKUlT_T0_E_clISt17integral_constantIbLb1EES15_IbLb0EEEEDaS11_S12_EUlS11_E_NS1_11comp_targetILNS1_3genE8ELNS1_11target_archE1030ELNS1_3gpuE2ELNS1_3repE0EEENS1_30default_config_static_selectorELNS0_4arch9wavefront6targetE0EEEvT1_.has_indirect_call, 0
	.section	.AMDGPU.csdata,"",@progbits
; Kernel info:
; codeLenInByte = 4
; TotalNumSgprs: 0
; NumVgprs: 0
; ScratchSize: 0
; MemoryBound: 0
; FloatMode: 240
; IeeeMode: 1
; LDSByteSize: 0 bytes/workgroup (compile time only)
; SGPRBlocks: 0
; VGPRBlocks: 0
; NumSGPRsForWavesPerEU: 1
; NumVGPRsForWavesPerEU: 1
; Occupancy: 16
; WaveLimiterHint : 0
; COMPUTE_PGM_RSRC2:SCRATCH_EN: 0
; COMPUTE_PGM_RSRC2:USER_SGPR: 6
; COMPUTE_PGM_RSRC2:TRAP_HANDLER: 0
; COMPUTE_PGM_RSRC2:TGID_X_EN: 1
; COMPUTE_PGM_RSRC2:TGID_Y_EN: 0
; COMPUTE_PGM_RSRC2:TGID_Z_EN: 0
; COMPUTE_PGM_RSRC2:TIDIG_COMP_CNT: 0
	.section	.text._ZN7rocprim17ROCPRIM_400000_NS6detail17trampoline_kernelINS0_14default_configENS1_25partition_config_selectorILNS1_17partition_subalgoE8ElNS0_10empty_typeEbEEZZNS1_14partition_implILS5_8ELb0ES3_jPKlPS6_PKS6_NS0_5tupleIJPlS6_EEENSE_IJSB_SB_EEENS0_18inequality_wrapperIN6hipcub16HIPCUB_304000_NS8EqualityEEESF_JS6_EEE10hipError_tPvRmT3_T4_T5_T6_T7_T9_mT8_P12ihipStream_tbDpT10_ENKUlT_T0_E_clISt17integral_constantIbLb0EES15_IbLb1EEEEDaS11_S12_EUlS11_E_NS1_11comp_targetILNS1_3genE0ELNS1_11target_archE4294967295ELNS1_3gpuE0ELNS1_3repE0EEENS1_30default_config_static_selectorELNS0_4arch9wavefront6targetE0EEEvT1_,"axG",@progbits,_ZN7rocprim17ROCPRIM_400000_NS6detail17trampoline_kernelINS0_14default_configENS1_25partition_config_selectorILNS1_17partition_subalgoE8ElNS0_10empty_typeEbEEZZNS1_14partition_implILS5_8ELb0ES3_jPKlPS6_PKS6_NS0_5tupleIJPlS6_EEENSE_IJSB_SB_EEENS0_18inequality_wrapperIN6hipcub16HIPCUB_304000_NS8EqualityEEESF_JS6_EEE10hipError_tPvRmT3_T4_T5_T6_T7_T9_mT8_P12ihipStream_tbDpT10_ENKUlT_T0_E_clISt17integral_constantIbLb0EES15_IbLb1EEEEDaS11_S12_EUlS11_E_NS1_11comp_targetILNS1_3genE0ELNS1_11target_archE4294967295ELNS1_3gpuE0ELNS1_3repE0EEENS1_30default_config_static_selectorELNS0_4arch9wavefront6targetE0EEEvT1_,comdat
	.protected	_ZN7rocprim17ROCPRIM_400000_NS6detail17trampoline_kernelINS0_14default_configENS1_25partition_config_selectorILNS1_17partition_subalgoE8ElNS0_10empty_typeEbEEZZNS1_14partition_implILS5_8ELb0ES3_jPKlPS6_PKS6_NS0_5tupleIJPlS6_EEENSE_IJSB_SB_EEENS0_18inequality_wrapperIN6hipcub16HIPCUB_304000_NS8EqualityEEESF_JS6_EEE10hipError_tPvRmT3_T4_T5_T6_T7_T9_mT8_P12ihipStream_tbDpT10_ENKUlT_T0_E_clISt17integral_constantIbLb0EES15_IbLb1EEEEDaS11_S12_EUlS11_E_NS1_11comp_targetILNS1_3genE0ELNS1_11target_archE4294967295ELNS1_3gpuE0ELNS1_3repE0EEENS1_30default_config_static_selectorELNS0_4arch9wavefront6targetE0EEEvT1_ ; -- Begin function _ZN7rocprim17ROCPRIM_400000_NS6detail17trampoline_kernelINS0_14default_configENS1_25partition_config_selectorILNS1_17partition_subalgoE8ElNS0_10empty_typeEbEEZZNS1_14partition_implILS5_8ELb0ES3_jPKlPS6_PKS6_NS0_5tupleIJPlS6_EEENSE_IJSB_SB_EEENS0_18inequality_wrapperIN6hipcub16HIPCUB_304000_NS8EqualityEEESF_JS6_EEE10hipError_tPvRmT3_T4_T5_T6_T7_T9_mT8_P12ihipStream_tbDpT10_ENKUlT_T0_E_clISt17integral_constantIbLb0EES15_IbLb1EEEEDaS11_S12_EUlS11_E_NS1_11comp_targetILNS1_3genE0ELNS1_11target_archE4294967295ELNS1_3gpuE0ELNS1_3repE0EEENS1_30default_config_static_selectorELNS0_4arch9wavefront6targetE0EEEvT1_
	.globl	_ZN7rocprim17ROCPRIM_400000_NS6detail17trampoline_kernelINS0_14default_configENS1_25partition_config_selectorILNS1_17partition_subalgoE8ElNS0_10empty_typeEbEEZZNS1_14partition_implILS5_8ELb0ES3_jPKlPS6_PKS6_NS0_5tupleIJPlS6_EEENSE_IJSB_SB_EEENS0_18inequality_wrapperIN6hipcub16HIPCUB_304000_NS8EqualityEEESF_JS6_EEE10hipError_tPvRmT3_T4_T5_T6_T7_T9_mT8_P12ihipStream_tbDpT10_ENKUlT_T0_E_clISt17integral_constantIbLb0EES15_IbLb1EEEEDaS11_S12_EUlS11_E_NS1_11comp_targetILNS1_3genE0ELNS1_11target_archE4294967295ELNS1_3gpuE0ELNS1_3repE0EEENS1_30default_config_static_selectorELNS0_4arch9wavefront6targetE0EEEvT1_
	.p2align	8
	.type	_ZN7rocprim17ROCPRIM_400000_NS6detail17trampoline_kernelINS0_14default_configENS1_25partition_config_selectorILNS1_17partition_subalgoE8ElNS0_10empty_typeEbEEZZNS1_14partition_implILS5_8ELb0ES3_jPKlPS6_PKS6_NS0_5tupleIJPlS6_EEENSE_IJSB_SB_EEENS0_18inequality_wrapperIN6hipcub16HIPCUB_304000_NS8EqualityEEESF_JS6_EEE10hipError_tPvRmT3_T4_T5_T6_T7_T9_mT8_P12ihipStream_tbDpT10_ENKUlT_T0_E_clISt17integral_constantIbLb0EES15_IbLb1EEEEDaS11_S12_EUlS11_E_NS1_11comp_targetILNS1_3genE0ELNS1_11target_archE4294967295ELNS1_3gpuE0ELNS1_3repE0EEENS1_30default_config_static_selectorELNS0_4arch9wavefront6targetE0EEEvT1_,@function
_ZN7rocprim17ROCPRIM_400000_NS6detail17trampoline_kernelINS0_14default_configENS1_25partition_config_selectorILNS1_17partition_subalgoE8ElNS0_10empty_typeEbEEZZNS1_14partition_implILS5_8ELb0ES3_jPKlPS6_PKS6_NS0_5tupleIJPlS6_EEENSE_IJSB_SB_EEENS0_18inequality_wrapperIN6hipcub16HIPCUB_304000_NS8EqualityEEESF_JS6_EEE10hipError_tPvRmT3_T4_T5_T6_T7_T9_mT8_P12ihipStream_tbDpT10_ENKUlT_T0_E_clISt17integral_constantIbLb0EES15_IbLb1EEEEDaS11_S12_EUlS11_E_NS1_11comp_targetILNS1_3genE0ELNS1_11target_archE4294967295ELNS1_3gpuE0ELNS1_3repE0EEENS1_30default_config_static_selectorELNS0_4arch9wavefront6targetE0EEEvT1_: ; @_ZN7rocprim17ROCPRIM_400000_NS6detail17trampoline_kernelINS0_14default_configENS1_25partition_config_selectorILNS1_17partition_subalgoE8ElNS0_10empty_typeEbEEZZNS1_14partition_implILS5_8ELb0ES3_jPKlPS6_PKS6_NS0_5tupleIJPlS6_EEENSE_IJSB_SB_EEENS0_18inequality_wrapperIN6hipcub16HIPCUB_304000_NS8EqualityEEESF_JS6_EEE10hipError_tPvRmT3_T4_T5_T6_T7_T9_mT8_P12ihipStream_tbDpT10_ENKUlT_T0_E_clISt17integral_constantIbLb0EES15_IbLb1EEEEDaS11_S12_EUlS11_E_NS1_11comp_targetILNS1_3genE0ELNS1_11target_archE4294967295ELNS1_3gpuE0ELNS1_3repE0EEENS1_30default_config_static_selectorELNS0_4arch9wavefront6targetE0EEEvT1_
; %bb.0:
	.section	.rodata,"a",@progbits
	.p2align	6, 0x0
	.amdhsa_kernel _ZN7rocprim17ROCPRIM_400000_NS6detail17trampoline_kernelINS0_14default_configENS1_25partition_config_selectorILNS1_17partition_subalgoE8ElNS0_10empty_typeEbEEZZNS1_14partition_implILS5_8ELb0ES3_jPKlPS6_PKS6_NS0_5tupleIJPlS6_EEENSE_IJSB_SB_EEENS0_18inequality_wrapperIN6hipcub16HIPCUB_304000_NS8EqualityEEESF_JS6_EEE10hipError_tPvRmT3_T4_T5_T6_T7_T9_mT8_P12ihipStream_tbDpT10_ENKUlT_T0_E_clISt17integral_constantIbLb0EES15_IbLb1EEEEDaS11_S12_EUlS11_E_NS1_11comp_targetILNS1_3genE0ELNS1_11target_archE4294967295ELNS1_3gpuE0ELNS1_3repE0EEENS1_30default_config_static_selectorELNS0_4arch9wavefront6targetE0EEEvT1_
		.amdhsa_group_segment_fixed_size 0
		.amdhsa_private_segment_fixed_size 0
		.amdhsa_kernarg_size 128
		.amdhsa_user_sgpr_count 6
		.amdhsa_user_sgpr_private_segment_buffer 1
		.amdhsa_user_sgpr_dispatch_ptr 0
		.amdhsa_user_sgpr_queue_ptr 0
		.amdhsa_user_sgpr_kernarg_segment_ptr 1
		.amdhsa_user_sgpr_dispatch_id 0
		.amdhsa_user_sgpr_flat_scratch_init 0
		.amdhsa_user_sgpr_private_segment_size 0
		.amdhsa_wavefront_size32 1
		.amdhsa_uses_dynamic_stack 0
		.amdhsa_system_sgpr_private_segment_wavefront_offset 0
		.amdhsa_system_sgpr_workgroup_id_x 1
		.amdhsa_system_sgpr_workgroup_id_y 0
		.amdhsa_system_sgpr_workgroup_id_z 0
		.amdhsa_system_sgpr_workgroup_info 0
		.amdhsa_system_vgpr_workitem_id 0
		.amdhsa_next_free_vgpr 1
		.amdhsa_next_free_sgpr 1
		.amdhsa_reserve_vcc 0
		.amdhsa_reserve_flat_scratch 0
		.amdhsa_float_round_mode_32 0
		.amdhsa_float_round_mode_16_64 0
		.amdhsa_float_denorm_mode_32 3
		.amdhsa_float_denorm_mode_16_64 3
		.amdhsa_dx10_clamp 1
		.amdhsa_ieee_mode 1
		.amdhsa_fp16_overflow 0
		.amdhsa_workgroup_processor_mode 1
		.amdhsa_memory_ordered 1
		.amdhsa_forward_progress 1
		.amdhsa_shared_vgpr_count 0
		.amdhsa_exception_fp_ieee_invalid_op 0
		.amdhsa_exception_fp_denorm_src 0
		.amdhsa_exception_fp_ieee_div_zero 0
		.amdhsa_exception_fp_ieee_overflow 0
		.amdhsa_exception_fp_ieee_underflow 0
		.amdhsa_exception_fp_ieee_inexact 0
		.amdhsa_exception_int_div_zero 0
	.end_amdhsa_kernel
	.section	.text._ZN7rocprim17ROCPRIM_400000_NS6detail17trampoline_kernelINS0_14default_configENS1_25partition_config_selectorILNS1_17partition_subalgoE8ElNS0_10empty_typeEbEEZZNS1_14partition_implILS5_8ELb0ES3_jPKlPS6_PKS6_NS0_5tupleIJPlS6_EEENSE_IJSB_SB_EEENS0_18inequality_wrapperIN6hipcub16HIPCUB_304000_NS8EqualityEEESF_JS6_EEE10hipError_tPvRmT3_T4_T5_T6_T7_T9_mT8_P12ihipStream_tbDpT10_ENKUlT_T0_E_clISt17integral_constantIbLb0EES15_IbLb1EEEEDaS11_S12_EUlS11_E_NS1_11comp_targetILNS1_3genE0ELNS1_11target_archE4294967295ELNS1_3gpuE0ELNS1_3repE0EEENS1_30default_config_static_selectorELNS0_4arch9wavefront6targetE0EEEvT1_,"axG",@progbits,_ZN7rocprim17ROCPRIM_400000_NS6detail17trampoline_kernelINS0_14default_configENS1_25partition_config_selectorILNS1_17partition_subalgoE8ElNS0_10empty_typeEbEEZZNS1_14partition_implILS5_8ELb0ES3_jPKlPS6_PKS6_NS0_5tupleIJPlS6_EEENSE_IJSB_SB_EEENS0_18inequality_wrapperIN6hipcub16HIPCUB_304000_NS8EqualityEEESF_JS6_EEE10hipError_tPvRmT3_T4_T5_T6_T7_T9_mT8_P12ihipStream_tbDpT10_ENKUlT_T0_E_clISt17integral_constantIbLb0EES15_IbLb1EEEEDaS11_S12_EUlS11_E_NS1_11comp_targetILNS1_3genE0ELNS1_11target_archE4294967295ELNS1_3gpuE0ELNS1_3repE0EEENS1_30default_config_static_selectorELNS0_4arch9wavefront6targetE0EEEvT1_,comdat
.Lfunc_end250:
	.size	_ZN7rocprim17ROCPRIM_400000_NS6detail17trampoline_kernelINS0_14default_configENS1_25partition_config_selectorILNS1_17partition_subalgoE8ElNS0_10empty_typeEbEEZZNS1_14partition_implILS5_8ELb0ES3_jPKlPS6_PKS6_NS0_5tupleIJPlS6_EEENSE_IJSB_SB_EEENS0_18inequality_wrapperIN6hipcub16HIPCUB_304000_NS8EqualityEEESF_JS6_EEE10hipError_tPvRmT3_T4_T5_T6_T7_T9_mT8_P12ihipStream_tbDpT10_ENKUlT_T0_E_clISt17integral_constantIbLb0EES15_IbLb1EEEEDaS11_S12_EUlS11_E_NS1_11comp_targetILNS1_3genE0ELNS1_11target_archE4294967295ELNS1_3gpuE0ELNS1_3repE0EEENS1_30default_config_static_selectorELNS0_4arch9wavefront6targetE0EEEvT1_, .Lfunc_end250-_ZN7rocprim17ROCPRIM_400000_NS6detail17trampoline_kernelINS0_14default_configENS1_25partition_config_selectorILNS1_17partition_subalgoE8ElNS0_10empty_typeEbEEZZNS1_14partition_implILS5_8ELb0ES3_jPKlPS6_PKS6_NS0_5tupleIJPlS6_EEENSE_IJSB_SB_EEENS0_18inequality_wrapperIN6hipcub16HIPCUB_304000_NS8EqualityEEESF_JS6_EEE10hipError_tPvRmT3_T4_T5_T6_T7_T9_mT8_P12ihipStream_tbDpT10_ENKUlT_T0_E_clISt17integral_constantIbLb0EES15_IbLb1EEEEDaS11_S12_EUlS11_E_NS1_11comp_targetILNS1_3genE0ELNS1_11target_archE4294967295ELNS1_3gpuE0ELNS1_3repE0EEENS1_30default_config_static_selectorELNS0_4arch9wavefront6targetE0EEEvT1_
                                        ; -- End function
	.set _ZN7rocprim17ROCPRIM_400000_NS6detail17trampoline_kernelINS0_14default_configENS1_25partition_config_selectorILNS1_17partition_subalgoE8ElNS0_10empty_typeEbEEZZNS1_14partition_implILS5_8ELb0ES3_jPKlPS6_PKS6_NS0_5tupleIJPlS6_EEENSE_IJSB_SB_EEENS0_18inequality_wrapperIN6hipcub16HIPCUB_304000_NS8EqualityEEESF_JS6_EEE10hipError_tPvRmT3_T4_T5_T6_T7_T9_mT8_P12ihipStream_tbDpT10_ENKUlT_T0_E_clISt17integral_constantIbLb0EES15_IbLb1EEEEDaS11_S12_EUlS11_E_NS1_11comp_targetILNS1_3genE0ELNS1_11target_archE4294967295ELNS1_3gpuE0ELNS1_3repE0EEENS1_30default_config_static_selectorELNS0_4arch9wavefront6targetE0EEEvT1_.num_vgpr, 0
	.set _ZN7rocprim17ROCPRIM_400000_NS6detail17trampoline_kernelINS0_14default_configENS1_25partition_config_selectorILNS1_17partition_subalgoE8ElNS0_10empty_typeEbEEZZNS1_14partition_implILS5_8ELb0ES3_jPKlPS6_PKS6_NS0_5tupleIJPlS6_EEENSE_IJSB_SB_EEENS0_18inequality_wrapperIN6hipcub16HIPCUB_304000_NS8EqualityEEESF_JS6_EEE10hipError_tPvRmT3_T4_T5_T6_T7_T9_mT8_P12ihipStream_tbDpT10_ENKUlT_T0_E_clISt17integral_constantIbLb0EES15_IbLb1EEEEDaS11_S12_EUlS11_E_NS1_11comp_targetILNS1_3genE0ELNS1_11target_archE4294967295ELNS1_3gpuE0ELNS1_3repE0EEENS1_30default_config_static_selectorELNS0_4arch9wavefront6targetE0EEEvT1_.num_agpr, 0
	.set _ZN7rocprim17ROCPRIM_400000_NS6detail17trampoline_kernelINS0_14default_configENS1_25partition_config_selectorILNS1_17partition_subalgoE8ElNS0_10empty_typeEbEEZZNS1_14partition_implILS5_8ELb0ES3_jPKlPS6_PKS6_NS0_5tupleIJPlS6_EEENSE_IJSB_SB_EEENS0_18inequality_wrapperIN6hipcub16HIPCUB_304000_NS8EqualityEEESF_JS6_EEE10hipError_tPvRmT3_T4_T5_T6_T7_T9_mT8_P12ihipStream_tbDpT10_ENKUlT_T0_E_clISt17integral_constantIbLb0EES15_IbLb1EEEEDaS11_S12_EUlS11_E_NS1_11comp_targetILNS1_3genE0ELNS1_11target_archE4294967295ELNS1_3gpuE0ELNS1_3repE0EEENS1_30default_config_static_selectorELNS0_4arch9wavefront6targetE0EEEvT1_.numbered_sgpr, 0
	.set _ZN7rocprim17ROCPRIM_400000_NS6detail17trampoline_kernelINS0_14default_configENS1_25partition_config_selectorILNS1_17partition_subalgoE8ElNS0_10empty_typeEbEEZZNS1_14partition_implILS5_8ELb0ES3_jPKlPS6_PKS6_NS0_5tupleIJPlS6_EEENSE_IJSB_SB_EEENS0_18inequality_wrapperIN6hipcub16HIPCUB_304000_NS8EqualityEEESF_JS6_EEE10hipError_tPvRmT3_T4_T5_T6_T7_T9_mT8_P12ihipStream_tbDpT10_ENKUlT_T0_E_clISt17integral_constantIbLb0EES15_IbLb1EEEEDaS11_S12_EUlS11_E_NS1_11comp_targetILNS1_3genE0ELNS1_11target_archE4294967295ELNS1_3gpuE0ELNS1_3repE0EEENS1_30default_config_static_selectorELNS0_4arch9wavefront6targetE0EEEvT1_.num_named_barrier, 0
	.set _ZN7rocprim17ROCPRIM_400000_NS6detail17trampoline_kernelINS0_14default_configENS1_25partition_config_selectorILNS1_17partition_subalgoE8ElNS0_10empty_typeEbEEZZNS1_14partition_implILS5_8ELb0ES3_jPKlPS6_PKS6_NS0_5tupleIJPlS6_EEENSE_IJSB_SB_EEENS0_18inequality_wrapperIN6hipcub16HIPCUB_304000_NS8EqualityEEESF_JS6_EEE10hipError_tPvRmT3_T4_T5_T6_T7_T9_mT8_P12ihipStream_tbDpT10_ENKUlT_T0_E_clISt17integral_constantIbLb0EES15_IbLb1EEEEDaS11_S12_EUlS11_E_NS1_11comp_targetILNS1_3genE0ELNS1_11target_archE4294967295ELNS1_3gpuE0ELNS1_3repE0EEENS1_30default_config_static_selectorELNS0_4arch9wavefront6targetE0EEEvT1_.private_seg_size, 0
	.set _ZN7rocprim17ROCPRIM_400000_NS6detail17trampoline_kernelINS0_14default_configENS1_25partition_config_selectorILNS1_17partition_subalgoE8ElNS0_10empty_typeEbEEZZNS1_14partition_implILS5_8ELb0ES3_jPKlPS6_PKS6_NS0_5tupleIJPlS6_EEENSE_IJSB_SB_EEENS0_18inequality_wrapperIN6hipcub16HIPCUB_304000_NS8EqualityEEESF_JS6_EEE10hipError_tPvRmT3_T4_T5_T6_T7_T9_mT8_P12ihipStream_tbDpT10_ENKUlT_T0_E_clISt17integral_constantIbLb0EES15_IbLb1EEEEDaS11_S12_EUlS11_E_NS1_11comp_targetILNS1_3genE0ELNS1_11target_archE4294967295ELNS1_3gpuE0ELNS1_3repE0EEENS1_30default_config_static_selectorELNS0_4arch9wavefront6targetE0EEEvT1_.uses_vcc, 0
	.set _ZN7rocprim17ROCPRIM_400000_NS6detail17trampoline_kernelINS0_14default_configENS1_25partition_config_selectorILNS1_17partition_subalgoE8ElNS0_10empty_typeEbEEZZNS1_14partition_implILS5_8ELb0ES3_jPKlPS6_PKS6_NS0_5tupleIJPlS6_EEENSE_IJSB_SB_EEENS0_18inequality_wrapperIN6hipcub16HIPCUB_304000_NS8EqualityEEESF_JS6_EEE10hipError_tPvRmT3_T4_T5_T6_T7_T9_mT8_P12ihipStream_tbDpT10_ENKUlT_T0_E_clISt17integral_constantIbLb0EES15_IbLb1EEEEDaS11_S12_EUlS11_E_NS1_11comp_targetILNS1_3genE0ELNS1_11target_archE4294967295ELNS1_3gpuE0ELNS1_3repE0EEENS1_30default_config_static_selectorELNS0_4arch9wavefront6targetE0EEEvT1_.uses_flat_scratch, 0
	.set _ZN7rocprim17ROCPRIM_400000_NS6detail17trampoline_kernelINS0_14default_configENS1_25partition_config_selectorILNS1_17partition_subalgoE8ElNS0_10empty_typeEbEEZZNS1_14partition_implILS5_8ELb0ES3_jPKlPS6_PKS6_NS0_5tupleIJPlS6_EEENSE_IJSB_SB_EEENS0_18inequality_wrapperIN6hipcub16HIPCUB_304000_NS8EqualityEEESF_JS6_EEE10hipError_tPvRmT3_T4_T5_T6_T7_T9_mT8_P12ihipStream_tbDpT10_ENKUlT_T0_E_clISt17integral_constantIbLb0EES15_IbLb1EEEEDaS11_S12_EUlS11_E_NS1_11comp_targetILNS1_3genE0ELNS1_11target_archE4294967295ELNS1_3gpuE0ELNS1_3repE0EEENS1_30default_config_static_selectorELNS0_4arch9wavefront6targetE0EEEvT1_.has_dyn_sized_stack, 0
	.set _ZN7rocprim17ROCPRIM_400000_NS6detail17trampoline_kernelINS0_14default_configENS1_25partition_config_selectorILNS1_17partition_subalgoE8ElNS0_10empty_typeEbEEZZNS1_14partition_implILS5_8ELb0ES3_jPKlPS6_PKS6_NS0_5tupleIJPlS6_EEENSE_IJSB_SB_EEENS0_18inequality_wrapperIN6hipcub16HIPCUB_304000_NS8EqualityEEESF_JS6_EEE10hipError_tPvRmT3_T4_T5_T6_T7_T9_mT8_P12ihipStream_tbDpT10_ENKUlT_T0_E_clISt17integral_constantIbLb0EES15_IbLb1EEEEDaS11_S12_EUlS11_E_NS1_11comp_targetILNS1_3genE0ELNS1_11target_archE4294967295ELNS1_3gpuE0ELNS1_3repE0EEENS1_30default_config_static_selectorELNS0_4arch9wavefront6targetE0EEEvT1_.has_recursion, 0
	.set _ZN7rocprim17ROCPRIM_400000_NS6detail17trampoline_kernelINS0_14default_configENS1_25partition_config_selectorILNS1_17partition_subalgoE8ElNS0_10empty_typeEbEEZZNS1_14partition_implILS5_8ELb0ES3_jPKlPS6_PKS6_NS0_5tupleIJPlS6_EEENSE_IJSB_SB_EEENS0_18inequality_wrapperIN6hipcub16HIPCUB_304000_NS8EqualityEEESF_JS6_EEE10hipError_tPvRmT3_T4_T5_T6_T7_T9_mT8_P12ihipStream_tbDpT10_ENKUlT_T0_E_clISt17integral_constantIbLb0EES15_IbLb1EEEEDaS11_S12_EUlS11_E_NS1_11comp_targetILNS1_3genE0ELNS1_11target_archE4294967295ELNS1_3gpuE0ELNS1_3repE0EEENS1_30default_config_static_selectorELNS0_4arch9wavefront6targetE0EEEvT1_.has_indirect_call, 0
	.section	.AMDGPU.csdata,"",@progbits
; Kernel info:
; codeLenInByte = 0
; TotalNumSgprs: 0
; NumVgprs: 0
; ScratchSize: 0
; MemoryBound: 0
; FloatMode: 240
; IeeeMode: 1
; LDSByteSize: 0 bytes/workgroup (compile time only)
; SGPRBlocks: 0
; VGPRBlocks: 0
; NumSGPRsForWavesPerEU: 1
; NumVGPRsForWavesPerEU: 1
; Occupancy: 16
; WaveLimiterHint : 0
; COMPUTE_PGM_RSRC2:SCRATCH_EN: 0
; COMPUTE_PGM_RSRC2:USER_SGPR: 6
; COMPUTE_PGM_RSRC2:TRAP_HANDLER: 0
; COMPUTE_PGM_RSRC2:TGID_X_EN: 1
; COMPUTE_PGM_RSRC2:TGID_Y_EN: 0
; COMPUTE_PGM_RSRC2:TGID_Z_EN: 0
; COMPUTE_PGM_RSRC2:TIDIG_COMP_CNT: 0
	.section	.text._ZN7rocprim17ROCPRIM_400000_NS6detail17trampoline_kernelINS0_14default_configENS1_25partition_config_selectorILNS1_17partition_subalgoE8ElNS0_10empty_typeEbEEZZNS1_14partition_implILS5_8ELb0ES3_jPKlPS6_PKS6_NS0_5tupleIJPlS6_EEENSE_IJSB_SB_EEENS0_18inequality_wrapperIN6hipcub16HIPCUB_304000_NS8EqualityEEESF_JS6_EEE10hipError_tPvRmT3_T4_T5_T6_T7_T9_mT8_P12ihipStream_tbDpT10_ENKUlT_T0_E_clISt17integral_constantIbLb0EES15_IbLb1EEEEDaS11_S12_EUlS11_E_NS1_11comp_targetILNS1_3genE5ELNS1_11target_archE942ELNS1_3gpuE9ELNS1_3repE0EEENS1_30default_config_static_selectorELNS0_4arch9wavefront6targetE0EEEvT1_,"axG",@progbits,_ZN7rocprim17ROCPRIM_400000_NS6detail17trampoline_kernelINS0_14default_configENS1_25partition_config_selectorILNS1_17partition_subalgoE8ElNS0_10empty_typeEbEEZZNS1_14partition_implILS5_8ELb0ES3_jPKlPS6_PKS6_NS0_5tupleIJPlS6_EEENSE_IJSB_SB_EEENS0_18inequality_wrapperIN6hipcub16HIPCUB_304000_NS8EqualityEEESF_JS6_EEE10hipError_tPvRmT3_T4_T5_T6_T7_T9_mT8_P12ihipStream_tbDpT10_ENKUlT_T0_E_clISt17integral_constantIbLb0EES15_IbLb1EEEEDaS11_S12_EUlS11_E_NS1_11comp_targetILNS1_3genE5ELNS1_11target_archE942ELNS1_3gpuE9ELNS1_3repE0EEENS1_30default_config_static_selectorELNS0_4arch9wavefront6targetE0EEEvT1_,comdat
	.protected	_ZN7rocprim17ROCPRIM_400000_NS6detail17trampoline_kernelINS0_14default_configENS1_25partition_config_selectorILNS1_17partition_subalgoE8ElNS0_10empty_typeEbEEZZNS1_14partition_implILS5_8ELb0ES3_jPKlPS6_PKS6_NS0_5tupleIJPlS6_EEENSE_IJSB_SB_EEENS0_18inequality_wrapperIN6hipcub16HIPCUB_304000_NS8EqualityEEESF_JS6_EEE10hipError_tPvRmT3_T4_T5_T6_T7_T9_mT8_P12ihipStream_tbDpT10_ENKUlT_T0_E_clISt17integral_constantIbLb0EES15_IbLb1EEEEDaS11_S12_EUlS11_E_NS1_11comp_targetILNS1_3genE5ELNS1_11target_archE942ELNS1_3gpuE9ELNS1_3repE0EEENS1_30default_config_static_selectorELNS0_4arch9wavefront6targetE0EEEvT1_ ; -- Begin function _ZN7rocprim17ROCPRIM_400000_NS6detail17trampoline_kernelINS0_14default_configENS1_25partition_config_selectorILNS1_17partition_subalgoE8ElNS0_10empty_typeEbEEZZNS1_14partition_implILS5_8ELb0ES3_jPKlPS6_PKS6_NS0_5tupleIJPlS6_EEENSE_IJSB_SB_EEENS0_18inequality_wrapperIN6hipcub16HIPCUB_304000_NS8EqualityEEESF_JS6_EEE10hipError_tPvRmT3_T4_T5_T6_T7_T9_mT8_P12ihipStream_tbDpT10_ENKUlT_T0_E_clISt17integral_constantIbLb0EES15_IbLb1EEEEDaS11_S12_EUlS11_E_NS1_11comp_targetILNS1_3genE5ELNS1_11target_archE942ELNS1_3gpuE9ELNS1_3repE0EEENS1_30default_config_static_selectorELNS0_4arch9wavefront6targetE0EEEvT1_
	.globl	_ZN7rocprim17ROCPRIM_400000_NS6detail17trampoline_kernelINS0_14default_configENS1_25partition_config_selectorILNS1_17partition_subalgoE8ElNS0_10empty_typeEbEEZZNS1_14partition_implILS5_8ELb0ES3_jPKlPS6_PKS6_NS0_5tupleIJPlS6_EEENSE_IJSB_SB_EEENS0_18inequality_wrapperIN6hipcub16HIPCUB_304000_NS8EqualityEEESF_JS6_EEE10hipError_tPvRmT3_T4_T5_T6_T7_T9_mT8_P12ihipStream_tbDpT10_ENKUlT_T0_E_clISt17integral_constantIbLb0EES15_IbLb1EEEEDaS11_S12_EUlS11_E_NS1_11comp_targetILNS1_3genE5ELNS1_11target_archE942ELNS1_3gpuE9ELNS1_3repE0EEENS1_30default_config_static_selectorELNS0_4arch9wavefront6targetE0EEEvT1_
	.p2align	8
	.type	_ZN7rocprim17ROCPRIM_400000_NS6detail17trampoline_kernelINS0_14default_configENS1_25partition_config_selectorILNS1_17partition_subalgoE8ElNS0_10empty_typeEbEEZZNS1_14partition_implILS5_8ELb0ES3_jPKlPS6_PKS6_NS0_5tupleIJPlS6_EEENSE_IJSB_SB_EEENS0_18inequality_wrapperIN6hipcub16HIPCUB_304000_NS8EqualityEEESF_JS6_EEE10hipError_tPvRmT3_T4_T5_T6_T7_T9_mT8_P12ihipStream_tbDpT10_ENKUlT_T0_E_clISt17integral_constantIbLb0EES15_IbLb1EEEEDaS11_S12_EUlS11_E_NS1_11comp_targetILNS1_3genE5ELNS1_11target_archE942ELNS1_3gpuE9ELNS1_3repE0EEENS1_30default_config_static_selectorELNS0_4arch9wavefront6targetE0EEEvT1_,@function
_ZN7rocprim17ROCPRIM_400000_NS6detail17trampoline_kernelINS0_14default_configENS1_25partition_config_selectorILNS1_17partition_subalgoE8ElNS0_10empty_typeEbEEZZNS1_14partition_implILS5_8ELb0ES3_jPKlPS6_PKS6_NS0_5tupleIJPlS6_EEENSE_IJSB_SB_EEENS0_18inequality_wrapperIN6hipcub16HIPCUB_304000_NS8EqualityEEESF_JS6_EEE10hipError_tPvRmT3_T4_T5_T6_T7_T9_mT8_P12ihipStream_tbDpT10_ENKUlT_T0_E_clISt17integral_constantIbLb0EES15_IbLb1EEEEDaS11_S12_EUlS11_E_NS1_11comp_targetILNS1_3genE5ELNS1_11target_archE942ELNS1_3gpuE9ELNS1_3repE0EEENS1_30default_config_static_selectorELNS0_4arch9wavefront6targetE0EEEvT1_: ; @_ZN7rocprim17ROCPRIM_400000_NS6detail17trampoline_kernelINS0_14default_configENS1_25partition_config_selectorILNS1_17partition_subalgoE8ElNS0_10empty_typeEbEEZZNS1_14partition_implILS5_8ELb0ES3_jPKlPS6_PKS6_NS0_5tupleIJPlS6_EEENSE_IJSB_SB_EEENS0_18inequality_wrapperIN6hipcub16HIPCUB_304000_NS8EqualityEEESF_JS6_EEE10hipError_tPvRmT3_T4_T5_T6_T7_T9_mT8_P12ihipStream_tbDpT10_ENKUlT_T0_E_clISt17integral_constantIbLb0EES15_IbLb1EEEEDaS11_S12_EUlS11_E_NS1_11comp_targetILNS1_3genE5ELNS1_11target_archE942ELNS1_3gpuE9ELNS1_3repE0EEENS1_30default_config_static_selectorELNS0_4arch9wavefront6targetE0EEEvT1_
; %bb.0:
	.section	.rodata,"a",@progbits
	.p2align	6, 0x0
	.amdhsa_kernel _ZN7rocprim17ROCPRIM_400000_NS6detail17trampoline_kernelINS0_14default_configENS1_25partition_config_selectorILNS1_17partition_subalgoE8ElNS0_10empty_typeEbEEZZNS1_14partition_implILS5_8ELb0ES3_jPKlPS6_PKS6_NS0_5tupleIJPlS6_EEENSE_IJSB_SB_EEENS0_18inequality_wrapperIN6hipcub16HIPCUB_304000_NS8EqualityEEESF_JS6_EEE10hipError_tPvRmT3_T4_T5_T6_T7_T9_mT8_P12ihipStream_tbDpT10_ENKUlT_T0_E_clISt17integral_constantIbLb0EES15_IbLb1EEEEDaS11_S12_EUlS11_E_NS1_11comp_targetILNS1_3genE5ELNS1_11target_archE942ELNS1_3gpuE9ELNS1_3repE0EEENS1_30default_config_static_selectorELNS0_4arch9wavefront6targetE0EEEvT1_
		.amdhsa_group_segment_fixed_size 0
		.amdhsa_private_segment_fixed_size 0
		.amdhsa_kernarg_size 128
		.amdhsa_user_sgpr_count 6
		.amdhsa_user_sgpr_private_segment_buffer 1
		.amdhsa_user_sgpr_dispatch_ptr 0
		.amdhsa_user_sgpr_queue_ptr 0
		.amdhsa_user_sgpr_kernarg_segment_ptr 1
		.amdhsa_user_sgpr_dispatch_id 0
		.amdhsa_user_sgpr_flat_scratch_init 0
		.amdhsa_user_sgpr_private_segment_size 0
		.amdhsa_wavefront_size32 1
		.amdhsa_uses_dynamic_stack 0
		.amdhsa_system_sgpr_private_segment_wavefront_offset 0
		.amdhsa_system_sgpr_workgroup_id_x 1
		.amdhsa_system_sgpr_workgroup_id_y 0
		.amdhsa_system_sgpr_workgroup_id_z 0
		.amdhsa_system_sgpr_workgroup_info 0
		.amdhsa_system_vgpr_workitem_id 0
		.amdhsa_next_free_vgpr 1
		.amdhsa_next_free_sgpr 1
		.amdhsa_reserve_vcc 0
		.amdhsa_reserve_flat_scratch 0
		.amdhsa_float_round_mode_32 0
		.amdhsa_float_round_mode_16_64 0
		.amdhsa_float_denorm_mode_32 3
		.amdhsa_float_denorm_mode_16_64 3
		.amdhsa_dx10_clamp 1
		.amdhsa_ieee_mode 1
		.amdhsa_fp16_overflow 0
		.amdhsa_workgroup_processor_mode 1
		.amdhsa_memory_ordered 1
		.amdhsa_forward_progress 1
		.amdhsa_shared_vgpr_count 0
		.amdhsa_exception_fp_ieee_invalid_op 0
		.amdhsa_exception_fp_denorm_src 0
		.amdhsa_exception_fp_ieee_div_zero 0
		.amdhsa_exception_fp_ieee_overflow 0
		.amdhsa_exception_fp_ieee_underflow 0
		.amdhsa_exception_fp_ieee_inexact 0
		.amdhsa_exception_int_div_zero 0
	.end_amdhsa_kernel
	.section	.text._ZN7rocprim17ROCPRIM_400000_NS6detail17trampoline_kernelINS0_14default_configENS1_25partition_config_selectorILNS1_17partition_subalgoE8ElNS0_10empty_typeEbEEZZNS1_14partition_implILS5_8ELb0ES3_jPKlPS6_PKS6_NS0_5tupleIJPlS6_EEENSE_IJSB_SB_EEENS0_18inequality_wrapperIN6hipcub16HIPCUB_304000_NS8EqualityEEESF_JS6_EEE10hipError_tPvRmT3_T4_T5_T6_T7_T9_mT8_P12ihipStream_tbDpT10_ENKUlT_T0_E_clISt17integral_constantIbLb0EES15_IbLb1EEEEDaS11_S12_EUlS11_E_NS1_11comp_targetILNS1_3genE5ELNS1_11target_archE942ELNS1_3gpuE9ELNS1_3repE0EEENS1_30default_config_static_selectorELNS0_4arch9wavefront6targetE0EEEvT1_,"axG",@progbits,_ZN7rocprim17ROCPRIM_400000_NS6detail17trampoline_kernelINS0_14default_configENS1_25partition_config_selectorILNS1_17partition_subalgoE8ElNS0_10empty_typeEbEEZZNS1_14partition_implILS5_8ELb0ES3_jPKlPS6_PKS6_NS0_5tupleIJPlS6_EEENSE_IJSB_SB_EEENS0_18inequality_wrapperIN6hipcub16HIPCUB_304000_NS8EqualityEEESF_JS6_EEE10hipError_tPvRmT3_T4_T5_T6_T7_T9_mT8_P12ihipStream_tbDpT10_ENKUlT_T0_E_clISt17integral_constantIbLb0EES15_IbLb1EEEEDaS11_S12_EUlS11_E_NS1_11comp_targetILNS1_3genE5ELNS1_11target_archE942ELNS1_3gpuE9ELNS1_3repE0EEENS1_30default_config_static_selectorELNS0_4arch9wavefront6targetE0EEEvT1_,comdat
.Lfunc_end251:
	.size	_ZN7rocprim17ROCPRIM_400000_NS6detail17trampoline_kernelINS0_14default_configENS1_25partition_config_selectorILNS1_17partition_subalgoE8ElNS0_10empty_typeEbEEZZNS1_14partition_implILS5_8ELb0ES3_jPKlPS6_PKS6_NS0_5tupleIJPlS6_EEENSE_IJSB_SB_EEENS0_18inequality_wrapperIN6hipcub16HIPCUB_304000_NS8EqualityEEESF_JS6_EEE10hipError_tPvRmT3_T4_T5_T6_T7_T9_mT8_P12ihipStream_tbDpT10_ENKUlT_T0_E_clISt17integral_constantIbLb0EES15_IbLb1EEEEDaS11_S12_EUlS11_E_NS1_11comp_targetILNS1_3genE5ELNS1_11target_archE942ELNS1_3gpuE9ELNS1_3repE0EEENS1_30default_config_static_selectorELNS0_4arch9wavefront6targetE0EEEvT1_, .Lfunc_end251-_ZN7rocprim17ROCPRIM_400000_NS6detail17trampoline_kernelINS0_14default_configENS1_25partition_config_selectorILNS1_17partition_subalgoE8ElNS0_10empty_typeEbEEZZNS1_14partition_implILS5_8ELb0ES3_jPKlPS6_PKS6_NS0_5tupleIJPlS6_EEENSE_IJSB_SB_EEENS0_18inequality_wrapperIN6hipcub16HIPCUB_304000_NS8EqualityEEESF_JS6_EEE10hipError_tPvRmT3_T4_T5_T6_T7_T9_mT8_P12ihipStream_tbDpT10_ENKUlT_T0_E_clISt17integral_constantIbLb0EES15_IbLb1EEEEDaS11_S12_EUlS11_E_NS1_11comp_targetILNS1_3genE5ELNS1_11target_archE942ELNS1_3gpuE9ELNS1_3repE0EEENS1_30default_config_static_selectorELNS0_4arch9wavefront6targetE0EEEvT1_
                                        ; -- End function
	.set _ZN7rocprim17ROCPRIM_400000_NS6detail17trampoline_kernelINS0_14default_configENS1_25partition_config_selectorILNS1_17partition_subalgoE8ElNS0_10empty_typeEbEEZZNS1_14partition_implILS5_8ELb0ES3_jPKlPS6_PKS6_NS0_5tupleIJPlS6_EEENSE_IJSB_SB_EEENS0_18inequality_wrapperIN6hipcub16HIPCUB_304000_NS8EqualityEEESF_JS6_EEE10hipError_tPvRmT3_T4_T5_T6_T7_T9_mT8_P12ihipStream_tbDpT10_ENKUlT_T0_E_clISt17integral_constantIbLb0EES15_IbLb1EEEEDaS11_S12_EUlS11_E_NS1_11comp_targetILNS1_3genE5ELNS1_11target_archE942ELNS1_3gpuE9ELNS1_3repE0EEENS1_30default_config_static_selectorELNS0_4arch9wavefront6targetE0EEEvT1_.num_vgpr, 0
	.set _ZN7rocprim17ROCPRIM_400000_NS6detail17trampoline_kernelINS0_14default_configENS1_25partition_config_selectorILNS1_17partition_subalgoE8ElNS0_10empty_typeEbEEZZNS1_14partition_implILS5_8ELb0ES3_jPKlPS6_PKS6_NS0_5tupleIJPlS6_EEENSE_IJSB_SB_EEENS0_18inequality_wrapperIN6hipcub16HIPCUB_304000_NS8EqualityEEESF_JS6_EEE10hipError_tPvRmT3_T4_T5_T6_T7_T9_mT8_P12ihipStream_tbDpT10_ENKUlT_T0_E_clISt17integral_constantIbLb0EES15_IbLb1EEEEDaS11_S12_EUlS11_E_NS1_11comp_targetILNS1_3genE5ELNS1_11target_archE942ELNS1_3gpuE9ELNS1_3repE0EEENS1_30default_config_static_selectorELNS0_4arch9wavefront6targetE0EEEvT1_.num_agpr, 0
	.set _ZN7rocprim17ROCPRIM_400000_NS6detail17trampoline_kernelINS0_14default_configENS1_25partition_config_selectorILNS1_17partition_subalgoE8ElNS0_10empty_typeEbEEZZNS1_14partition_implILS5_8ELb0ES3_jPKlPS6_PKS6_NS0_5tupleIJPlS6_EEENSE_IJSB_SB_EEENS0_18inequality_wrapperIN6hipcub16HIPCUB_304000_NS8EqualityEEESF_JS6_EEE10hipError_tPvRmT3_T4_T5_T6_T7_T9_mT8_P12ihipStream_tbDpT10_ENKUlT_T0_E_clISt17integral_constantIbLb0EES15_IbLb1EEEEDaS11_S12_EUlS11_E_NS1_11comp_targetILNS1_3genE5ELNS1_11target_archE942ELNS1_3gpuE9ELNS1_3repE0EEENS1_30default_config_static_selectorELNS0_4arch9wavefront6targetE0EEEvT1_.numbered_sgpr, 0
	.set _ZN7rocprim17ROCPRIM_400000_NS6detail17trampoline_kernelINS0_14default_configENS1_25partition_config_selectorILNS1_17partition_subalgoE8ElNS0_10empty_typeEbEEZZNS1_14partition_implILS5_8ELb0ES3_jPKlPS6_PKS6_NS0_5tupleIJPlS6_EEENSE_IJSB_SB_EEENS0_18inequality_wrapperIN6hipcub16HIPCUB_304000_NS8EqualityEEESF_JS6_EEE10hipError_tPvRmT3_T4_T5_T6_T7_T9_mT8_P12ihipStream_tbDpT10_ENKUlT_T0_E_clISt17integral_constantIbLb0EES15_IbLb1EEEEDaS11_S12_EUlS11_E_NS1_11comp_targetILNS1_3genE5ELNS1_11target_archE942ELNS1_3gpuE9ELNS1_3repE0EEENS1_30default_config_static_selectorELNS0_4arch9wavefront6targetE0EEEvT1_.num_named_barrier, 0
	.set _ZN7rocprim17ROCPRIM_400000_NS6detail17trampoline_kernelINS0_14default_configENS1_25partition_config_selectorILNS1_17partition_subalgoE8ElNS0_10empty_typeEbEEZZNS1_14partition_implILS5_8ELb0ES3_jPKlPS6_PKS6_NS0_5tupleIJPlS6_EEENSE_IJSB_SB_EEENS0_18inequality_wrapperIN6hipcub16HIPCUB_304000_NS8EqualityEEESF_JS6_EEE10hipError_tPvRmT3_T4_T5_T6_T7_T9_mT8_P12ihipStream_tbDpT10_ENKUlT_T0_E_clISt17integral_constantIbLb0EES15_IbLb1EEEEDaS11_S12_EUlS11_E_NS1_11comp_targetILNS1_3genE5ELNS1_11target_archE942ELNS1_3gpuE9ELNS1_3repE0EEENS1_30default_config_static_selectorELNS0_4arch9wavefront6targetE0EEEvT1_.private_seg_size, 0
	.set _ZN7rocprim17ROCPRIM_400000_NS6detail17trampoline_kernelINS0_14default_configENS1_25partition_config_selectorILNS1_17partition_subalgoE8ElNS0_10empty_typeEbEEZZNS1_14partition_implILS5_8ELb0ES3_jPKlPS6_PKS6_NS0_5tupleIJPlS6_EEENSE_IJSB_SB_EEENS0_18inequality_wrapperIN6hipcub16HIPCUB_304000_NS8EqualityEEESF_JS6_EEE10hipError_tPvRmT3_T4_T5_T6_T7_T9_mT8_P12ihipStream_tbDpT10_ENKUlT_T0_E_clISt17integral_constantIbLb0EES15_IbLb1EEEEDaS11_S12_EUlS11_E_NS1_11comp_targetILNS1_3genE5ELNS1_11target_archE942ELNS1_3gpuE9ELNS1_3repE0EEENS1_30default_config_static_selectorELNS0_4arch9wavefront6targetE0EEEvT1_.uses_vcc, 0
	.set _ZN7rocprim17ROCPRIM_400000_NS6detail17trampoline_kernelINS0_14default_configENS1_25partition_config_selectorILNS1_17partition_subalgoE8ElNS0_10empty_typeEbEEZZNS1_14partition_implILS5_8ELb0ES3_jPKlPS6_PKS6_NS0_5tupleIJPlS6_EEENSE_IJSB_SB_EEENS0_18inequality_wrapperIN6hipcub16HIPCUB_304000_NS8EqualityEEESF_JS6_EEE10hipError_tPvRmT3_T4_T5_T6_T7_T9_mT8_P12ihipStream_tbDpT10_ENKUlT_T0_E_clISt17integral_constantIbLb0EES15_IbLb1EEEEDaS11_S12_EUlS11_E_NS1_11comp_targetILNS1_3genE5ELNS1_11target_archE942ELNS1_3gpuE9ELNS1_3repE0EEENS1_30default_config_static_selectorELNS0_4arch9wavefront6targetE0EEEvT1_.uses_flat_scratch, 0
	.set _ZN7rocprim17ROCPRIM_400000_NS6detail17trampoline_kernelINS0_14default_configENS1_25partition_config_selectorILNS1_17partition_subalgoE8ElNS0_10empty_typeEbEEZZNS1_14partition_implILS5_8ELb0ES3_jPKlPS6_PKS6_NS0_5tupleIJPlS6_EEENSE_IJSB_SB_EEENS0_18inequality_wrapperIN6hipcub16HIPCUB_304000_NS8EqualityEEESF_JS6_EEE10hipError_tPvRmT3_T4_T5_T6_T7_T9_mT8_P12ihipStream_tbDpT10_ENKUlT_T0_E_clISt17integral_constantIbLb0EES15_IbLb1EEEEDaS11_S12_EUlS11_E_NS1_11comp_targetILNS1_3genE5ELNS1_11target_archE942ELNS1_3gpuE9ELNS1_3repE0EEENS1_30default_config_static_selectorELNS0_4arch9wavefront6targetE0EEEvT1_.has_dyn_sized_stack, 0
	.set _ZN7rocprim17ROCPRIM_400000_NS6detail17trampoline_kernelINS0_14default_configENS1_25partition_config_selectorILNS1_17partition_subalgoE8ElNS0_10empty_typeEbEEZZNS1_14partition_implILS5_8ELb0ES3_jPKlPS6_PKS6_NS0_5tupleIJPlS6_EEENSE_IJSB_SB_EEENS0_18inequality_wrapperIN6hipcub16HIPCUB_304000_NS8EqualityEEESF_JS6_EEE10hipError_tPvRmT3_T4_T5_T6_T7_T9_mT8_P12ihipStream_tbDpT10_ENKUlT_T0_E_clISt17integral_constantIbLb0EES15_IbLb1EEEEDaS11_S12_EUlS11_E_NS1_11comp_targetILNS1_3genE5ELNS1_11target_archE942ELNS1_3gpuE9ELNS1_3repE0EEENS1_30default_config_static_selectorELNS0_4arch9wavefront6targetE0EEEvT1_.has_recursion, 0
	.set _ZN7rocprim17ROCPRIM_400000_NS6detail17trampoline_kernelINS0_14default_configENS1_25partition_config_selectorILNS1_17partition_subalgoE8ElNS0_10empty_typeEbEEZZNS1_14partition_implILS5_8ELb0ES3_jPKlPS6_PKS6_NS0_5tupleIJPlS6_EEENSE_IJSB_SB_EEENS0_18inequality_wrapperIN6hipcub16HIPCUB_304000_NS8EqualityEEESF_JS6_EEE10hipError_tPvRmT3_T4_T5_T6_T7_T9_mT8_P12ihipStream_tbDpT10_ENKUlT_T0_E_clISt17integral_constantIbLb0EES15_IbLb1EEEEDaS11_S12_EUlS11_E_NS1_11comp_targetILNS1_3genE5ELNS1_11target_archE942ELNS1_3gpuE9ELNS1_3repE0EEENS1_30default_config_static_selectorELNS0_4arch9wavefront6targetE0EEEvT1_.has_indirect_call, 0
	.section	.AMDGPU.csdata,"",@progbits
; Kernel info:
; codeLenInByte = 0
; TotalNumSgprs: 0
; NumVgprs: 0
; ScratchSize: 0
; MemoryBound: 0
; FloatMode: 240
; IeeeMode: 1
; LDSByteSize: 0 bytes/workgroup (compile time only)
; SGPRBlocks: 0
; VGPRBlocks: 0
; NumSGPRsForWavesPerEU: 1
; NumVGPRsForWavesPerEU: 1
; Occupancy: 16
; WaveLimiterHint : 0
; COMPUTE_PGM_RSRC2:SCRATCH_EN: 0
; COMPUTE_PGM_RSRC2:USER_SGPR: 6
; COMPUTE_PGM_RSRC2:TRAP_HANDLER: 0
; COMPUTE_PGM_RSRC2:TGID_X_EN: 1
; COMPUTE_PGM_RSRC2:TGID_Y_EN: 0
; COMPUTE_PGM_RSRC2:TGID_Z_EN: 0
; COMPUTE_PGM_RSRC2:TIDIG_COMP_CNT: 0
	.section	.text._ZN7rocprim17ROCPRIM_400000_NS6detail17trampoline_kernelINS0_14default_configENS1_25partition_config_selectorILNS1_17partition_subalgoE8ElNS0_10empty_typeEbEEZZNS1_14partition_implILS5_8ELb0ES3_jPKlPS6_PKS6_NS0_5tupleIJPlS6_EEENSE_IJSB_SB_EEENS0_18inequality_wrapperIN6hipcub16HIPCUB_304000_NS8EqualityEEESF_JS6_EEE10hipError_tPvRmT3_T4_T5_T6_T7_T9_mT8_P12ihipStream_tbDpT10_ENKUlT_T0_E_clISt17integral_constantIbLb0EES15_IbLb1EEEEDaS11_S12_EUlS11_E_NS1_11comp_targetILNS1_3genE4ELNS1_11target_archE910ELNS1_3gpuE8ELNS1_3repE0EEENS1_30default_config_static_selectorELNS0_4arch9wavefront6targetE0EEEvT1_,"axG",@progbits,_ZN7rocprim17ROCPRIM_400000_NS6detail17trampoline_kernelINS0_14default_configENS1_25partition_config_selectorILNS1_17partition_subalgoE8ElNS0_10empty_typeEbEEZZNS1_14partition_implILS5_8ELb0ES3_jPKlPS6_PKS6_NS0_5tupleIJPlS6_EEENSE_IJSB_SB_EEENS0_18inequality_wrapperIN6hipcub16HIPCUB_304000_NS8EqualityEEESF_JS6_EEE10hipError_tPvRmT3_T4_T5_T6_T7_T9_mT8_P12ihipStream_tbDpT10_ENKUlT_T0_E_clISt17integral_constantIbLb0EES15_IbLb1EEEEDaS11_S12_EUlS11_E_NS1_11comp_targetILNS1_3genE4ELNS1_11target_archE910ELNS1_3gpuE8ELNS1_3repE0EEENS1_30default_config_static_selectorELNS0_4arch9wavefront6targetE0EEEvT1_,comdat
	.protected	_ZN7rocprim17ROCPRIM_400000_NS6detail17trampoline_kernelINS0_14default_configENS1_25partition_config_selectorILNS1_17partition_subalgoE8ElNS0_10empty_typeEbEEZZNS1_14partition_implILS5_8ELb0ES3_jPKlPS6_PKS6_NS0_5tupleIJPlS6_EEENSE_IJSB_SB_EEENS0_18inequality_wrapperIN6hipcub16HIPCUB_304000_NS8EqualityEEESF_JS6_EEE10hipError_tPvRmT3_T4_T5_T6_T7_T9_mT8_P12ihipStream_tbDpT10_ENKUlT_T0_E_clISt17integral_constantIbLb0EES15_IbLb1EEEEDaS11_S12_EUlS11_E_NS1_11comp_targetILNS1_3genE4ELNS1_11target_archE910ELNS1_3gpuE8ELNS1_3repE0EEENS1_30default_config_static_selectorELNS0_4arch9wavefront6targetE0EEEvT1_ ; -- Begin function _ZN7rocprim17ROCPRIM_400000_NS6detail17trampoline_kernelINS0_14default_configENS1_25partition_config_selectorILNS1_17partition_subalgoE8ElNS0_10empty_typeEbEEZZNS1_14partition_implILS5_8ELb0ES3_jPKlPS6_PKS6_NS0_5tupleIJPlS6_EEENSE_IJSB_SB_EEENS0_18inequality_wrapperIN6hipcub16HIPCUB_304000_NS8EqualityEEESF_JS6_EEE10hipError_tPvRmT3_T4_T5_T6_T7_T9_mT8_P12ihipStream_tbDpT10_ENKUlT_T0_E_clISt17integral_constantIbLb0EES15_IbLb1EEEEDaS11_S12_EUlS11_E_NS1_11comp_targetILNS1_3genE4ELNS1_11target_archE910ELNS1_3gpuE8ELNS1_3repE0EEENS1_30default_config_static_selectorELNS0_4arch9wavefront6targetE0EEEvT1_
	.globl	_ZN7rocprim17ROCPRIM_400000_NS6detail17trampoline_kernelINS0_14default_configENS1_25partition_config_selectorILNS1_17partition_subalgoE8ElNS0_10empty_typeEbEEZZNS1_14partition_implILS5_8ELb0ES3_jPKlPS6_PKS6_NS0_5tupleIJPlS6_EEENSE_IJSB_SB_EEENS0_18inequality_wrapperIN6hipcub16HIPCUB_304000_NS8EqualityEEESF_JS6_EEE10hipError_tPvRmT3_T4_T5_T6_T7_T9_mT8_P12ihipStream_tbDpT10_ENKUlT_T0_E_clISt17integral_constantIbLb0EES15_IbLb1EEEEDaS11_S12_EUlS11_E_NS1_11comp_targetILNS1_3genE4ELNS1_11target_archE910ELNS1_3gpuE8ELNS1_3repE0EEENS1_30default_config_static_selectorELNS0_4arch9wavefront6targetE0EEEvT1_
	.p2align	8
	.type	_ZN7rocprim17ROCPRIM_400000_NS6detail17trampoline_kernelINS0_14default_configENS1_25partition_config_selectorILNS1_17partition_subalgoE8ElNS0_10empty_typeEbEEZZNS1_14partition_implILS5_8ELb0ES3_jPKlPS6_PKS6_NS0_5tupleIJPlS6_EEENSE_IJSB_SB_EEENS0_18inequality_wrapperIN6hipcub16HIPCUB_304000_NS8EqualityEEESF_JS6_EEE10hipError_tPvRmT3_T4_T5_T6_T7_T9_mT8_P12ihipStream_tbDpT10_ENKUlT_T0_E_clISt17integral_constantIbLb0EES15_IbLb1EEEEDaS11_S12_EUlS11_E_NS1_11comp_targetILNS1_3genE4ELNS1_11target_archE910ELNS1_3gpuE8ELNS1_3repE0EEENS1_30default_config_static_selectorELNS0_4arch9wavefront6targetE0EEEvT1_,@function
_ZN7rocprim17ROCPRIM_400000_NS6detail17trampoline_kernelINS0_14default_configENS1_25partition_config_selectorILNS1_17partition_subalgoE8ElNS0_10empty_typeEbEEZZNS1_14partition_implILS5_8ELb0ES3_jPKlPS6_PKS6_NS0_5tupleIJPlS6_EEENSE_IJSB_SB_EEENS0_18inequality_wrapperIN6hipcub16HIPCUB_304000_NS8EqualityEEESF_JS6_EEE10hipError_tPvRmT3_T4_T5_T6_T7_T9_mT8_P12ihipStream_tbDpT10_ENKUlT_T0_E_clISt17integral_constantIbLb0EES15_IbLb1EEEEDaS11_S12_EUlS11_E_NS1_11comp_targetILNS1_3genE4ELNS1_11target_archE910ELNS1_3gpuE8ELNS1_3repE0EEENS1_30default_config_static_selectorELNS0_4arch9wavefront6targetE0EEEvT1_: ; @_ZN7rocprim17ROCPRIM_400000_NS6detail17trampoline_kernelINS0_14default_configENS1_25partition_config_selectorILNS1_17partition_subalgoE8ElNS0_10empty_typeEbEEZZNS1_14partition_implILS5_8ELb0ES3_jPKlPS6_PKS6_NS0_5tupleIJPlS6_EEENSE_IJSB_SB_EEENS0_18inequality_wrapperIN6hipcub16HIPCUB_304000_NS8EqualityEEESF_JS6_EEE10hipError_tPvRmT3_T4_T5_T6_T7_T9_mT8_P12ihipStream_tbDpT10_ENKUlT_T0_E_clISt17integral_constantIbLb0EES15_IbLb1EEEEDaS11_S12_EUlS11_E_NS1_11comp_targetILNS1_3genE4ELNS1_11target_archE910ELNS1_3gpuE8ELNS1_3repE0EEENS1_30default_config_static_selectorELNS0_4arch9wavefront6targetE0EEEvT1_
; %bb.0:
	.section	.rodata,"a",@progbits
	.p2align	6, 0x0
	.amdhsa_kernel _ZN7rocprim17ROCPRIM_400000_NS6detail17trampoline_kernelINS0_14default_configENS1_25partition_config_selectorILNS1_17partition_subalgoE8ElNS0_10empty_typeEbEEZZNS1_14partition_implILS5_8ELb0ES3_jPKlPS6_PKS6_NS0_5tupleIJPlS6_EEENSE_IJSB_SB_EEENS0_18inequality_wrapperIN6hipcub16HIPCUB_304000_NS8EqualityEEESF_JS6_EEE10hipError_tPvRmT3_T4_T5_T6_T7_T9_mT8_P12ihipStream_tbDpT10_ENKUlT_T0_E_clISt17integral_constantIbLb0EES15_IbLb1EEEEDaS11_S12_EUlS11_E_NS1_11comp_targetILNS1_3genE4ELNS1_11target_archE910ELNS1_3gpuE8ELNS1_3repE0EEENS1_30default_config_static_selectorELNS0_4arch9wavefront6targetE0EEEvT1_
		.amdhsa_group_segment_fixed_size 0
		.amdhsa_private_segment_fixed_size 0
		.amdhsa_kernarg_size 128
		.amdhsa_user_sgpr_count 6
		.amdhsa_user_sgpr_private_segment_buffer 1
		.amdhsa_user_sgpr_dispatch_ptr 0
		.amdhsa_user_sgpr_queue_ptr 0
		.amdhsa_user_sgpr_kernarg_segment_ptr 1
		.amdhsa_user_sgpr_dispatch_id 0
		.amdhsa_user_sgpr_flat_scratch_init 0
		.amdhsa_user_sgpr_private_segment_size 0
		.amdhsa_wavefront_size32 1
		.amdhsa_uses_dynamic_stack 0
		.amdhsa_system_sgpr_private_segment_wavefront_offset 0
		.amdhsa_system_sgpr_workgroup_id_x 1
		.amdhsa_system_sgpr_workgroup_id_y 0
		.amdhsa_system_sgpr_workgroup_id_z 0
		.amdhsa_system_sgpr_workgroup_info 0
		.amdhsa_system_vgpr_workitem_id 0
		.amdhsa_next_free_vgpr 1
		.amdhsa_next_free_sgpr 1
		.amdhsa_reserve_vcc 0
		.amdhsa_reserve_flat_scratch 0
		.amdhsa_float_round_mode_32 0
		.amdhsa_float_round_mode_16_64 0
		.amdhsa_float_denorm_mode_32 3
		.amdhsa_float_denorm_mode_16_64 3
		.amdhsa_dx10_clamp 1
		.amdhsa_ieee_mode 1
		.amdhsa_fp16_overflow 0
		.amdhsa_workgroup_processor_mode 1
		.amdhsa_memory_ordered 1
		.amdhsa_forward_progress 1
		.amdhsa_shared_vgpr_count 0
		.amdhsa_exception_fp_ieee_invalid_op 0
		.amdhsa_exception_fp_denorm_src 0
		.amdhsa_exception_fp_ieee_div_zero 0
		.amdhsa_exception_fp_ieee_overflow 0
		.amdhsa_exception_fp_ieee_underflow 0
		.amdhsa_exception_fp_ieee_inexact 0
		.amdhsa_exception_int_div_zero 0
	.end_amdhsa_kernel
	.section	.text._ZN7rocprim17ROCPRIM_400000_NS6detail17trampoline_kernelINS0_14default_configENS1_25partition_config_selectorILNS1_17partition_subalgoE8ElNS0_10empty_typeEbEEZZNS1_14partition_implILS5_8ELb0ES3_jPKlPS6_PKS6_NS0_5tupleIJPlS6_EEENSE_IJSB_SB_EEENS0_18inequality_wrapperIN6hipcub16HIPCUB_304000_NS8EqualityEEESF_JS6_EEE10hipError_tPvRmT3_T4_T5_T6_T7_T9_mT8_P12ihipStream_tbDpT10_ENKUlT_T0_E_clISt17integral_constantIbLb0EES15_IbLb1EEEEDaS11_S12_EUlS11_E_NS1_11comp_targetILNS1_3genE4ELNS1_11target_archE910ELNS1_3gpuE8ELNS1_3repE0EEENS1_30default_config_static_selectorELNS0_4arch9wavefront6targetE0EEEvT1_,"axG",@progbits,_ZN7rocprim17ROCPRIM_400000_NS6detail17trampoline_kernelINS0_14default_configENS1_25partition_config_selectorILNS1_17partition_subalgoE8ElNS0_10empty_typeEbEEZZNS1_14partition_implILS5_8ELb0ES3_jPKlPS6_PKS6_NS0_5tupleIJPlS6_EEENSE_IJSB_SB_EEENS0_18inequality_wrapperIN6hipcub16HIPCUB_304000_NS8EqualityEEESF_JS6_EEE10hipError_tPvRmT3_T4_T5_T6_T7_T9_mT8_P12ihipStream_tbDpT10_ENKUlT_T0_E_clISt17integral_constantIbLb0EES15_IbLb1EEEEDaS11_S12_EUlS11_E_NS1_11comp_targetILNS1_3genE4ELNS1_11target_archE910ELNS1_3gpuE8ELNS1_3repE0EEENS1_30default_config_static_selectorELNS0_4arch9wavefront6targetE0EEEvT1_,comdat
.Lfunc_end252:
	.size	_ZN7rocprim17ROCPRIM_400000_NS6detail17trampoline_kernelINS0_14default_configENS1_25partition_config_selectorILNS1_17partition_subalgoE8ElNS0_10empty_typeEbEEZZNS1_14partition_implILS5_8ELb0ES3_jPKlPS6_PKS6_NS0_5tupleIJPlS6_EEENSE_IJSB_SB_EEENS0_18inequality_wrapperIN6hipcub16HIPCUB_304000_NS8EqualityEEESF_JS6_EEE10hipError_tPvRmT3_T4_T5_T6_T7_T9_mT8_P12ihipStream_tbDpT10_ENKUlT_T0_E_clISt17integral_constantIbLb0EES15_IbLb1EEEEDaS11_S12_EUlS11_E_NS1_11comp_targetILNS1_3genE4ELNS1_11target_archE910ELNS1_3gpuE8ELNS1_3repE0EEENS1_30default_config_static_selectorELNS0_4arch9wavefront6targetE0EEEvT1_, .Lfunc_end252-_ZN7rocprim17ROCPRIM_400000_NS6detail17trampoline_kernelINS0_14default_configENS1_25partition_config_selectorILNS1_17partition_subalgoE8ElNS0_10empty_typeEbEEZZNS1_14partition_implILS5_8ELb0ES3_jPKlPS6_PKS6_NS0_5tupleIJPlS6_EEENSE_IJSB_SB_EEENS0_18inequality_wrapperIN6hipcub16HIPCUB_304000_NS8EqualityEEESF_JS6_EEE10hipError_tPvRmT3_T4_T5_T6_T7_T9_mT8_P12ihipStream_tbDpT10_ENKUlT_T0_E_clISt17integral_constantIbLb0EES15_IbLb1EEEEDaS11_S12_EUlS11_E_NS1_11comp_targetILNS1_3genE4ELNS1_11target_archE910ELNS1_3gpuE8ELNS1_3repE0EEENS1_30default_config_static_selectorELNS0_4arch9wavefront6targetE0EEEvT1_
                                        ; -- End function
	.set _ZN7rocprim17ROCPRIM_400000_NS6detail17trampoline_kernelINS0_14default_configENS1_25partition_config_selectorILNS1_17partition_subalgoE8ElNS0_10empty_typeEbEEZZNS1_14partition_implILS5_8ELb0ES3_jPKlPS6_PKS6_NS0_5tupleIJPlS6_EEENSE_IJSB_SB_EEENS0_18inequality_wrapperIN6hipcub16HIPCUB_304000_NS8EqualityEEESF_JS6_EEE10hipError_tPvRmT3_T4_T5_T6_T7_T9_mT8_P12ihipStream_tbDpT10_ENKUlT_T0_E_clISt17integral_constantIbLb0EES15_IbLb1EEEEDaS11_S12_EUlS11_E_NS1_11comp_targetILNS1_3genE4ELNS1_11target_archE910ELNS1_3gpuE8ELNS1_3repE0EEENS1_30default_config_static_selectorELNS0_4arch9wavefront6targetE0EEEvT1_.num_vgpr, 0
	.set _ZN7rocprim17ROCPRIM_400000_NS6detail17trampoline_kernelINS0_14default_configENS1_25partition_config_selectorILNS1_17partition_subalgoE8ElNS0_10empty_typeEbEEZZNS1_14partition_implILS5_8ELb0ES3_jPKlPS6_PKS6_NS0_5tupleIJPlS6_EEENSE_IJSB_SB_EEENS0_18inequality_wrapperIN6hipcub16HIPCUB_304000_NS8EqualityEEESF_JS6_EEE10hipError_tPvRmT3_T4_T5_T6_T7_T9_mT8_P12ihipStream_tbDpT10_ENKUlT_T0_E_clISt17integral_constantIbLb0EES15_IbLb1EEEEDaS11_S12_EUlS11_E_NS1_11comp_targetILNS1_3genE4ELNS1_11target_archE910ELNS1_3gpuE8ELNS1_3repE0EEENS1_30default_config_static_selectorELNS0_4arch9wavefront6targetE0EEEvT1_.num_agpr, 0
	.set _ZN7rocprim17ROCPRIM_400000_NS6detail17trampoline_kernelINS0_14default_configENS1_25partition_config_selectorILNS1_17partition_subalgoE8ElNS0_10empty_typeEbEEZZNS1_14partition_implILS5_8ELb0ES3_jPKlPS6_PKS6_NS0_5tupleIJPlS6_EEENSE_IJSB_SB_EEENS0_18inequality_wrapperIN6hipcub16HIPCUB_304000_NS8EqualityEEESF_JS6_EEE10hipError_tPvRmT3_T4_T5_T6_T7_T9_mT8_P12ihipStream_tbDpT10_ENKUlT_T0_E_clISt17integral_constantIbLb0EES15_IbLb1EEEEDaS11_S12_EUlS11_E_NS1_11comp_targetILNS1_3genE4ELNS1_11target_archE910ELNS1_3gpuE8ELNS1_3repE0EEENS1_30default_config_static_selectorELNS0_4arch9wavefront6targetE0EEEvT1_.numbered_sgpr, 0
	.set _ZN7rocprim17ROCPRIM_400000_NS6detail17trampoline_kernelINS0_14default_configENS1_25partition_config_selectorILNS1_17partition_subalgoE8ElNS0_10empty_typeEbEEZZNS1_14partition_implILS5_8ELb0ES3_jPKlPS6_PKS6_NS0_5tupleIJPlS6_EEENSE_IJSB_SB_EEENS0_18inequality_wrapperIN6hipcub16HIPCUB_304000_NS8EqualityEEESF_JS6_EEE10hipError_tPvRmT3_T4_T5_T6_T7_T9_mT8_P12ihipStream_tbDpT10_ENKUlT_T0_E_clISt17integral_constantIbLb0EES15_IbLb1EEEEDaS11_S12_EUlS11_E_NS1_11comp_targetILNS1_3genE4ELNS1_11target_archE910ELNS1_3gpuE8ELNS1_3repE0EEENS1_30default_config_static_selectorELNS0_4arch9wavefront6targetE0EEEvT1_.num_named_barrier, 0
	.set _ZN7rocprim17ROCPRIM_400000_NS6detail17trampoline_kernelINS0_14default_configENS1_25partition_config_selectorILNS1_17partition_subalgoE8ElNS0_10empty_typeEbEEZZNS1_14partition_implILS5_8ELb0ES3_jPKlPS6_PKS6_NS0_5tupleIJPlS6_EEENSE_IJSB_SB_EEENS0_18inequality_wrapperIN6hipcub16HIPCUB_304000_NS8EqualityEEESF_JS6_EEE10hipError_tPvRmT3_T4_T5_T6_T7_T9_mT8_P12ihipStream_tbDpT10_ENKUlT_T0_E_clISt17integral_constantIbLb0EES15_IbLb1EEEEDaS11_S12_EUlS11_E_NS1_11comp_targetILNS1_3genE4ELNS1_11target_archE910ELNS1_3gpuE8ELNS1_3repE0EEENS1_30default_config_static_selectorELNS0_4arch9wavefront6targetE0EEEvT1_.private_seg_size, 0
	.set _ZN7rocprim17ROCPRIM_400000_NS6detail17trampoline_kernelINS0_14default_configENS1_25partition_config_selectorILNS1_17partition_subalgoE8ElNS0_10empty_typeEbEEZZNS1_14partition_implILS5_8ELb0ES3_jPKlPS6_PKS6_NS0_5tupleIJPlS6_EEENSE_IJSB_SB_EEENS0_18inequality_wrapperIN6hipcub16HIPCUB_304000_NS8EqualityEEESF_JS6_EEE10hipError_tPvRmT3_T4_T5_T6_T7_T9_mT8_P12ihipStream_tbDpT10_ENKUlT_T0_E_clISt17integral_constantIbLb0EES15_IbLb1EEEEDaS11_S12_EUlS11_E_NS1_11comp_targetILNS1_3genE4ELNS1_11target_archE910ELNS1_3gpuE8ELNS1_3repE0EEENS1_30default_config_static_selectorELNS0_4arch9wavefront6targetE0EEEvT1_.uses_vcc, 0
	.set _ZN7rocprim17ROCPRIM_400000_NS6detail17trampoline_kernelINS0_14default_configENS1_25partition_config_selectorILNS1_17partition_subalgoE8ElNS0_10empty_typeEbEEZZNS1_14partition_implILS5_8ELb0ES3_jPKlPS6_PKS6_NS0_5tupleIJPlS6_EEENSE_IJSB_SB_EEENS0_18inequality_wrapperIN6hipcub16HIPCUB_304000_NS8EqualityEEESF_JS6_EEE10hipError_tPvRmT3_T4_T5_T6_T7_T9_mT8_P12ihipStream_tbDpT10_ENKUlT_T0_E_clISt17integral_constantIbLb0EES15_IbLb1EEEEDaS11_S12_EUlS11_E_NS1_11comp_targetILNS1_3genE4ELNS1_11target_archE910ELNS1_3gpuE8ELNS1_3repE0EEENS1_30default_config_static_selectorELNS0_4arch9wavefront6targetE0EEEvT1_.uses_flat_scratch, 0
	.set _ZN7rocprim17ROCPRIM_400000_NS6detail17trampoline_kernelINS0_14default_configENS1_25partition_config_selectorILNS1_17partition_subalgoE8ElNS0_10empty_typeEbEEZZNS1_14partition_implILS5_8ELb0ES3_jPKlPS6_PKS6_NS0_5tupleIJPlS6_EEENSE_IJSB_SB_EEENS0_18inequality_wrapperIN6hipcub16HIPCUB_304000_NS8EqualityEEESF_JS6_EEE10hipError_tPvRmT3_T4_T5_T6_T7_T9_mT8_P12ihipStream_tbDpT10_ENKUlT_T0_E_clISt17integral_constantIbLb0EES15_IbLb1EEEEDaS11_S12_EUlS11_E_NS1_11comp_targetILNS1_3genE4ELNS1_11target_archE910ELNS1_3gpuE8ELNS1_3repE0EEENS1_30default_config_static_selectorELNS0_4arch9wavefront6targetE0EEEvT1_.has_dyn_sized_stack, 0
	.set _ZN7rocprim17ROCPRIM_400000_NS6detail17trampoline_kernelINS0_14default_configENS1_25partition_config_selectorILNS1_17partition_subalgoE8ElNS0_10empty_typeEbEEZZNS1_14partition_implILS5_8ELb0ES3_jPKlPS6_PKS6_NS0_5tupleIJPlS6_EEENSE_IJSB_SB_EEENS0_18inequality_wrapperIN6hipcub16HIPCUB_304000_NS8EqualityEEESF_JS6_EEE10hipError_tPvRmT3_T4_T5_T6_T7_T9_mT8_P12ihipStream_tbDpT10_ENKUlT_T0_E_clISt17integral_constantIbLb0EES15_IbLb1EEEEDaS11_S12_EUlS11_E_NS1_11comp_targetILNS1_3genE4ELNS1_11target_archE910ELNS1_3gpuE8ELNS1_3repE0EEENS1_30default_config_static_selectorELNS0_4arch9wavefront6targetE0EEEvT1_.has_recursion, 0
	.set _ZN7rocprim17ROCPRIM_400000_NS6detail17trampoline_kernelINS0_14default_configENS1_25partition_config_selectorILNS1_17partition_subalgoE8ElNS0_10empty_typeEbEEZZNS1_14partition_implILS5_8ELb0ES3_jPKlPS6_PKS6_NS0_5tupleIJPlS6_EEENSE_IJSB_SB_EEENS0_18inequality_wrapperIN6hipcub16HIPCUB_304000_NS8EqualityEEESF_JS6_EEE10hipError_tPvRmT3_T4_T5_T6_T7_T9_mT8_P12ihipStream_tbDpT10_ENKUlT_T0_E_clISt17integral_constantIbLb0EES15_IbLb1EEEEDaS11_S12_EUlS11_E_NS1_11comp_targetILNS1_3genE4ELNS1_11target_archE910ELNS1_3gpuE8ELNS1_3repE0EEENS1_30default_config_static_selectorELNS0_4arch9wavefront6targetE0EEEvT1_.has_indirect_call, 0
	.section	.AMDGPU.csdata,"",@progbits
; Kernel info:
; codeLenInByte = 0
; TotalNumSgprs: 0
; NumVgprs: 0
; ScratchSize: 0
; MemoryBound: 0
; FloatMode: 240
; IeeeMode: 1
; LDSByteSize: 0 bytes/workgroup (compile time only)
; SGPRBlocks: 0
; VGPRBlocks: 0
; NumSGPRsForWavesPerEU: 1
; NumVGPRsForWavesPerEU: 1
; Occupancy: 16
; WaveLimiterHint : 0
; COMPUTE_PGM_RSRC2:SCRATCH_EN: 0
; COMPUTE_PGM_RSRC2:USER_SGPR: 6
; COMPUTE_PGM_RSRC2:TRAP_HANDLER: 0
; COMPUTE_PGM_RSRC2:TGID_X_EN: 1
; COMPUTE_PGM_RSRC2:TGID_Y_EN: 0
; COMPUTE_PGM_RSRC2:TGID_Z_EN: 0
; COMPUTE_PGM_RSRC2:TIDIG_COMP_CNT: 0
	.section	.text._ZN7rocprim17ROCPRIM_400000_NS6detail17trampoline_kernelINS0_14default_configENS1_25partition_config_selectorILNS1_17partition_subalgoE8ElNS0_10empty_typeEbEEZZNS1_14partition_implILS5_8ELb0ES3_jPKlPS6_PKS6_NS0_5tupleIJPlS6_EEENSE_IJSB_SB_EEENS0_18inequality_wrapperIN6hipcub16HIPCUB_304000_NS8EqualityEEESF_JS6_EEE10hipError_tPvRmT3_T4_T5_T6_T7_T9_mT8_P12ihipStream_tbDpT10_ENKUlT_T0_E_clISt17integral_constantIbLb0EES15_IbLb1EEEEDaS11_S12_EUlS11_E_NS1_11comp_targetILNS1_3genE3ELNS1_11target_archE908ELNS1_3gpuE7ELNS1_3repE0EEENS1_30default_config_static_selectorELNS0_4arch9wavefront6targetE0EEEvT1_,"axG",@progbits,_ZN7rocprim17ROCPRIM_400000_NS6detail17trampoline_kernelINS0_14default_configENS1_25partition_config_selectorILNS1_17partition_subalgoE8ElNS0_10empty_typeEbEEZZNS1_14partition_implILS5_8ELb0ES3_jPKlPS6_PKS6_NS0_5tupleIJPlS6_EEENSE_IJSB_SB_EEENS0_18inequality_wrapperIN6hipcub16HIPCUB_304000_NS8EqualityEEESF_JS6_EEE10hipError_tPvRmT3_T4_T5_T6_T7_T9_mT8_P12ihipStream_tbDpT10_ENKUlT_T0_E_clISt17integral_constantIbLb0EES15_IbLb1EEEEDaS11_S12_EUlS11_E_NS1_11comp_targetILNS1_3genE3ELNS1_11target_archE908ELNS1_3gpuE7ELNS1_3repE0EEENS1_30default_config_static_selectorELNS0_4arch9wavefront6targetE0EEEvT1_,comdat
	.protected	_ZN7rocprim17ROCPRIM_400000_NS6detail17trampoline_kernelINS0_14default_configENS1_25partition_config_selectorILNS1_17partition_subalgoE8ElNS0_10empty_typeEbEEZZNS1_14partition_implILS5_8ELb0ES3_jPKlPS6_PKS6_NS0_5tupleIJPlS6_EEENSE_IJSB_SB_EEENS0_18inequality_wrapperIN6hipcub16HIPCUB_304000_NS8EqualityEEESF_JS6_EEE10hipError_tPvRmT3_T4_T5_T6_T7_T9_mT8_P12ihipStream_tbDpT10_ENKUlT_T0_E_clISt17integral_constantIbLb0EES15_IbLb1EEEEDaS11_S12_EUlS11_E_NS1_11comp_targetILNS1_3genE3ELNS1_11target_archE908ELNS1_3gpuE7ELNS1_3repE0EEENS1_30default_config_static_selectorELNS0_4arch9wavefront6targetE0EEEvT1_ ; -- Begin function _ZN7rocprim17ROCPRIM_400000_NS6detail17trampoline_kernelINS0_14default_configENS1_25partition_config_selectorILNS1_17partition_subalgoE8ElNS0_10empty_typeEbEEZZNS1_14partition_implILS5_8ELb0ES3_jPKlPS6_PKS6_NS0_5tupleIJPlS6_EEENSE_IJSB_SB_EEENS0_18inequality_wrapperIN6hipcub16HIPCUB_304000_NS8EqualityEEESF_JS6_EEE10hipError_tPvRmT3_T4_T5_T6_T7_T9_mT8_P12ihipStream_tbDpT10_ENKUlT_T0_E_clISt17integral_constantIbLb0EES15_IbLb1EEEEDaS11_S12_EUlS11_E_NS1_11comp_targetILNS1_3genE3ELNS1_11target_archE908ELNS1_3gpuE7ELNS1_3repE0EEENS1_30default_config_static_selectorELNS0_4arch9wavefront6targetE0EEEvT1_
	.globl	_ZN7rocprim17ROCPRIM_400000_NS6detail17trampoline_kernelINS0_14default_configENS1_25partition_config_selectorILNS1_17partition_subalgoE8ElNS0_10empty_typeEbEEZZNS1_14partition_implILS5_8ELb0ES3_jPKlPS6_PKS6_NS0_5tupleIJPlS6_EEENSE_IJSB_SB_EEENS0_18inequality_wrapperIN6hipcub16HIPCUB_304000_NS8EqualityEEESF_JS6_EEE10hipError_tPvRmT3_T4_T5_T6_T7_T9_mT8_P12ihipStream_tbDpT10_ENKUlT_T0_E_clISt17integral_constantIbLb0EES15_IbLb1EEEEDaS11_S12_EUlS11_E_NS1_11comp_targetILNS1_3genE3ELNS1_11target_archE908ELNS1_3gpuE7ELNS1_3repE0EEENS1_30default_config_static_selectorELNS0_4arch9wavefront6targetE0EEEvT1_
	.p2align	8
	.type	_ZN7rocprim17ROCPRIM_400000_NS6detail17trampoline_kernelINS0_14default_configENS1_25partition_config_selectorILNS1_17partition_subalgoE8ElNS0_10empty_typeEbEEZZNS1_14partition_implILS5_8ELb0ES3_jPKlPS6_PKS6_NS0_5tupleIJPlS6_EEENSE_IJSB_SB_EEENS0_18inequality_wrapperIN6hipcub16HIPCUB_304000_NS8EqualityEEESF_JS6_EEE10hipError_tPvRmT3_T4_T5_T6_T7_T9_mT8_P12ihipStream_tbDpT10_ENKUlT_T0_E_clISt17integral_constantIbLb0EES15_IbLb1EEEEDaS11_S12_EUlS11_E_NS1_11comp_targetILNS1_3genE3ELNS1_11target_archE908ELNS1_3gpuE7ELNS1_3repE0EEENS1_30default_config_static_selectorELNS0_4arch9wavefront6targetE0EEEvT1_,@function
_ZN7rocprim17ROCPRIM_400000_NS6detail17trampoline_kernelINS0_14default_configENS1_25partition_config_selectorILNS1_17partition_subalgoE8ElNS0_10empty_typeEbEEZZNS1_14partition_implILS5_8ELb0ES3_jPKlPS6_PKS6_NS0_5tupleIJPlS6_EEENSE_IJSB_SB_EEENS0_18inequality_wrapperIN6hipcub16HIPCUB_304000_NS8EqualityEEESF_JS6_EEE10hipError_tPvRmT3_T4_T5_T6_T7_T9_mT8_P12ihipStream_tbDpT10_ENKUlT_T0_E_clISt17integral_constantIbLb0EES15_IbLb1EEEEDaS11_S12_EUlS11_E_NS1_11comp_targetILNS1_3genE3ELNS1_11target_archE908ELNS1_3gpuE7ELNS1_3repE0EEENS1_30default_config_static_selectorELNS0_4arch9wavefront6targetE0EEEvT1_: ; @_ZN7rocprim17ROCPRIM_400000_NS6detail17trampoline_kernelINS0_14default_configENS1_25partition_config_selectorILNS1_17partition_subalgoE8ElNS0_10empty_typeEbEEZZNS1_14partition_implILS5_8ELb0ES3_jPKlPS6_PKS6_NS0_5tupleIJPlS6_EEENSE_IJSB_SB_EEENS0_18inequality_wrapperIN6hipcub16HIPCUB_304000_NS8EqualityEEESF_JS6_EEE10hipError_tPvRmT3_T4_T5_T6_T7_T9_mT8_P12ihipStream_tbDpT10_ENKUlT_T0_E_clISt17integral_constantIbLb0EES15_IbLb1EEEEDaS11_S12_EUlS11_E_NS1_11comp_targetILNS1_3genE3ELNS1_11target_archE908ELNS1_3gpuE7ELNS1_3repE0EEENS1_30default_config_static_selectorELNS0_4arch9wavefront6targetE0EEEvT1_
; %bb.0:
	.section	.rodata,"a",@progbits
	.p2align	6, 0x0
	.amdhsa_kernel _ZN7rocprim17ROCPRIM_400000_NS6detail17trampoline_kernelINS0_14default_configENS1_25partition_config_selectorILNS1_17partition_subalgoE8ElNS0_10empty_typeEbEEZZNS1_14partition_implILS5_8ELb0ES3_jPKlPS6_PKS6_NS0_5tupleIJPlS6_EEENSE_IJSB_SB_EEENS0_18inequality_wrapperIN6hipcub16HIPCUB_304000_NS8EqualityEEESF_JS6_EEE10hipError_tPvRmT3_T4_T5_T6_T7_T9_mT8_P12ihipStream_tbDpT10_ENKUlT_T0_E_clISt17integral_constantIbLb0EES15_IbLb1EEEEDaS11_S12_EUlS11_E_NS1_11comp_targetILNS1_3genE3ELNS1_11target_archE908ELNS1_3gpuE7ELNS1_3repE0EEENS1_30default_config_static_selectorELNS0_4arch9wavefront6targetE0EEEvT1_
		.amdhsa_group_segment_fixed_size 0
		.amdhsa_private_segment_fixed_size 0
		.amdhsa_kernarg_size 128
		.amdhsa_user_sgpr_count 6
		.amdhsa_user_sgpr_private_segment_buffer 1
		.amdhsa_user_sgpr_dispatch_ptr 0
		.amdhsa_user_sgpr_queue_ptr 0
		.amdhsa_user_sgpr_kernarg_segment_ptr 1
		.amdhsa_user_sgpr_dispatch_id 0
		.amdhsa_user_sgpr_flat_scratch_init 0
		.amdhsa_user_sgpr_private_segment_size 0
		.amdhsa_wavefront_size32 1
		.amdhsa_uses_dynamic_stack 0
		.amdhsa_system_sgpr_private_segment_wavefront_offset 0
		.amdhsa_system_sgpr_workgroup_id_x 1
		.amdhsa_system_sgpr_workgroup_id_y 0
		.amdhsa_system_sgpr_workgroup_id_z 0
		.amdhsa_system_sgpr_workgroup_info 0
		.amdhsa_system_vgpr_workitem_id 0
		.amdhsa_next_free_vgpr 1
		.amdhsa_next_free_sgpr 1
		.amdhsa_reserve_vcc 0
		.amdhsa_reserve_flat_scratch 0
		.amdhsa_float_round_mode_32 0
		.amdhsa_float_round_mode_16_64 0
		.amdhsa_float_denorm_mode_32 3
		.amdhsa_float_denorm_mode_16_64 3
		.amdhsa_dx10_clamp 1
		.amdhsa_ieee_mode 1
		.amdhsa_fp16_overflow 0
		.amdhsa_workgroup_processor_mode 1
		.amdhsa_memory_ordered 1
		.amdhsa_forward_progress 1
		.amdhsa_shared_vgpr_count 0
		.amdhsa_exception_fp_ieee_invalid_op 0
		.amdhsa_exception_fp_denorm_src 0
		.amdhsa_exception_fp_ieee_div_zero 0
		.amdhsa_exception_fp_ieee_overflow 0
		.amdhsa_exception_fp_ieee_underflow 0
		.amdhsa_exception_fp_ieee_inexact 0
		.amdhsa_exception_int_div_zero 0
	.end_amdhsa_kernel
	.section	.text._ZN7rocprim17ROCPRIM_400000_NS6detail17trampoline_kernelINS0_14default_configENS1_25partition_config_selectorILNS1_17partition_subalgoE8ElNS0_10empty_typeEbEEZZNS1_14partition_implILS5_8ELb0ES3_jPKlPS6_PKS6_NS0_5tupleIJPlS6_EEENSE_IJSB_SB_EEENS0_18inequality_wrapperIN6hipcub16HIPCUB_304000_NS8EqualityEEESF_JS6_EEE10hipError_tPvRmT3_T4_T5_T6_T7_T9_mT8_P12ihipStream_tbDpT10_ENKUlT_T0_E_clISt17integral_constantIbLb0EES15_IbLb1EEEEDaS11_S12_EUlS11_E_NS1_11comp_targetILNS1_3genE3ELNS1_11target_archE908ELNS1_3gpuE7ELNS1_3repE0EEENS1_30default_config_static_selectorELNS0_4arch9wavefront6targetE0EEEvT1_,"axG",@progbits,_ZN7rocprim17ROCPRIM_400000_NS6detail17trampoline_kernelINS0_14default_configENS1_25partition_config_selectorILNS1_17partition_subalgoE8ElNS0_10empty_typeEbEEZZNS1_14partition_implILS5_8ELb0ES3_jPKlPS6_PKS6_NS0_5tupleIJPlS6_EEENSE_IJSB_SB_EEENS0_18inequality_wrapperIN6hipcub16HIPCUB_304000_NS8EqualityEEESF_JS6_EEE10hipError_tPvRmT3_T4_T5_T6_T7_T9_mT8_P12ihipStream_tbDpT10_ENKUlT_T0_E_clISt17integral_constantIbLb0EES15_IbLb1EEEEDaS11_S12_EUlS11_E_NS1_11comp_targetILNS1_3genE3ELNS1_11target_archE908ELNS1_3gpuE7ELNS1_3repE0EEENS1_30default_config_static_selectorELNS0_4arch9wavefront6targetE0EEEvT1_,comdat
.Lfunc_end253:
	.size	_ZN7rocprim17ROCPRIM_400000_NS6detail17trampoline_kernelINS0_14default_configENS1_25partition_config_selectorILNS1_17partition_subalgoE8ElNS0_10empty_typeEbEEZZNS1_14partition_implILS5_8ELb0ES3_jPKlPS6_PKS6_NS0_5tupleIJPlS6_EEENSE_IJSB_SB_EEENS0_18inequality_wrapperIN6hipcub16HIPCUB_304000_NS8EqualityEEESF_JS6_EEE10hipError_tPvRmT3_T4_T5_T6_T7_T9_mT8_P12ihipStream_tbDpT10_ENKUlT_T0_E_clISt17integral_constantIbLb0EES15_IbLb1EEEEDaS11_S12_EUlS11_E_NS1_11comp_targetILNS1_3genE3ELNS1_11target_archE908ELNS1_3gpuE7ELNS1_3repE0EEENS1_30default_config_static_selectorELNS0_4arch9wavefront6targetE0EEEvT1_, .Lfunc_end253-_ZN7rocprim17ROCPRIM_400000_NS6detail17trampoline_kernelINS0_14default_configENS1_25partition_config_selectorILNS1_17partition_subalgoE8ElNS0_10empty_typeEbEEZZNS1_14partition_implILS5_8ELb0ES3_jPKlPS6_PKS6_NS0_5tupleIJPlS6_EEENSE_IJSB_SB_EEENS0_18inequality_wrapperIN6hipcub16HIPCUB_304000_NS8EqualityEEESF_JS6_EEE10hipError_tPvRmT3_T4_T5_T6_T7_T9_mT8_P12ihipStream_tbDpT10_ENKUlT_T0_E_clISt17integral_constantIbLb0EES15_IbLb1EEEEDaS11_S12_EUlS11_E_NS1_11comp_targetILNS1_3genE3ELNS1_11target_archE908ELNS1_3gpuE7ELNS1_3repE0EEENS1_30default_config_static_selectorELNS0_4arch9wavefront6targetE0EEEvT1_
                                        ; -- End function
	.set _ZN7rocprim17ROCPRIM_400000_NS6detail17trampoline_kernelINS0_14default_configENS1_25partition_config_selectorILNS1_17partition_subalgoE8ElNS0_10empty_typeEbEEZZNS1_14partition_implILS5_8ELb0ES3_jPKlPS6_PKS6_NS0_5tupleIJPlS6_EEENSE_IJSB_SB_EEENS0_18inequality_wrapperIN6hipcub16HIPCUB_304000_NS8EqualityEEESF_JS6_EEE10hipError_tPvRmT3_T4_T5_T6_T7_T9_mT8_P12ihipStream_tbDpT10_ENKUlT_T0_E_clISt17integral_constantIbLb0EES15_IbLb1EEEEDaS11_S12_EUlS11_E_NS1_11comp_targetILNS1_3genE3ELNS1_11target_archE908ELNS1_3gpuE7ELNS1_3repE0EEENS1_30default_config_static_selectorELNS0_4arch9wavefront6targetE0EEEvT1_.num_vgpr, 0
	.set _ZN7rocprim17ROCPRIM_400000_NS6detail17trampoline_kernelINS0_14default_configENS1_25partition_config_selectorILNS1_17partition_subalgoE8ElNS0_10empty_typeEbEEZZNS1_14partition_implILS5_8ELb0ES3_jPKlPS6_PKS6_NS0_5tupleIJPlS6_EEENSE_IJSB_SB_EEENS0_18inequality_wrapperIN6hipcub16HIPCUB_304000_NS8EqualityEEESF_JS6_EEE10hipError_tPvRmT3_T4_T5_T6_T7_T9_mT8_P12ihipStream_tbDpT10_ENKUlT_T0_E_clISt17integral_constantIbLb0EES15_IbLb1EEEEDaS11_S12_EUlS11_E_NS1_11comp_targetILNS1_3genE3ELNS1_11target_archE908ELNS1_3gpuE7ELNS1_3repE0EEENS1_30default_config_static_selectorELNS0_4arch9wavefront6targetE0EEEvT1_.num_agpr, 0
	.set _ZN7rocprim17ROCPRIM_400000_NS6detail17trampoline_kernelINS0_14default_configENS1_25partition_config_selectorILNS1_17partition_subalgoE8ElNS0_10empty_typeEbEEZZNS1_14partition_implILS5_8ELb0ES3_jPKlPS6_PKS6_NS0_5tupleIJPlS6_EEENSE_IJSB_SB_EEENS0_18inequality_wrapperIN6hipcub16HIPCUB_304000_NS8EqualityEEESF_JS6_EEE10hipError_tPvRmT3_T4_T5_T6_T7_T9_mT8_P12ihipStream_tbDpT10_ENKUlT_T0_E_clISt17integral_constantIbLb0EES15_IbLb1EEEEDaS11_S12_EUlS11_E_NS1_11comp_targetILNS1_3genE3ELNS1_11target_archE908ELNS1_3gpuE7ELNS1_3repE0EEENS1_30default_config_static_selectorELNS0_4arch9wavefront6targetE0EEEvT1_.numbered_sgpr, 0
	.set _ZN7rocprim17ROCPRIM_400000_NS6detail17trampoline_kernelINS0_14default_configENS1_25partition_config_selectorILNS1_17partition_subalgoE8ElNS0_10empty_typeEbEEZZNS1_14partition_implILS5_8ELb0ES3_jPKlPS6_PKS6_NS0_5tupleIJPlS6_EEENSE_IJSB_SB_EEENS0_18inequality_wrapperIN6hipcub16HIPCUB_304000_NS8EqualityEEESF_JS6_EEE10hipError_tPvRmT3_T4_T5_T6_T7_T9_mT8_P12ihipStream_tbDpT10_ENKUlT_T0_E_clISt17integral_constantIbLb0EES15_IbLb1EEEEDaS11_S12_EUlS11_E_NS1_11comp_targetILNS1_3genE3ELNS1_11target_archE908ELNS1_3gpuE7ELNS1_3repE0EEENS1_30default_config_static_selectorELNS0_4arch9wavefront6targetE0EEEvT1_.num_named_barrier, 0
	.set _ZN7rocprim17ROCPRIM_400000_NS6detail17trampoline_kernelINS0_14default_configENS1_25partition_config_selectorILNS1_17partition_subalgoE8ElNS0_10empty_typeEbEEZZNS1_14partition_implILS5_8ELb0ES3_jPKlPS6_PKS6_NS0_5tupleIJPlS6_EEENSE_IJSB_SB_EEENS0_18inequality_wrapperIN6hipcub16HIPCUB_304000_NS8EqualityEEESF_JS6_EEE10hipError_tPvRmT3_T4_T5_T6_T7_T9_mT8_P12ihipStream_tbDpT10_ENKUlT_T0_E_clISt17integral_constantIbLb0EES15_IbLb1EEEEDaS11_S12_EUlS11_E_NS1_11comp_targetILNS1_3genE3ELNS1_11target_archE908ELNS1_3gpuE7ELNS1_3repE0EEENS1_30default_config_static_selectorELNS0_4arch9wavefront6targetE0EEEvT1_.private_seg_size, 0
	.set _ZN7rocprim17ROCPRIM_400000_NS6detail17trampoline_kernelINS0_14default_configENS1_25partition_config_selectorILNS1_17partition_subalgoE8ElNS0_10empty_typeEbEEZZNS1_14partition_implILS5_8ELb0ES3_jPKlPS6_PKS6_NS0_5tupleIJPlS6_EEENSE_IJSB_SB_EEENS0_18inequality_wrapperIN6hipcub16HIPCUB_304000_NS8EqualityEEESF_JS6_EEE10hipError_tPvRmT3_T4_T5_T6_T7_T9_mT8_P12ihipStream_tbDpT10_ENKUlT_T0_E_clISt17integral_constantIbLb0EES15_IbLb1EEEEDaS11_S12_EUlS11_E_NS1_11comp_targetILNS1_3genE3ELNS1_11target_archE908ELNS1_3gpuE7ELNS1_3repE0EEENS1_30default_config_static_selectorELNS0_4arch9wavefront6targetE0EEEvT1_.uses_vcc, 0
	.set _ZN7rocprim17ROCPRIM_400000_NS6detail17trampoline_kernelINS0_14default_configENS1_25partition_config_selectorILNS1_17partition_subalgoE8ElNS0_10empty_typeEbEEZZNS1_14partition_implILS5_8ELb0ES3_jPKlPS6_PKS6_NS0_5tupleIJPlS6_EEENSE_IJSB_SB_EEENS0_18inequality_wrapperIN6hipcub16HIPCUB_304000_NS8EqualityEEESF_JS6_EEE10hipError_tPvRmT3_T4_T5_T6_T7_T9_mT8_P12ihipStream_tbDpT10_ENKUlT_T0_E_clISt17integral_constantIbLb0EES15_IbLb1EEEEDaS11_S12_EUlS11_E_NS1_11comp_targetILNS1_3genE3ELNS1_11target_archE908ELNS1_3gpuE7ELNS1_3repE0EEENS1_30default_config_static_selectorELNS0_4arch9wavefront6targetE0EEEvT1_.uses_flat_scratch, 0
	.set _ZN7rocprim17ROCPRIM_400000_NS6detail17trampoline_kernelINS0_14default_configENS1_25partition_config_selectorILNS1_17partition_subalgoE8ElNS0_10empty_typeEbEEZZNS1_14partition_implILS5_8ELb0ES3_jPKlPS6_PKS6_NS0_5tupleIJPlS6_EEENSE_IJSB_SB_EEENS0_18inequality_wrapperIN6hipcub16HIPCUB_304000_NS8EqualityEEESF_JS6_EEE10hipError_tPvRmT3_T4_T5_T6_T7_T9_mT8_P12ihipStream_tbDpT10_ENKUlT_T0_E_clISt17integral_constantIbLb0EES15_IbLb1EEEEDaS11_S12_EUlS11_E_NS1_11comp_targetILNS1_3genE3ELNS1_11target_archE908ELNS1_3gpuE7ELNS1_3repE0EEENS1_30default_config_static_selectorELNS0_4arch9wavefront6targetE0EEEvT1_.has_dyn_sized_stack, 0
	.set _ZN7rocprim17ROCPRIM_400000_NS6detail17trampoline_kernelINS0_14default_configENS1_25partition_config_selectorILNS1_17partition_subalgoE8ElNS0_10empty_typeEbEEZZNS1_14partition_implILS5_8ELb0ES3_jPKlPS6_PKS6_NS0_5tupleIJPlS6_EEENSE_IJSB_SB_EEENS0_18inequality_wrapperIN6hipcub16HIPCUB_304000_NS8EqualityEEESF_JS6_EEE10hipError_tPvRmT3_T4_T5_T6_T7_T9_mT8_P12ihipStream_tbDpT10_ENKUlT_T0_E_clISt17integral_constantIbLb0EES15_IbLb1EEEEDaS11_S12_EUlS11_E_NS1_11comp_targetILNS1_3genE3ELNS1_11target_archE908ELNS1_3gpuE7ELNS1_3repE0EEENS1_30default_config_static_selectorELNS0_4arch9wavefront6targetE0EEEvT1_.has_recursion, 0
	.set _ZN7rocprim17ROCPRIM_400000_NS6detail17trampoline_kernelINS0_14default_configENS1_25partition_config_selectorILNS1_17partition_subalgoE8ElNS0_10empty_typeEbEEZZNS1_14partition_implILS5_8ELb0ES3_jPKlPS6_PKS6_NS0_5tupleIJPlS6_EEENSE_IJSB_SB_EEENS0_18inequality_wrapperIN6hipcub16HIPCUB_304000_NS8EqualityEEESF_JS6_EEE10hipError_tPvRmT3_T4_T5_T6_T7_T9_mT8_P12ihipStream_tbDpT10_ENKUlT_T0_E_clISt17integral_constantIbLb0EES15_IbLb1EEEEDaS11_S12_EUlS11_E_NS1_11comp_targetILNS1_3genE3ELNS1_11target_archE908ELNS1_3gpuE7ELNS1_3repE0EEENS1_30default_config_static_selectorELNS0_4arch9wavefront6targetE0EEEvT1_.has_indirect_call, 0
	.section	.AMDGPU.csdata,"",@progbits
; Kernel info:
; codeLenInByte = 0
; TotalNumSgprs: 0
; NumVgprs: 0
; ScratchSize: 0
; MemoryBound: 0
; FloatMode: 240
; IeeeMode: 1
; LDSByteSize: 0 bytes/workgroup (compile time only)
; SGPRBlocks: 0
; VGPRBlocks: 0
; NumSGPRsForWavesPerEU: 1
; NumVGPRsForWavesPerEU: 1
; Occupancy: 16
; WaveLimiterHint : 0
; COMPUTE_PGM_RSRC2:SCRATCH_EN: 0
; COMPUTE_PGM_RSRC2:USER_SGPR: 6
; COMPUTE_PGM_RSRC2:TRAP_HANDLER: 0
; COMPUTE_PGM_RSRC2:TGID_X_EN: 1
; COMPUTE_PGM_RSRC2:TGID_Y_EN: 0
; COMPUTE_PGM_RSRC2:TGID_Z_EN: 0
; COMPUTE_PGM_RSRC2:TIDIG_COMP_CNT: 0
	.section	.text._ZN7rocprim17ROCPRIM_400000_NS6detail17trampoline_kernelINS0_14default_configENS1_25partition_config_selectorILNS1_17partition_subalgoE8ElNS0_10empty_typeEbEEZZNS1_14partition_implILS5_8ELb0ES3_jPKlPS6_PKS6_NS0_5tupleIJPlS6_EEENSE_IJSB_SB_EEENS0_18inequality_wrapperIN6hipcub16HIPCUB_304000_NS8EqualityEEESF_JS6_EEE10hipError_tPvRmT3_T4_T5_T6_T7_T9_mT8_P12ihipStream_tbDpT10_ENKUlT_T0_E_clISt17integral_constantIbLb0EES15_IbLb1EEEEDaS11_S12_EUlS11_E_NS1_11comp_targetILNS1_3genE2ELNS1_11target_archE906ELNS1_3gpuE6ELNS1_3repE0EEENS1_30default_config_static_selectorELNS0_4arch9wavefront6targetE0EEEvT1_,"axG",@progbits,_ZN7rocprim17ROCPRIM_400000_NS6detail17trampoline_kernelINS0_14default_configENS1_25partition_config_selectorILNS1_17partition_subalgoE8ElNS0_10empty_typeEbEEZZNS1_14partition_implILS5_8ELb0ES3_jPKlPS6_PKS6_NS0_5tupleIJPlS6_EEENSE_IJSB_SB_EEENS0_18inequality_wrapperIN6hipcub16HIPCUB_304000_NS8EqualityEEESF_JS6_EEE10hipError_tPvRmT3_T4_T5_T6_T7_T9_mT8_P12ihipStream_tbDpT10_ENKUlT_T0_E_clISt17integral_constantIbLb0EES15_IbLb1EEEEDaS11_S12_EUlS11_E_NS1_11comp_targetILNS1_3genE2ELNS1_11target_archE906ELNS1_3gpuE6ELNS1_3repE0EEENS1_30default_config_static_selectorELNS0_4arch9wavefront6targetE0EEEvT1_,comdat
	.protected	_ZN7rocprim17ROCPRIM_400000_NS6detail17trampoline_kernelINS0_14default_configENS1_25partition_config_selectorILNS1_17partition_subalgoE8ElNS0_10empty_typeEbEEZZNS1_14partition_implILS5_8ELb0ES3_jPKlPS6_PKS6_NS0_5tupleIJPlS6_EEENSE_IJSB_SB_EEENS0_18inequality_wrapperIN6hipcub16HIPCUB_304000_NS8EqualityEEESF_JS6_EEE10hipError_tPvRmT3_T4_T5_T6_T7_T9_mT8_P12ihipStream_tbDpT10_ENKUlT_T0_E_clISt17integral_constantIbLb0EES15_IbLb1EEEEDaS11_S12_EUlS11_E_NS1_11comp_targetILNS1_3genE2ELNS1_11target_archE906ELNS1_3gpuE6ELNS1_3repE0EEENS1_30default_config_static_selectorELNS0_4arch9wavefront6targetE0EEEvT1_ ; -- Begin function _ZN7rocprim17ROCPRIM_400000_NS6detail17trampoline_kernelINS0_14default_configENS1_25partition_config_selectorILNS1_17partition_subalgoE8ElNS0_10empty_typeEbEEZZNS1_14partition_implILS5_8ELb0ES3_jPKlPS6_PKS6_NS0_5tupleIJPlS6_EEENSE_IJSB_SB_EEENS0_18inequality_wrapperIN6hipcub16HIPCUB_304000_NS8EqualityEEESF_JS6_EEE10hipError_tPvRmT3_T4_T5_T6_T7_T9_mT8_P12ihipStream_tbDpT10_ENKUlT_T0_E_clISt17integral_constantIbLb0EES15_IbLb1EEEEDaS11_S12_EUlS11_E_NS1_11comp_targetILNS1_3genE2ELNS1_11target_archE906ELNS1_3gpuE6ELNS1_3repE0EEENS1_30default_config_static_selectorELNS0_4arch9wavefront6targetE0EEEvT1_
	.globl	_ZN7rocprim17ROCPRIM_400000_NS6detail17trampoline_kernelINS0_14default_configENS1_25partition_config_selectorILNS1_17partition_subalgoE8ElNS0_10empty_typeEbEEZZNS1_14partition_implILS5_8ELb0ES3_jPKlPS6_PKS6_NS0_5tupleIJPlS6_EEENSE_IJSB_SB_EEENS0_18inequality_wrapperIN6hipcub16HIPCUB_304000_NS8EqualityEEESF_JS6_EEE10hipError_tPvRmT3_T4_T5_T6_T7_T9_mT8_P12ihipStream_tbDpT10_ENKUlT_T0_E_clISt17integral_constantIbLb0EES15_IbLb1EEEEDaS11_S12_EUlS11_E_NS1_11comp_targetILNS1_3genE2ELNS1_11target_archE906ELNS1_3gpuE6ELNS1_3repE0EEENS1_30default_config_static_selectorELNS0_4arch9wavefront6targetE0EEEvT1_
	.p2align	8
	.type	_ZN7rocprim17ROCPRIM_400000_NS6detail17trampoline_kernelINS0_14default_configENS1_25partition_config_selectorILNS1_17partition_subalgoE8ElNS0_10empty_typeEbEEZZNS1_14partition_implILS5_8ELb0ES3_jPKlPS6_PKS6_NS0_5tupleIJPlS6_EEENSE_IJSB_SB_EEENS0_18inequality_wrapperIN6hipcub16HIPCUB_304000_NS8EqualityEEESF_JS6_EEE10hipError_tPvRmT3_T4_T5_T6_T7_T9_mT8_P12ihipStream_tbDpT10_ENKUlT_T0_E_clISt17integral_constantIbLb0EES15_IbLb1EEEEDaS11_S12_EUlS11_E_NS1_11comp_targetILNS1_3genE2ELNS1_11target_archE906ELNS1_3gpuE6ELNS1_3repE0EEENS1_30default_config_static_selectorELNS0_4arch9wavefront6targetE0EEEvT1_,@function
_ZN7rocprim17ROCPRIM_400000_NS6detail17trampoline_kernelINS0_14default_configENS1_25partition_config_selectorILNS1_17partition_subalgoE8ElNS0_10empty_typeEbEEZZNS1_14partition_implILS5_8ELb0ES3_jPKlPS6_PKS6_NS0_5tupleIJPlS6_EEENSE_IJSB_SB_EEENS0_18inequality_wrapperIN6hipcub16HIPCUB_304000_NS8EqualityEEESF_JS6_EEE10hipError_tPvRmT3_T4_T5_T6_T7_T9_mT8_P12ihipStream_tbDpT10_ENKUlT_T0_E_clISt17integral_constantIbLb0EES15_IbLb1EEEEDaS11_S12_EUlS11_E_NS1_11comp_targetILNS1_3genE2ELNS1_11target_archE906ELNS1_3gpuE6ELNS1_3repE0EEENS1_30default_config_static_selectorELNS0_4arch9wavefront6targetE0EEEvT1_: ; @_ZN7rocprim17ROCPRIM_400000_NS6detail17trampoline_kernelINS0_14default_configENS1_25partition_config_selectorILNS1_17partition_subalgoE8ElNS0_10empty_typeEbEEZZNS1_14partition_implILS5_8ELb0ES3_jPKlPS6_PKS6_NS0_5tupleIJPlS6_EEENSE_IJSB_SB_EEENS0_18inequality_wrapperIN6hipcub16HIPCUB_304000_NS8EqualityEEESF_JS6_EEE10hipError_tPvRmT3_T4_T5_T6_T7_T9_mT8_P12ihipStream_tbDpT10_ENKUlT_T0_E_clISt17integral_constantIbLb0EES15_IbLb1EEEEDaS11_S12_EUlS11_E_NS1_11comp_targetILNS1_3genE2ELNS1_11target_archE906ELNS1_3gpuE6ELNS1_3repE0EEENS1_30default_config_static_selectorELNS0_4arch9wavefront6targetE0EEEvT1_
; %bb.0:
	.section	.rodata,"a",@progbits
	.p2align	6, 0x0
	.amdhsa_kernel _ZN7rocprim17ROCPRIM_400000_NS6detail17trampoline_kernelINS0_14default_configENS1_25partition_config_selectorILNS1_17partition_subalgoE8ElNS0_10empty_typeEbEEZZNS1_14partition_implILS5_8ELb0ES3_jPKlPS6_PKS6_NS0_5tupleIJPlS6_EEENSE_IJSB_SB_EEENS0_18inequality_wrapperIN6hipcub16HIPCUB_304000_NS8EqualityEEESF_JS6_EEE10hipError_tPvRmT3_T4_T5_T6_T7_T9_mT8_P12ihipStream_tbDpT10_ENKUlT_T0_E_clISt17integral_constantIbLb0EES15_IbLb1EEEEDaS11_S12_EUlS11_E_NS1_11comp_targetILNS1_3genE2ELNS1_11target_archE906ELNS1_3gpuE6ELNS1_3repE0EEENS1_30default_config_static_selectorELNS0_4arch9wavefront6targetE0EEEvT1_
		.amdhsa_group_segment_fixed_size 0
		.amdhsa_private_segment_fixed_size 0
		.amdhsa_kernarg_size 128
		.amdhsa_user_sgpr_count 6
		.amdhsa_user_sgpr_private_segment_buffer 1
		.amdhsa_user_sgpr_dispatch_ptr 0
		.amdhsa_user_sgpr_queue_ptr 0
		.amdhsa_user_sgpr_kernarg_segment_ptr 1
		.amdhsa_user_sgpr_dispatch_id 0
		.amdhsa_user_sgpr_flat_scratch_init 0
		.amdhsa_user_sgpr_private_segment_size 0
		.amdhsa_wavefront_size32 1
		.amdhsa_uses_dynamic_stack 0
		.amdhsa_system_sgpr_private_segment_wavefront_offset 0
		.amdhsa_system_sgpr_workgroup_id_x 1
		.amdhsa_system_sgpr_workgroup_id_y 0
		.amdhsa_system_sgpr_workgroup_id_z 0
		.amdhsa_system_sgpr_workgroup_info 0
		.amdhsa_system_vgpr_workitem_id 0
		.amdhsa_next_free_vgpr 1
		.amdhsa_next_free_sgpr 1
		.amdhsa_reserve_vcc 0
		.amdhsa_reserve_flat_scratch 0
		.amdhsa_float_round_mode_32 0
		.amdhsa_float_round_mode_16_64 0
		.amdhsa_float_denorm_mode_32 3
		.amdhsa_float_denorm_mode_16_64 3
		.amdhsa_dx10_clamp 1
		.amdhsa_ieee_mode 1
		.amdhsa_fp16_overflow 0
		.amdhsa_workgroup_processor_mode 1
		.amdhsa_memory_ordered 1
		.amdhsa_forward_progress 1
		.amdhsa_shared_vgpr_count 0
		.amdhsa_exception_fp_ieee_invalid_op 0
		.amdhsa_exception_fp_denorm_src 0
		.amdhsa_exception_fp_ieee_div_zero 0
		.amdhsa_exception_fp_ieee_overflow 0
		.amdhsa_exception_fp_ieee_underflow 0
		.amdhsa_exception_fp_ieee_inexact 0
		.amdhsa_exception_int_div_zero 0
	.end_amdhsa_kernel
	.section	.text._ZN7rocprim17ROCPRIM_400000_NS6detail17trampoline_kernelINS0_14default_configENS1_25partition_config_selectorILNS1_17partition_subalgoE8ElNS0_10empty_typeEbEEZZNS1_14partition_implILS5_8ELb0ES3_jPKlPS6_PKS6_NS0_5tupleIJPlS6_EEENSE_IJSB_SB_EEENS0_18inequality_wrapperIN6hipcub16HIPCUB_304000_NS8EqualityEEESF_JS6_EEE10hipError_tPvRmT3_T4_T5_T6_T7_T9_mT8_P12ihipStream_tbDpT10_ENKUlT_T0_E_clISt17integral_constantIbLb0EES15_IbLb1EEEEDaS11_S12_EUlS11_E_NS1_11comp_targetILNS1_3genE2ELNS1_11target_archE906ELNS1_3gpuE6ELNS1_3repE0EEENS1_30default_config_static_selectorELNS0_4arch9wavefront6targetE0EEEvT1_,"axG",@progbits,_ZN7rocprim17ROCPRIM_400000_NS6detail17trampoline_kernelINS0_14default_configENS1_25partition_config_selectorILNS1_17partition_subalgoE8ElNS0_10empty_typeEbEEZZNS1_14partition_implILS5_8ELb0ES3_jPKlPS6_PKS6_NS0_5tupleIJPlS6_EEENSE_IJSB_SB_EEENS0_18inequality_wrapperIN6hipcub16HIPCUB_304000_NS8EqualityEEESF_JS6_EEE10hipError_tPvRmT3_T4_T5_T6_T7_T9_mT8_P12ihipStream_tbDpT10_ENKUlT_T0_E_clISt17integral_constantIbLb0EES15_IbLb1EEEEDaS11_S12_EUlS11_E_NS1_11comp_targetILNS1_3genE2ELNS1_11target_archE906ELNS1_3gpuE6ELNS1_3repE0EEENS1_30default_config_static_selectorELNS0_4arch9wavefront6targetE0EEEvT1_,comdat
.Lfunc_end254:
	.size	_ZN7rocprim17ROCPRIM_400000_NS6detail17trampoline_kernelINS0_14default_configENS1_25partition_config_selectorILNS1_17partition_subalgoE8ElNS0_10empty_typeEbEEZZNS1_14partition_implILS5_8ELb0ES3_jPKlPS6_PKS6_NS0_5tupleIJPlS6_EEENSE_IJSB_SB_EEENS0_18inequality_wrapperIN6hipcub16HIPCUB_304000_NS8EqualityEEESF_JS6_EEE10hipError_tPvRmT3_T4_T5_T6_T7_T9_mT8_P12ihipStream_tbDpT10_ENKUlT_T0_E_clISt17integral_constantIbLb0EES15_IbLb1EEEEDaS11_S12_EUlS11_E_NS1_11comp_targetILNS1_3genE2ELNS1_11target_archE906ELNS1_3gpuE6ELNS1_3repE0EEENS1_30default_config_static_selectorELNS0_4arch9wavefront6targetE0EEEvT1_, .Lfunc_end254-_ZN7rocprim17ROCPRIM_400000_NS6detail17trampoline_kernelINS0_14default_configENS1_25partition_config_selectorILNS1_17partition_subalgoE8ElNS0_10empty_typeEbEEZZNS1_14partition_implILS5_8ELb0ES3_jPKlPS6_PKS6_NS0_5tupleIJPlS6_EEENSE_IJSB_SB_EEENS0_18inequality_wrapperIN6hipcub16HIPCUB_304000_NS8EqualityEEESF_JS6_EEE10hipError_tPvRmT3_T4_T5_T6_T7_T9_mT8_P12ihipStream_tbDpT10_ENKUlT_T0_E_clISt17integral_constantIbLb0EES15_IbLb1EEEEDaS11_S12_EUlS11_E_NS1_11comp_targetILNS1_3genE2ELNS1_11target_archE906ELNS1_3gpuE6ELNS1_3repE0EEENS1_30default_config_static_selectorELNS0_4arch9wavefront6targetE0EEEvT1_
                                        ; -- End function
	.set _ZN7rocprim17ROCPRIM_400000_NS6detail17trampoline_kernelINS0_14default_configENS1_25partition_config_selectorILNS1_17partition_subalgoE8ElNS0_10empty_typeEbEEZZNS1_14partition_implILS5_8ELb0ES3_jPKlPS6_PKS6_NS0_5tupleIJPlS6_EEENSE_IJSB_SB_EEENS0_18inequality_wrapperIN6hipcub16HIPCUB_304000_NS8EqualityEEESF_JS6_EEE10hipError_tPvRmT3_T4_T5_T6_T7_T9_mT8_P12ihipStream_tbDpT10_ENKUlT_T0_E_clISt17integral_constantIbLb0EES15_IbLb1EEEEDaS11_S12_EUlS11_E_NS1_11comp_targetILNS1_3genE2ELNS1_11target_archE906ELNS1_3gpuE6ELNS1_3repE0EEENS1_30default_config_static_selectorELNS0_4arch9wavefront6targetE0EEEvT1_.num_vgpr, 0
	.set _ZN7rocprim17ROCPRIM_400000_NS6detail17trampoline_kernelINS0_14default_configENS1_25partition_config_selectorILNS1_17partition_subalgoE8ElNS0_10empty_typeEbEEZZNS1_14partition_implILS5_8ELb0ES3_jPKlPS6_PKS6_NS0_5tupleIJPlS6_EEENSE_IJSB_SB_EEENS0_18inequality_wrapperIN6hipcub16HIPCUB_304000_NS8EqualityEEESF_JS6_EEE10hipError_tPvRmT3_T4_T5_T6_T7_T9_mT8_P12ihipStream_tbDpT10_ENKUlT_T0_E_clISt17integral_constantIbLb0EES15_IbLb1EEEEDaS11_S12_EUlS11_E_NS1_11comp_targetILNS1_3genE2ELNS1_11target_archE906ELNS1_3gpuE6ELNS1_3repE0EEENS1_30default_config_static_selectorELNS0_4arch9wavefront6targetE0EEEvT1_.num_agpr, 0
	.set _ZN7rocprim17ROCPRIM_400000_NS6detail17trampoline_kernelINS0_14default_configENS1_25partition_config_selectorILNS1_17partition_subalgoE8ElNS0_10empty_typeEbEEZZNS1_14partition_implILS5_8ELb0ES3_jPKlPS6_PKS6_NS0_5tupleIJPlS6_EEENSE_IJSB_SB_EEENS0_18inequality_wrapperIN6hipcub16HIPCUB_304000_NS8EqualityEEESF_JS6_EEE10hipError_tPvRmT3_T4_T5_T6_T7_T9_mT8_P12ihipStream_tbDpT10_ENKUlT_T0_E_clISt17integral_constantIbLb0EES15_IbLb1EEEEDaS11_S12_EUlS11_E_NS1_11comp_targetILNS1_3genE2ELNS1_11target_archE906ELNS1_3gpuE6ELNS1_3repE0EEENS1_30default_config_static_selectorELNS0_4arch9wavefront6targetE0EEEvT1_.numbered_sgpr, 0
	.set _ZN7rocprim17ROCPRIM_400000_NS6detail17trampoline_kernelINS0_14default_configENS1_25partition_config_selectorILNS1_17partition_subalgoE8ElNS0_10empty_typeEbEEZZNS1_14partition_implILS5_8ELb0ES3_jPKlPS6_PKS6_NS0_5tupleIJPlS6_EEENSE_IJSB_SB_EEENS0_18inequality_wrapperIN6hipcub16HIPCUB_304000_NS8EqualityEEESF_JS6_EEE10hipError_tPvRmT3_T4_T5_T6_T7_T9_mT8_P12ihipStream_tbDpT10_ENKUlT_T0_E_clISt17integral_constantIbLb0EES15_IbLb1EEEEDaS11_S12_EUlS11_E_NS1_11comp_targetILNS1_3genE2ELNS1_11target_archE906ELNS1_3gpuE6ELNS1_3repE0EEENS1_30default_config_static_selectorELNS0_4arch9wavefront6targetE0EEEvT1_.num_named_barrier, 0
	.set _ZN7rocprim17ROCPRIM_400000_NS6detail17trampoline_kernelINS0_14default_configENS1_25partition_config_selectorILNS1_17partition_subalgoE8ElNS0_10empty_typeEbEEZZNS1_14partition_implILS5_8ELb0ES3_jPKlPS6_PKS6_NS0_5tupleIJPlS6_EEENSE_IJSB_SB_EEENS0_18inequality_wrapperIN6hipcub16HIPCUB_304000_NS8EqualityEEESF_JS6_EEE10hipError_tPvRmT3_T4_T5_T6_T7_T9_mT8_P12ihipStream_tbDpT10_ENKUlT_T0_E_clISt17integral_constantIbLb0EES15_IbLb1EEEEDaS11_S12_EUlS11_E_NS1_11comp_targetILNS1_3genE2ELNS1_11target_archE906ELNS1_3gpuE6ELNS1_3repE0EEENS1_30default_config_static_selectorELNS0_4arch9wavefront6targetE0EEEvT1_.private_seg_size, 0
	.set _ZN7rocprim17ROCPRIM_400000_NS6detail17trampoline_kernelINS0_14default_configENS1_25partition_config_selectorILNS1_17partition_subalgoE8ElNS0_10empty_typeEbEEZZNS1_14partition_implILS5_8ELb0ES3_jPKlPS6_PKS6_NS0_5tupleIJPlS6_EEENSE_IJSB_SB_EEENS0_18inequality_wrapperIN6hipcub16HIPCUB_304000_NS8EqualityEEESF_JS6_EEE10hipError_tPvRmT3_T4_T5_T6_T7_T9_mT8_P12ihipStream_tbDpT10_ENKUlT_T0_E_clISt17integral_constantIbLb0EES15_IbLb1EEEEDaS11_S12_EUlS11_E_NS1_11comp_targetILNS1_3genE2ELNS1_11target_archE906ELNS1_3gpuE6ELNS1_3repE0EEENS1_30default_config_static_selectorELNS0_4arch9wavefront6targetE0EEEvT1_.uses_vcc, 0
	.set _ZN7rocprim17ROCPRIM_400000_NS6detail17trampoline_kernelINS0_14default_configENS1_25partition_config_selectorILNS1_17partition_subalgoE8ElNS0_10empty_typeEbEEZZNS1_14partition_implILS5_8ELb0ES3_jPKlPS6_PKS6_NS0_5tupleIJPlS6_EEENSE_IJSB_SB_EEENS0_18inequality_wrapperIN6hipcub16HIPCUB_304000_NS8EqualityEEESF_JS6_EEE10hipError_tPvRmT3_T4_T5_T6_T7_T9_mT8_P12ihipStream_tbDpT10_ENKUlT_T0_E_clISt17integral_constantIbLb0EES15_IbLb1EEEEDaS11_S12_EUlS11_E_NS1_11comp_targetILNS1_3genE2ELNS1_11target_archE906ELNS1_3gpuE6ELNS1_3repE0EEENS1_30default_config_static_selectorELNS0_4arch9wavefront6targetE0EEEvT1_.uses_flat_scratch, 0
	.set _ZN7rocprim17ROCPRIM_400000_NS6detail17trampoline_kernelINS0_14default_configENS1_25partition_config_selectorILNS1_17partition_subalgoE8ElNS0_10empty_typeEbEEZZNS1_14partition_implILS5_8ELb0ES3_jPKlPS6_PKS6_NS0_5tupleIJPlS6_EEENSE_IJSB_SB_EEENS0_18inequality_wrapperIN6hipcub16HIPCUB_304000_NS8EqualityEEESF_JS6_EEE10hipError_tPvRmT3_T4_T5_T6_T7_T9_mT8_P12ihipStream_tbDpT10_ENKUlT_T0_E_clISt17integral_constantIbLb0EES15_IbLb1EEEEDaS11_S12_EUlS11_E_NS1_11comp_targetILNS1_3genE2ELNS1_11target_archE906ELNS1_3gpuE6ELNS1_3repE0EEENS1_30default_config_static_selectorELNS0_4arch9wavefront6targetE0EEEvT1_.has_dyn_sized_stack, 0
	.set _ZN7rocprim17ROCPRIM_400000_NS6detail17trampoline_kernelINS0_14default_configENS1_25partition_config_selectorILNS1_17partition_subalgoE8ElNS0_10empty_typeEbEEZZNS1_14partition_implILS5_8ELb0ES3_jPKlPS6_PKS6_NS0_5tupleIJPlS6_EEENSE_IJSB_SB_EEENS0_18inequality_wrapperIN6hipcub16HIPCUB_304000_NS8EqualityEEESF_JS6_EEE10hipError_tPvRmT3_T4_T5_T6_T7_T9_mT8_P12ihipStream_tbDpT10_ENKUlT_T0_E_clISt17integral_constantIbLb0EES15_IbLb1EEEEDaS11_S12_EUlS11_E_NS1_11comp_targetILNS1_3genE2ELNS1_11target_archE906ELNS1_3gpuE6ELNS1_3repE0EEENS1_30default_config_static_selectorELNS0_4arch9wavefront6targetE0EEEvT1_.has_recursion, 0
	.set _ZN7rocprim17ROCPRIM_400000_NS6detail17trampoline_kernelINS0_14default_configENS1_25partition_config_selectorILNS1_17partition_subalgoE8ElNS0_10empty_typeEbEEZZNS1_14partition_implILS5_8ELb0ES3_jPKlPS6_PKS6_NS0_5tupleIJPlS6_EEENSE_IJSB_SB_EEENS0_18inequality_wrapperIN6hipcub16HIPCUB_304000_NS8EqualityEEESF_JS6_EEE10hipError_tPvRmT3_T4_T5_T6_T7_T9_mT8_P12ihipStream_tbDpT10_ENKUlT_T0_E_clISt17integral_constantIbLb0EES15_IbLb1EEEEDaS11_S12_EUlS11_E_NS1_11comp_targetILNS1_3genE2ELNS1_11target_archE906ELNS1_3gpuE6ELNS1_3repE0EEENS1_30default_config_static_selectorELNS0_4arch9wavefront6targetE0EEEvT1_.has_indirect_call, 0
	.section	.AMDGPU.csdata,"",@progbits
; Kernel info:
; codeLenInByte = 0
; TotalNumSgprs: 0
; NumVgprs: 0
; ScratchSize: 0
; MemoryBound: 0
; FloatMode: 240
; IeeeMode: 1
; LDSByteSize: 0 bytes/workgroup (compile time only)
; SGPRBlocks: 0
; VGPRBlocks: 0
; NumSGPRsForWavesPerEU: 1
; NumVGPRsForWavesPerEU: 1
; Occupancy: 16
; WaveLimiterHint : 0
; COMPUTE_PGM_RSRC2:SCRATCH_EN: 0
; COMPUTE_PGM_RSRC2:USER_SGPR: 6
; COMPUTE_PGM_RSRC2:TRAP_HANDLER: 0
; COMPUTE_PGM_RSRC2:TGID_X_EN: 1
; COMPUTE_PGM_RSRC2:TGID_Y_EN: 0
; COMPUTE_PGM_RSRC2:TGID_Z_EN: 0
; COMPUTE_PGM_RSRC2:TIDIG_COMP_CNT: 0
	.section	.text._ZN7rocprim17ROCPRIM_400000_NS6detail17trampoline_kernelINS0_14default_configENS1_25partition_config_selectorILNS1_17partition_subalgoE8ElNS0_10empty_typeEbEEZZNS1_14partition_implILS5_8ELb0ES3_jPKlPS6_PKS6_NS0_5tupleIJPlS6_EEENSE_IJSB_SB_EEENS0_18inequality_wrapperIN6hipcub16HIPCUB_304000_NS8EqualityEEESF_JS6_EEE10hipError_tPvRmT3_T4_T5_T6_T7_T9_mT8_P12ihipStream_tbDpT10_ENKUlT_T0_E_clISt17integral_constantIbLb0EES15_IbLb1EEEEDaS11_S12_EUlS11_E_NS1_11comp_targetILNS1_3genE10ELNS1_11target_archE1200ELNS1_3gpuE4ELNS1_3repE0EEENS1_30default_config_static_selectorELNS0_4arch9wavefront6targetE0EEEvT1_,"axG",@progbits,_ZN7rocprim17ROCPRIM_400000_NS6detail17trampoline_kernelINS0_14default_configENS1_25partition_config_selectorILNS1_17partition_subalgoE8ElNS0_10empty_typeEbEEZZNS1_14partition_implILS5_8ELb0ES3_jPKlPS6_PKS6_NS0_5tupleIJPlS6_EEENSE_IJSB_SB_EEENS0_18inequality_wrapperIN6hipcub16HIPCUB_304000_NS8EqualityEEESF_JS6_EEE10hipError_tPvRmT3_T4_T5_T6_T7_T9_mT8_P12ihipStream_tbDpT10_ENKUlT_T0_E_clISt17integral_constantIbLb0EES15_IbLb1EEEEDaS11_S12_EUlS11_E_NS1_11comp_targetILNS1_3genE10ELNS1_11target_archE1200ELNS1_3gpuE4ELNS1_3repE0EEENS1_30default_config_static_selectorELNS0_4arch9wavefront6targetE0EEEvT1_,comdat
	.protected	_ZN7rocprim17ROCPRIM_400000_NS6detail17trampoline_kernelINS0_14default_configENS1_25partition_config_selectorILNS1_17partition_subalgoE8ElNS0_10empty_typeEbEEZZNS1_14partition_implILS5_8ELb0ES3_jPKlPS6_PKS6_NS0_5tupleIJPlS6_EEENSE_IJSB_SB_EEENS0_18inequality_wrapperIN6hipcub16HIPCUB_304000_NS8EqualityEEESF_JS6_EEE10hipError_tPvRmT3_T4_T5_T6_T7_T9_mT8_P12ihipStream_tbDpT10_ENKUlT_T0_E_clISt17integral_constantIbLb0EES15_IbLb1EEEEDaS11_S12_EUlS11_E_NS1_11comp_targetILNS1_3genE10ELNS1_11target_archE1200ELNS1_3gpuE4ELNS1_3repE0EEENS1_30default_config_static_selectorELNS0_4arch9wavefront6targetE0EEEvT1_ ; -- Begin function _ZN7rocprim17ROCPRIM_400000_NS6detail17trampoline_kernelINS0_14default_configENS1_25partition_config_selectorILNS1_17partition_subalgoE8ElNS0_10empty_typeEbEEZZNS1_14partition_implILS5_8ELb0ES3_jPKlPS6_PKS6_NS0_5tupleIJPlS6_EEENSE_IJSB_SB_EEENS0_18inequality_wrapperIN6hipcub16HIPCUB_304000_NS8EqualityEEESF_JS6_EEE10hipError_tPvRmT3_T4_T5_T6_T7_T9_mT8_P12ihipStream_tbDpT10_ENKUlT_T0_E_clISt17integral_constantIbLb0EES15_IbLb1EEEEDaS11_S12_EUlS11_E_NS1_11comp_targetILNS1_3genE10ELNS1_11target_archE1200ELNS1_3gpuE4ELNS1_3repE0EEENS1_30default_config_static_selectorELNS0_4arch9wavefront6targetE0EEEvT1_
	.globl	_ZN7rocprim17ROCPRIM_400000_NS6detail17trampoline_kernelINS0_14default_configENS1_25partition_config_selectorILNS1_17partition_subalgoE8ElNS0_10empty_typeEbEEZZNS1_14partition_implILS5_8ELb0ES3_jPKlPS6_PKS6_NS0_5tupleIJPlS6_EEENSE_IJSB_SB_EEENS0_18inequality_wrapperIN6hipcub16HIPCUB_304000_NS8EqualityEEESF_JS6_EEE10hipError_tPvRmT3_T4_T5_T6_T7_T9_mT8_P12ihipStream_tbDpT10_ENKUlT_T0_E_clISt17integral_constantIbLb0EES15_IbLb1EEEEDaS11_S12_EUlS11_E_NS1_11comp_targetILNS1_3genE10ELNS1_11target_archE1200ELNS1_3gpuE4ELNS1_3repE0EEENS1_30default_config_static_selectorELNS0_4arch9wavefront6targetE0EEEvT1_
	.p2align	8
	.type	_ZN7rocprim17ROCPRIM_400000_NS6detail17trampoline_kernelINS0_14default_configENS1_25partition_config_selectorILNS1_17partition_subalgoE8ElNS0_10empty_typeEbEEZZNS1_14partition_implILS5_8ELb0ES3_jPKlPS6_PKS6_NS0_5tupleIJPlS6_EEENSE_IJSB_SB_EEENS0_18inequality_wrapperIN6hipcub16HIPCUB_304000_NS8EqualityEEESF_JS6_EEE10hipError_tPvRmT3_T4_T5_T6_T7_T9_mT8_P12ihipStream_tbDpT10_ENKUlT_T0_E_clISt17integral_constantIbLb0EES15_IbLb1EEEEDaS11_S12_EUlS11_E_NS1_11comp_targetILNS1_3genE10ELNS1_11target_archE1200ELNS1_3gpuE4ELNS1_3repE0EEENS1_30default_config_static_selectorELNS0_4arch9wavefront6targetE0EEEvT1_,@function
_ZN7rocprim17ROCPRIM_400000_NS6detail17trampoline_kernelINS0_14default_configENS1_25partition_config_selectorILNS1_17partition_subalgoE8ElNS0_10empty_typeEbEEZZNS1_14partition_implILS5_8ELb0ES3_jPKlPS6_PKS6_NS0_5tupleIJPlS6_EEENSE_IJSB_SB_EEENS0_18inequality_wrapperIN6hipcub16HIPCUB_304000_NS8EqualityEEESF_JS6_EEE10hipError_tPvRmT3_T4_T5_T6_T7_T9_mT8_P12ihipStream_tbDpT10_ENKUlT_T0_E_clISt17integral_constantIbLb0EES15_IbLb1EEEEDaS11_S12_EUlS11_E_NS1_11comp_targetILNS1_3genE10ELNS1_11target_archE1200ELNS1_3gpuE4ELNS1_3repE0EEENS1_30default_config_static_selectorELNS0_4arch9wavefront6targetE0EEEvT1_: ; @_ZN7rocprim17ROCPRIM_400000_NS6detail17trampoline_kernelINS0_14default_configENS1_25partition_config_selectorILNS1_17partition_subalgoE8ElNS0_10empty_typeEbEEZZNS1_14partition_implILS5_8ELb0ES3_jPKlPS6_PKS6_NS0_5tupleIJPlS6_EEENSE_IJSB_SB_EEENS0_18inequality_wrapperIN6hipcub16HIPCUB_304000_NS8EqualityEEESF_JS6_EEE10hipError_tPvRmT3_T4_T5_T6_T7_T9_mT8_P12ihipStream_tbDpT10_ENKUlT_T0_E_clISt17integral_constantIbLb0EES15_IbLb1EEEEDaS11_S12_EUlS11_E_NS1_11comp_targetILNS1_3genE10ELNS1_11target_archE1200ELNS1_3gpuE4ELNS1_3repE0EEENS1_30default_config_static_selectorELNS0_4arch9wavefront6targetE0EEEvT1_
; %bb.0:
	.section	.rodata,"a",@progbits
	.p2align	6, 0x0
	.amdhsa_kernel _ZN7rocprim17ROCPRIM_400000_NS6detail17trampoline_kernelINS0_14default_configENS1_25partition_config_selectorILNS1_17partition_subalgoE8ElNS0_10empty_typeEbEEZZNS1_14partition_implILS5_8ELb0ES3_jPKlPS6_PKS6_NS0_5tupleIJPlS6_EEENSE_IJSB_SB_EEENS0_18inequality_wrapperIN6hipcub16HIPCUB_304000_NS8EqualityEEESF_JS6_EEE10hipError_tPvRmT3_T4_T5_T6_T7_T9_mT8_P12ihipStream_tbDpT10_ENKUlT_T0_E_clISt17integral_constantIbLb0EES15_IbLb1EEEEDaS11_S12_EUlS11_E_NS1_11comp_targetILNS1_3genE10ELNS1_11target_archE1200ELNS1_3gpuE4ELNS1_3repE0EEENS1_30default_config_static_selectorELNS0_4arch9wavefront6targetE0EEEvT1_
		.amdhsa_group_segment_fixed_size 0
		.amdhsa_private_segment_fixed_size 0
		.amdhsa_kernarg_size 128
		.amdhsa_user_sgpr_count 6
		.amdhsa_user_sgpr_private_segment_buffer 1
		.amdhsa_user_sgpr_dispatch_ptr 0
		.amdhsa_user_sgpr_queue_ptr 0
		.amdhsa_user_sgpr_kernarg_segment_ptr 1
		.amdhsa_user_sgpr_dispatch_id 0
		.amdhsa_user_sgpr_flat_scratch_init 0
		.amdhsa_user_sgpr_private_segment_size 0
		.amdhsa_wavefront_size32 1
		.amdhsa_uses_dynamic_stack 0
		.amdhsa_system_sgpr_private_segment_wavefront_offset 0
		.amdhsa_system_sgpr_workgroup_id_x 1
		.amdhsa_system_sgpr_workgroup_id_y 0
		.amdhsa_system_sgpr_workgroup_id_z 0
		.amdhsa_system_sgpr_workgroup_info 0
		.amdhsa_system_vgpr_workitem_id 0
		.amdhsa_next_free_vgpr 1
		.amdhsa_next_free_sgpr 1
		.amdhsa_reserve_vcc 0
		.amdhsa_reserve_flat_scratch 0
		.amdhsa_float_round_mode_32 0
		.amdhsa_float_round_mode_16_64 0
		.amdhsa_float_denorm_mode_32 3
		.amdhsa_float_denorm_mode_16_64 3
		.amdhsa_dx10_clamp 1
		.amdhsa_ieee_mode 1
		.amdhsa_fp16_overflow 0
		.amdhsa_workgroup_processor_mode 1
		.amdhsa_memory_ordered 1
		.amdhsa_forward_progress 1
		.amdhsa_shared_vgpr_count 0
		.amdhsa_exception_fp_ieee_invalid_op 0
		.amdhsa_exception_fp_denorm_src 0
		.amdhsa_exception_fp_ieee_div_zero 0
		.amdhsa_exception_fp_ieee_overflow 0
		.amdhsa_exception_fp_ieee_underflow 0
		.amdhsa_exception_fp_ieee_inexact 0
		.amdhsa_exception_int_div_zero 0
	.end_amdhsa_kernel
	.section	.text._ZN7rocprim17ROCPRIM_400000_NS6detail17trampoline_kernelINS0_14default_configENS1_25partition_config_selectorILNS1_17partition_subalgoE8ElNS0_10empty_typeEbEEZZNS1_14partition_implILS5_8ELb0ES3_jPKlPS6_PKS6_NS0_5tupleIJPlS6_EEENSE_IJSB_SB_EEENS0_18inequality_wrapperIN6hipcub16HIPCUB_304000_NS8EqualityEEESF_JS6_EEE10hipError_tPvRmT3_T4_T5_T6_T7_T9_mT8_P12ihipStream_tbDpT10_ENKUlT_T0_E_clISt17integral_constantIbLb0EES15_IbLb1EEEEDaS11_S12_EUlS11_E_NS1_11comp_targetILNS1_3genE10ELNS1_11target_archE1200ELNS1_3gpuE4ELNS1_3repE0EEENS1_30default_config_static_selectorELNS0_4arch9wavefront6targetE0EEEvT1_,"axG",@progbits,_ZN7rocprim17ROCPRIM_400000_NS6detail17trampoline_kernelINS0_14default_configENS1_25partition_config_selectorILNS1_17partition_subalgoE8ElNS0_10empty_typeEbEEZZNS1_14partition_implILS5_8ELb0ES3_jPKlPS6_PKS6_NS0_5tupleIJPlS6_EEENSE_IJSB_SB_EEENS0_18inequality_wrapperIN6hipcub16HIPCUB_304000_NS8EqualityEEESF_JS6_EEE10hipError_tPvRmT3_T4_T5_T6_T7_T9_mT8_P12ihipStream_tbDpT10_ENKUlT_T0_E_clISt17integral_constantIbLb0EES15_IbLb1EEEEDaS11_S12_EUlS11_E_NS1_11comp_targetILNS1_3genE10ELNS1_11target_archE1200ELNS1_3gpuE4ELNS1_3repE0EEENS1_30default_config_static_selectorELNS0_4arch9wavefront6targetE0EEEvT1_,comdat
.Lfunc_end255:
	.size	_ZN7rocprim17ROCPRIM_400000_NS6detail17trampoline_kernelINS0_14default_configENS1_25partition_config_selectorILNS1_17partition_subalgoE8ElNS0_10empty_typeEbEEZZNS1_14partition_implILS5_8ELb0ES3_jPKlPS6_PKS6_NS0_5tupleIJPlS6_EEENSE_IJSB_SB_EEENS0_18inequality_wrapperIN6hipcub16HIPCUB_304000_NS8EqualityEEESF_JS6_EEE10hipError_tPvRmT3_T4_T5_T6_T7_T9_mT8_P12ihipStream_tbDpT10_ENKUlT_T0_E_clISt17integral_constantIbLb0EES15_IbLb1EEEEDaS11_S12_EUlS11_E_NS1_11comp_targetILNS1_3genE10ELNS1_11target_archE1200ELNS1_3gpuE4ELNS1_3repE0EEENS1_30default_config_static_selectorELNS0_4arch9wavefront6targetE0EEEvT1_, .Lfunc_end255-_ZN7rocprim17ROCPRIM_400000_NS6detail17trampoline_kernelINS0_14default_configENS1_25partition_config_selectorILNS1_17partition_subalgoE8ElNS0_10empty_typeEbEEZZNS1_14partition_implILS5_8ELb0ES3_jPKlPS6_PKS6_NS0_5tupleIJPlS6_EEENSE_IJSB_SB_EEENS0_18inequality_wrapperIN6hipcub16HIPCUB_304000_NS8EqualityEEESF_JS6_EEE10hipError_tPvRmT3_T4_T5_T6_T7_T9_mT8_P12ihipStream_tbDpT10_ENKUlT_T0_E_clISt17integral_constantIbLb0EES15_IbLb1EEEEDaS11_S12_EUlS11_E_NS1_11comp_targetILNS1_3genE10ELNS1_11target_archE1200ELNS1_3gpuE4ELNS1_3repE0EEENS1_30default_config_static_selectorELNS0_4arch9wavefront6targetE0EEEvT1_
                                        ; -- End function
	.set _ZN7rocprim17ROCPRIM_400000_NS6detail17trampoline_kernelINS0_14default_configENS1_25partition_config_selectorILNS1_17partition_subalgoE8ElNS0_10empty_typeEbEEZZNS1_14partition_implILS5_8ELb0ES3_jPKlPS6_PKS6_NS0_5tupleIJPlS6_EEENSE_IJSB_SB_EEENS0_18inequality_wrapperIN6hipcub16HIPCUB_304000_NS8EqualityEEESF_JS6_EEE10hipError_tPvRmT3_T4_T5_T6_T7_T9_mT8_P12ihipStream_tbDpT10_ENKUlT_T0_E_clISt17integral_constantIbLb0EES15_IbLb1EEEEDaS11_S12_EUlS11_E_NS1_11comp_targetILNS1_3genE10ELNS1_11target_archE1200ELNS1_3gpuE4ELNS1_3repE0EEENS1_30default_config_static_selectorELNS0_4arch9wavefront6targetE0EEEvT1_.num_vgpr, 0
	.set _ZN7rocprim17ROCPRIM_400000_NS6detail17trampoline_kernelINS0_14default_configENS1_25partition_config_selectorILNS1_17partition_subalgoE8ElNS0_10empty_typeEbEEZZNS1_14partition_implILS5_8ELb0ES3_jPKlPS6_PKS6_NS0_5tupleIJPlS6_EEENSE_IJSB_SB_EEENS0_18inequality_wrapperIN6hipcub16HIPCUB_304000_NS8EqualityEEESF_JS6_EEE10hipError_tPvRmT3_T4_T5_T6_T7_T9_mT8_P12ihipStream_tbDpT10_ENKUlT_T0_E_clISt17integral_constantIbLb0EES15_IbLb1EEEEDaS11_S12_EUlS11_E_NS1_11comp_targetILNS1_3genE10ELNS1_11target_archE1200ELNS1_3gpuE4ELNS1_3repE0EEENS1_30default_config_static_selectorELNS0_4arch9wavefront6targetE0EEEvT1_.num_agpr, 0
	.set _ZN7rocprim17ROCPRIM_400000_NS6detail17trampoline_kernelINS0_14default_configENS1_25partition_config_selectorILNS1_17partition_subalgoE8ElNS0_10empty_typeEbEEZZNS1_14partition_implILS5_8ELb0ES3_jPKlPS6_PKS6_NS0_5tupleIJPlS6_EEENSE_IJSB_SB_EEENS0_18inequality_wrapperIN6hipcub16HIPCUB_304000_NS8EqualityEEESF_JS6_EEE10hipError_tPvRmT3_T4_T5_T6_T7_T9_mT8_P12ihipStream_tbDpT10_ENKUlT_T0_E_clISt17integral_constantIbLb0EES15_IbLb1EEEEDaS11_S12_EUlS11_E_NS1_11comp_targetILNS1_3genE10ELNS1_11target_archE1200ELNS1_3gpuE4ELNS1_3repE0EEENS1_30default_config_static_selectorELNS0_4arch9wavefront6targetE0EEEvT1_.numbered_sgpr, 0
	.set _ZN7rocprim17ROCPRIM_400000_NS6detail17trampoline_kernelINS0_14default_configENS1_25partition_config_selectorILNS1_17partition_subalgoE8ElNS0_10empty_typeEbEEZZNS1_14partition_implILS5_8ELb0ES3_jPKlPS6_PKS6_NS0_5tupleIJPlS6_EEENSE_IJSB_SB_EEENS0_18inequality_wrapperIN6hipcub16HIPCUB_304000_NS8EqualityEEESF_JS6_EEE10hipError_tPvRmT3_T4_T5_T6_T7_T9_mT8_P12ihipStream_tbDpT10_ENKUlT_T0_E_clISt17integral_constantIbLb0EES15_IbLb1EEEEDaS11_S12_EUlS11_E_NS1_11comp_targetILNS1_3genE10ELNS1_11target_archE1200ELNS1_3gpuE4ELNS1_3repE0EEENS1_30default_config_static_selectorELNS0_4arch9wavefront6targetE0EEEvT1_.num_named_barrier, 0
	.set _ZN7rocprim17ROCPRIM_400000_NS6detail17trampoline_kernelINS0_14default_configENS1_25partition_config_selectorILNS1_17partition_subalgoE8ElNS0_10empty_typeEbEEZZNS1_14partition_implILS5_8ELb0ES3_jPKlPS6_PKS6_NS0_5tupleIJPlS6_EEENSE_IJSB_SB_EEENS0_18inequality_wrapperIN6hipcub16HIPCUB_304000_NS8EqualityEEESF_JS6_EEE10hipError_tPvRmT3_T4_T5_T6_T7_T9_mT8_P12ihipStream_tbDpT10_ENKUlT_T0_E_clISt17integral_constantIbLb0EES15_IbLb1EEEEDaS11_S12_EUlS11_E_NS1_11comp_targetILNS1_3genE10ELNS1_11target_archE1200ELNS1_3gpuE4ELNS1_3repE0EEENS1_30default_config_static_selectorELNS0_4arch9wavefront6targetE0EEEvT1_.private_seg_size, 0
	.set _ZN7rocprim17ROCPRIM_400000_NS6detail17trampoline_kernelINS0_14default_configENS1_25partition_config_selectorILNS1_17partition_subalgoE8ElNS0_10empty_typeEbEEZZNS1_14partition_implILS5_8ELb0ES3_jPKlPS6_PKS6_NS0_5tupleIJPlS6_EEENSE_IJSB_SB_EEENS0_18inequality_wrapperIN6hipcub16HIPCUB_304000_NS8EqualityEEESF_JS6_EEE10hipError_tPvRmT3_T4_T5_T6_T7_T9_mT8_P12ihipStream_tbDpT10_ENKUlT_T0_E_clISt17integral_constantIbLb0EES15_IbLb1EEEEDaS11_S12_EUlS11_E_NS1_11comp_targetILNS1_3genE10ELNS1_11target_archE1200ELNS1_3gpuE4ELNS1_3repE0EEENS1_30default_config_static_selectorELNS0_4arch9wavefront6targetE0EEEvT1_.uses_vcc, 0
	.set _ZN7rocprim17ROCPRIM_400000_NS6detail17trampoline_kernelINS0_14default_configENS1_25partition_config_selectorILNS1_17partition_subalgoE8ElNS0_10empty_typeEbEEZZNS1_14partition_implILS5_8ELb0ES3_jPKlPS6_PKS6_NS0_5tupleIJPlS6_EEENSE_IJSB_SB_EEENS0_18inequality_wrapperIN6hipcub16HIPCUB_304000_NS8EqualityEEESF_JS6_EEE10hipError_tPvRmT3_T4_T5_T6_T7_T9_mT8_P12ihipStream_tbDpT10_ENKUlT_T0_E_clISt17integral_constantIbLb0EES15_IbLb1EEEEDaS11_S12_EUlS11_E_NS1_11comp_targetILNS1_3genE10ELNS1_11target_archE1200ELNS1_3gpuE4ELNS1_3repE0EEENS1_30default_config_static_selectorELNS0_4arch9wavefront6targetE0EEEvT1_.uses_flat_scratch, 0
	.set _ZN7rocprim17ROCPRIM_400000_NS6detail17trampoline_kernelINS0_14default_configENS1_25partition_config_selectorILNS1_17partition_subalgoE8ElNS0_10empty_typeEbEEZZNS1_14partition_implILS5_8ELb0ES3_jPKlPS6_PKS6_NS0_5tupleIJPlS6_EEENSE_IJSB_SB_EEENS0_18inequality_wrapperIN6hipcub16HIPCUB_304000_NS8EqualityEEESF_JS6_EEE10hipError_tPvRmT3_T4_T5_T6_T7_T9_mT8_P12ihipStream_tbDpT10_ENKUlT_T0_E_clISt17integral_constantIbLb0EES15_IbLb1EEEEDaS11_S12_EUlS11_E_NS1_11comp_targetILNS1_3genE10ELNS1_11target_archE1200ELNS1_3gpuE4ELNS1_3repE0EEENS1_30default_config_static_selectorELNS0_4arch9wavefront6targetE0EEEvT1_.has_dyn_sized_stack, 0
	.set _ZN7rocprim17ROCPRIM_400000_NS6detail17trampoline_kernelINS0_14default_configENS1_25partition_config_selectorILNS1_17partition_subalgoE8ElNS0_10empty_typeEbEEZZNS1_14partition_implILS5_8ELb0ES3_jPKlPS6_PKS6_NS0_5tupleIJPlS6_EEENSE_IJSB_SB_EEENS0_18inequality_wrapperIN6hipcub16HIPCUB_304000_NS8EqualityEEESF_JS6_EEE10hipError_tPvRmT3_T4_T5_T6_T7_T9_mT8_P12ihipStream_tbDpT10_ENKUlT_T0_E_clISt17integral_constantIbLb0EES15_IbLb1EEEEDaS11_S12_EUlS11_E_NS1_11comp_targetILNS1_3genE10ELNS1_11target_archE1200ELNS1_3gpuE4ELNS1_3repE0EEENS1_30default_config_static_selectorELNS0_4arch9wavefront6targetE0EEEvT1_.has_recursion, 0
	.set _ZN7rocprim17ROCPRIM_400000_NS6detail17trampoline_kernelINS0_14default_configENS1_25partition_config_selectorILNS1_17partition_subalgoE8ElNS0_10empty_typeEbEEZZNS1_14partition_implILS5_8ELb0ES3_jPKlPS6_PKS6_NS0_5tupleIJPlS6_EEENSE_IJSB_SB_EEENS0_18inequality_wrapperIN6hipcub16HIPCUB_304000_NS8EqualityEEESF_JS6_EEE10hipError_tPvRmT3_T4_T5_T6_T7_T9_mT8_P12ihipStream_tbDpT10_ENKUlT_T0_E_clISt17integral_constantIbLb0EES15_IbLb1EEEEDaS11_S12_EUlS11_E_NS1_11comp_targetILNS1_3genE10ELNS1_11target_archE1200ELNS1_3gpuE4ELNS1_3repE0EEENS1_30default_config_static_selectorELNS0_4arch9wavefront6targetE0EEEvT1_.has_indirect_call, 0
	.section	.AMDGPU.csdata,"",@progbits
; Kernel info:
; codeLenInByte = 0
; TotalNumSgprs: 0
; NumVgprs: 0
; ScratchSize: 0
; MemoryBound: 0
; FloatMode: 240
; IeeeMode: 1
; LDSByteSize: 0 bytes/workgroup (compile time only)
; SGPRBlocks: 0
; VGPRBlocks: 0
; NumSGPRsForWavesPerEU: 1
; NumVGPRsForWavesPerEU: 1
; Occupancy: 16
; WaveLimiterHint : 0
; COMPUTE_PGM_RSRC2:SCRATCH_EN: 0
; COMPUTE_PGM_RSRC2:USER_SGPR: 6
; COMPUTE_PGM_RSRC2:TRAP_HANDLER: 0
; COMPUTE_PGM_RSRC2:TGID_X_EN: 1
; COMPUTE_PGM_RSRC2:TGID_Y_EN: 0
; COMPUTE_PGM_RSRC2:TGID_Z_EN: 0
; COMPUTE_PGM_RSRC2:TIDIG_COMP_CNT: 0
	.section	.text._ZN7rocprim17ROCPRIM_400000_NS6detail17trampoline_kernelINS0_14default_configENS1_25partition_config_selectorILNS1_17partition_subalgoE8ElNS0_10empty_typeEbEEZZNS1_14partition_implILS5_8ELb0ES3_jPKlPS6_PKS6_NS0_5tupleIJPlS6_EEENSE_IJSB_SB_EEENS0_18inequality_wrapperIN6hipcub16HIPCUB_304000_NS8EqualityEEESF_JS6_EEE10hipError_tPvRmT3_T4_T5_T6_T7_T9_mT8_P12ihipStream_tbDpT10_ENKUlT_T0_E_clISt17integral_constantIbLb0EES15_IbLb1EEEEDaS11_S12_EUlS11_E_NS1_11comp_targetILNS1_3genE9ELNS1_11target_archE1100ELNS1_3gpuE3ELNS1_3repE0EEENS1_30default_config_static_selectorELNS0_4arch9wavefront6targetE0EEEvT1_,"axG",@progbits,_ZN7rocprim17ROCPRIM_400000_NS6detail17trampoline_kernelINS0_14default_configENS1_25partition_config_selectorILNS1_17partition_subalgoE8ElNS0_10empty_typeEbEEZZNS1_14partition_implILS5_8ELb0ES3_jPKlPS6_PKS6_NS0_5tupleIJPlS6_EEENSE_IJSB_SB_EEENS0_18inequality_wrapperIN6hipcub16HIPCUB_304000_NS8EqualityEEESF_JS6_EEE10hipError_tPvRmT3_T4_T5_T6_T7_T9_mT8_P12ihipStream_tbDpT10_ENKUlT_T0_E_clISt17integral_constantIbLb0EES15_IbLb1EEEEDaS11_S12_EUlS11_E_NS1_11comp_targetILNS1_3genE9ELNS1_11target_archE1100ELNS1_3gpuE3ELNS1_3repE0EEENS1_30default_config_static_selectorELNS0_4arch9wavefront6targetE0EEEvT1_,comdat
	.protected	_ZN7rocprim17ROCPRIM_400000_NS6detail17trampoline_kernelINS0_14default_configENS1_25partition_config_selectorILNS1_17partition_subalgoE8ElNS0_10empty_typeEbEEZZNS1_14partition_implILS5_8ELb0ES3_jPKlPS6_PKS6_NS0_5tupleIJPlS6_EEENSE_IJSB_SB_EEENS0_18inequality_wrapperIN6hipcub16HIPCUB_304000_NS8EqualityEEESF_JS6_EEE10hipError_tPvRmT3_T4_T5_T6_T7_T9_mT8_P12ihipStream_tbDpT10_ENKUlT_T0_E_clISt17integral_constantIbLb0EES15_IbLb1EEEEDaS11_S12_EUlS11_E_NS1_11comp_targetILNS1_3genE9ELNS1_11target_archE1100ELNS1_3gpuE3ELNS1_3repE0EEENS1_30default_config_static_selectorELNS0_4arch9wavefront6targetE0EEEvT1_ ; -- Begin function _ZN7rocprim17ROCPRIM_400000_NS6detail17trampoline_kernelINS0_14default_configENS1_25partition_config_selectorILNS1_17partition_subalgoE8ElNS0_10empty_typeEbEEZZNS1_14partition_implILS5_8ELb0ES3_jPKlPS6_PKS6_NS0_5tupleIJPlS6_EEENSE_IJSB_SB_EEENS0_18inequality_wrapperIN6hipcub16HIPCUB_304000_NS8EqualityEEESF_JS6_EEE10hipError_tPvRmT3_T4_T5_T6_T7_T9_mT8_P12ihipStream_tbDpT10_ENKUlT_T0_E_clISt17integral_constantIbLb0EES15_IbLb1EEEEDaS11_S12_EUlS11_E_NS1_11comp_targetILNS1_3genE9ELNS1_11target_archE1100ELNS1_3gpuE3ELNS1_3repE0EEENS1_30default_config_static_selectorELNS0_4arch9wavefront6targetE0EEEvT1_
	.globl	_ZN7rocprim17ROCPRIM_400000_NS6detail17trampoline_kernelINS0_14default_configENS1_25partition_config_selectorILNS1_17partition_subalgoE8ElNS0_10empty_typeEbEEZZNS1_14partition_implILS5_8ELb0ES3_jPKlPS6_PKS6_NS0_5tupleIJPlS6_EEENSE_IJSB_SB_EEENS0_18inequality_wrapperIN6hipcub16HIPCUB_304000_NS8EqualityEEESF_JS6_EEE10hipError_tPvRmT3_T4_T5_T6_T7_T9_mT8_P12ihipStream_tbDpT10_ENKUlT_T0_E_clISt17integral_constantIbLb0EES15_IbLb1EEEEDaS11_S12_EUlS11_E_NS1_11comp_targetILNS1_3genE9ELNS1_11target_archE1100ELNS1_3gpuE3ELNS1_3repE0EEENS1_30default_config_static_selectorELNS0_4arch9wavefront6targetE0EEEvT1_
	.p2align	8
	.type	_ZN7rocprim17ROCPRIM_400000_NS6detail17trampoline_kernelINS0_14default_configENS1_25partition_config_selectorILNS1_17partition_subalgoE8ElNS0_10empty_typeEbEEZZNS1_14partition_implILS5_8ELb0ES3_jPKlPS6_PKS6_NS0_5tupleIJPlS6_EEENSE_IJSB_SB_EEENS0_18inequality_wrapperIN6hipcub16HIPCUB_304000_NS8EqualityEEESF_JS6_EEE10hipError_tPvRmT3_T4_T5_T6_T7_T9_mT8_P12ihipStream_tbDpT10_ENKUlT_T0_E_clISt17integral_constantIbLb0EES15_IbLb1EEEEDaS11_S12_EUlS11_E_NS1_11comp_targetILNS1_3genE9ELNS1_11target_archE1100ELNS1_3gpuE3ELNS1_3repE0EEENS1_30default_config_static_selectorELNS0_4arch9wavefront6targetE0EEEvT1_,@function
_ZN7rocprim17ROCPRIM_400000_NS6detail17trampoline_kernelINS0_14default_configENS1_25partition_config_selectorILNS1_17partition_subalgoE8ElNS0_10empty_typeEbEEZZNS1_14partition_implILS5_8ELb0ES3_jPKlPS6_PKS6_NS0_5tupleIJPlS6_EEENSE_IJSB_SB_EEENS0_18inequality_wrapperIN6hipcub16HIPCUB_304000_NS8EqualityEEESF_JS6_EEE10hipError_tPvRmT3_T4_T5_T6_T7_T9_mT8_P12ihipStream_tbDpT10_ENKUlT_T0_E_clISt17integral_constantIbLb0EES15_IbLb1EEEEDaS11_S12_EUlS11_E_NS1_11comp_targetILNS1_3genE9ELNS1_11target_archE1100ELNS1_3gpuE3ELNS1_3repE0EEENS1_30default_config_static_selectorELNS0_4arch9wavefront6targetE0EEEvT1_: ; @_ZN7rocprim17ROCPRIM_400000_NS6detail17trampoline_kernelINS0_14default_configENS1_25partition_config_selectorILNS1_17partition_subalgoE8ElNS0_10empty_typeEbEEZZNS1_14partition_implILS5_8ELb0ES3_jPKlPS6_PKS6_NS0_5tupleIJPlS6_EEENSE_IJSB_SB_EEENS0_18inequality_wrapperIN6hipcub16HIPCUB_304000_NS8EqualityEEESF_JS6_EEE10hipError_tPvRmT3_T4_T5_T6_T7_T9_mT8_P12ihipStream_tbDpT10_ENKUlT_T0_E_clISt17integral_constantIbLb0EES15_IbLb1EEEEDaS11_S12_EUlS11_E_NS1_11comp_targetILNS1_3genE9ELNS1_11target_archE1100ELNS1_3gpuE3ELNS1_3repE0EEENS1_30default_config_static_selectorELNS0_4arch9wavefront6targetE0EEEvT1_
; %bb.0:
	.section	.rodata,"a",@progbits
	.p2align	6, 0x0
	.amdhsa_kernel _ZN7rocprim17ROCPRIM_400000_NS6detail17trampoline_kernelINS0_14default_configENS1_25partition_config_selectorILNS1_17partition_subalgoE8ElNS0_10empty_typeEbEEZZNS1_14partition_implILS5_8ELb0ES3_jPKlPS6_PKS6_NS0_5tupleIJPlS6_EEENSE_IJSB_SB_EEENS0_18inequality_wrapperIN6hipcub16HIPCUB_304000_NS8EqualityEEESF_JS6_EEE10hipError_tPvRmT3_T4_T5_T6_T7_T9_mT8_P12ihipStream_tbDpT10_ENKUlT_T0_E_clISt17integral_constantIbLb0EES15_IbLb1EEEEDaS11_S12_EUlS11_E_NS1_11comp_targetILNS1_3genE9ELNS1_11target_archE1100ELNS1_3gpuE3ELNS1_3repE0EEENS1_30default_config_static_selectorELNS0_4arch9wavefront6targetE0EEEvT1_
		.amdhsa_group_segment_fixed_size 0
		.amdhsa_private_segment_fixed_size 0
		.amdhsa_kernarg_size 128
		.amdhsa_user_sgpr_count 6
		.amdhsa_user_sgpr_private_segment_buffer 1
		.amdhsa_user_sgpr_dispatch_ptr 0
		.amdhsa_user_sgpr_queue_ptr 0
		.amdhsa_user_sgpr_kernarg_segment_ptr 1
		.amdhsa_user_sgpr_dispatch_id 0
		.amdhsa_user_sgpr_flat_scratch_init 0
		.amdhsa_user_sgpr_private_segment_size 0
		.amdhsa_wavefront_size32 1
		.amdhsa_uses_dynamic_stack 0
		.amdhsa_system_sgpr_private_segment_wavefront_offset 0
		.amdhsa_system_sgpr_workgroup_id_x 1
		.amdhsa_system_sgpr_workgroup_id_y 0
		.amdhsa_system_sgpr_workgroup_id_z 0
		.amdhsa_system_sgpr_workgroup_info 0
		.amdhsa_system_vgpr_workitem_id 0
		.amdhsa_next_free_vgpr 1
		.amdhsa_next_free_sgpr 1
		.amdhsa_reserve_vcc 0
		.amdhsa_reserve_flat_scratch 0
		.amdhsa_float_round_mode_32 0
		.amdhsa_float_round_mode_16_64 0
		.amdhsa_float_denorm_mode_32 3
		.amdhsa_float_denorm_mode_16_64 3
		.amdhsa_dx10_clamp 1
		.amdhsa_ieee_mode 1
		.amdhsa_fp16_overflow 0
		.amdhsa_workgroup_processor_mode 1
		.amdhsa_memory_ordered 1
		.amdhsa_forward_progress 1
		.amdhsa_shared_vgpr_count 0
		.amdhsa_exception_fp_ieee_invalid_op 0
		.amdhsa_exception_fp_denorm_src 0
		.amdhsa_exception_fp_ieee_div_zero 0
		.amdhsa_exception_fp_ieee_overflow 0
		.amdhsa_exception_fp_ieee_underflow 0
		.amdhsa_exception_fp_ieee_inexact 0
		.amdhsa_exception_int_div_zero 0
	.end_amdhsa_kernel
	.section	.text._ZN7rocprim17ROCPRIM_400000_NS6detail17trampoline_kernelINS0_14default_configENS1_25partition_config_selectorILNS1_17partition_subalgoE8ElNS0_10empty_typeEbEEZZNS1_14partition_implILS5_8ELb0ES3_jPKlPS6_PKS6_NS0_5tupleIJPlS6_EEENSE_IJSB_SB_EEENS0_18inequality_wrapperIN6hipcub16HIPCUB_304000_NS8EqualityEEESF_JS6_EEE10hipError_tPvRmT3_T4_T5_T6_T7_T9_mT8_P12ihipStream_tbDpT10_ENKUlT_T0_E_clISt17integral_constantIbLb0EES15_IbLb1EEEEDaS11_S12_EUlS11_E_NS1_11comp_targetILNS1_3genE9ELNS1_11target_archE1100ELNS1_3gpuE3ELNS1_3repE0EEENS1_30default_config_static_selectorELNS0_4arch9wavefront6targetE0EEEvT1_,"axG",@progbits,_ZN7rocprim17ROCPRIM_400000_NS6detail17trampoline_kernelINS0_14default_configENS1_25partition_config_selectorILNS1_17partition_subalgoE8ElNS0_10empty_typeEbEEZZNS1_14partition_implILS5_8ELb0ES3_jPKlPS6_PKS6_NS0_5tupleIJPlS6_EEENSE_IJSB_SB_EEENS0_18inequality_wrapperIN6hipcub16HIPCUB_304000_NS8EqualityEEESF_JS6_EEE10hipError_tPvRmT3_T4_T5_T6_T7_T9_mT8_P12ihipStream_tbDpT10_ENKUlT_T0_E_clISt17integral_constantIbLb0EES15_IbLb1EEEEDaS11_S12_EUlS11_E_NS1_11comp_targetILNS1_3genE9ELNS1_11target_archE1100ELNS1_3gpuE3ELNS1_3repE0EEENS1_30default_config_static_selectorELNS0_4arch9wavefront6targetE0EEEvT1_,comdat
.Lfunc_end256:
	.size	_ZN7rocprim17ROCPRIM_400000_NS6detail17trampoline_kernelINS0_14default_configENS1_25partition_config_selectorILNS1_17partition_subalgoE8ElNS0_10empty_typeEbEEZZNS1_14partition_implILS5_8ELb0ES3_jPKlPS6_PKS6_NS0_5tupleIJPlS6_EEENSE_IJSB_SB_EEENS0_18inequality_wrapperIN6hipcub16HIPCUB_304000_NS8EqualityEEESF_JS6_EEE10hipError_tPvRmT3_T4_T5_T6_T7_T9_mT8_P12ihipStream_tbDpT10_ENKUlT_T0_E_clISt17integral_constantIbLb0EES15_IbLb1EEEEDaS11_S12_EUlS11_E_NS1_11comp_targetILNS1_3genE9ELNS1_11target_archE1100ELNS1_3gpuE3ELNS1_3repE0EEENS1_30default_config_static_selectorELNS0_4arch9wavefront6targetE0EEEvT1_, .Lfunc_end256-_ZN7rocprim17ROCPRIM_400000_NS6detail17trampoline_kernelINS0_14default_configENS1_25partition_config_selectorILNS1_17partition_subalgoE8ElNS0_10empty_typeEbEEZZNS1_14partition_implILS5_8ELb0ES3_jPKlPS6_PKS6_NS0_5tupleIJPlS6_EEENSE_IJSB_SB_EEENS0_18inequality_wrapperIN6hipcub16HIPCUB_304000_NS8EqualityEEESF_JS6_EEE10hipError_tPvRmT3_T4_T5_T6_T7_T9_mT8_P12ihipStream_tbDpT10_ENKUlT_T0_E_clISt17integral_constantIbLb0EES15_IbLb1EEEEDaS11_S12_EUlS11_E_NS1_11comp_targetILNS1_3genE9ELNS1_11target_archE1100ELNS1_3gpuE3ELNS1_3repE0EEENS1_30default_config_static_selectorELNS0_4arch9wavefront6targetE0EEEvT1_
                                        ; -- End function
	.set _ZN7rocprim17ROCPRIM_400000_NS6detail17trampoline_kernelINS0_14default_configENS1_25partition_config_selectorILNS1_17partition_subalgoE8ElNS0_10empty_typeEbEEZZNS1_14partition_implILS5_8ELb0ES3_jPKlPS6_PKS6_NS0_5tupleIJPlS6_EEENSE_IJSB_SB_EEENS0_18inequality_wrapperIN6hipcub16HIPCUB_304000_NS8EqualityEEESF_JS6_EEE10hipError_tPvRmT3_T4_T5_T6_T7_T9_mT8_P12ihipStream_tbDpT10_ENKUlT_T0_E_clISt17integral_constantIbLb0EES15_IbLb1EEEEDaS11_S12_EUlS11_E_NS1_11comp_targetILNS1_3genE9ELNS1_11target_archE1100ELNS1_3gpuE3ELNS1_3repE0EEENS1_30default_config_static_selectorELNS0_4arch9wavefront6targetE0EEEvT1_.num_vgpr, 0
	.set _ZN7rocprim17ROCPRIM_400000_NS6detail17trampoline_kernelINS0_14default_configENS1_25partition_config_selectorILNS1_17partition_subalgoE8ElNS0_10empty_typeEbEEZZNS1_14partition_implILS5_8ELb0ES3_jPKlPS6_PKS6_NS0_5tupleIJPlS6_EEENSE_IJSB_SB_EEENS0_18inequality_wrapperIN6hipcub16HIPCUB_304000_NS8EqualityEEESF_JS6_EEE10hipError_tPvRmT3_T4_T5_T6_T7_T9_mT8_P12ihipStream_tbDpT10_ENKUlT_T0_E_clISt17integral_constantIbLb0EES15_IbLb1EEEEDaS11_S12_EUlS11_E_NS1_11comp_targetILNS1_3genE9ELNS1_11target_archE1100ELNS1_3gpuE3ELNS1_3repE0EEENS1_30default_config_static_selectorELNS0_4arch9wavefront6targetE0EEEvT1_.num_agpr, 0
	.set _ZN7rocprim17ROCPRIM_400000_NS6detail17trampoline_kernelINS0_14default_configENS1_25partition_config_selectorILNS1_17partition_subalgoE8ElNS0_10empty_typeEbEEZZNS1_14partition_implILS5_8ELb0ES3_jPKlPS6_PKS6_NS0_5tupleIJPlS6_EEENSE_IJSB_SB_EEENS0_18inequality_wrapperIN6hipcub16HIPCUB_304000_NS8EqualityEEESF_JS6_EEE10hipError_tPvRmT3_T4_T5_T6_T7_T9_mT8_P12ihipStream_tbDpT10_ENKUlT_T0_E_clISt17integral_constantIbLb0EES15_IbLb1EEEEDaS11_S12_EUlS11_E_NS1_11comp_targetILNS1_3genE9ELNS1_11target_archE1100ELNS1_3gpuE3ELNS1_3repE0EEENS1_30default_config_static_selectorELNS0_4arch9wavefront6targetE0EEEvT1_.numbered_sgpr, 0
	.set _ZN7rocprim17ROCPRIM_400000_NS6detail17trampoline_kernelINS0_14default_configENS1_25partition_config_selectorILNS1_17partition_subalgoE8ElNS0_10empty_typeEbEEZZNS1_14partition_implILS5_8ELb0ES3_jPKlPS6_PKS6_NS0_5tupleIJPlS6_EEENSE_IJSB_SB_EEENS0_18inequality_wrapperIN6hipcub16HIPCUB_304000_NS8EqualityEEESF_JS6_EEE10hipError_tPvRmT3_T4_T5_T6_T7_T9_mT8_P12ihipStream_tbDpT10_ENKUlT_T0_E_clISt17integral_constantIbLb0EES15_IbLb1EEEEDaS11_S12_EUlS11_E_NS1_11comp_targetILNS1_3genE9ELNS1_11target_archE1100ELNS1_3gpuE3ELNS1_3repE0EEENS1_30default_config_static_selectorELNS0_4arch9wavefront6targetE0EEEvT1_.num_named_barrier, 0
	.set _ZN7rocprim17ROCPRIM_400000_NS6detail17trampoline_kernelINS0_14default_configENS1_25partition_config_selectorILNS1_17partition_subalgoE8ElNS0_10empty_typeEbEEZZNS1_14partition_implILS5_8ELb0ES3_jPKlPS6_PKS6_NS0_5tupleIJPlS6_EEENSE_IJSB_SB_EEENS0_18inequality_wrapperIN6hipcub16HIPCUB_304000_NS8EqualityEEESF_JS6_EEE10hipError_tPvRmT3_T4_T5_T6_T7_T9_mT8_P12ihipStream_tbDpT10_ENKUlT_T0_E_clISt17integral_constantIbLb0EES15_IbLb1EEEEDaS11_S12_EUlS11_E_NS1_11comp_targetILNS1_3genE9ELNS1_11target_archE1100ELNS1_3gpuE3ELNS1_3repE0EEENS1_30default_config_static_selectorELNS0_4arch9wavefront6targetE0EEEvT1_.private_seg_size, 0
	.set _ZN7rocprim17ROCPRIM_400000_NS6detail17trampoline_kernelINS0_14default_configENS1_25partition_config_selectorILNS1_17partition_subalgoE8ElNS0_10empty_typeEbEEZZNS1_14partition_implILS5_8ELb0ES3_jPKlPS6_PKS6_NS0_5tupleIJPlS6_EEENSE_IJSB_SB_EEENS0_18inequality_wrapperIN6hipcub16HIPCUB_304000_NS8EqualityEEESF_JS6_EEE10hipError_tPvRmT3_T4_T5_T6_T7_T9_mT8_P12ihipStream_tbDpT10_ENKUlT_T0_E_clISt17integral_constantIbLb0EES15_IbLb1EEEEDaS11_S12_EUlS11_E_NS1_11comp_targetILNS1_3genE9ELNS1_11target_archE1100ELNS1_3gpuE3ELNS1_3repE0EEENS1_30default_config_static_selectorELNS0_4arch9wavefront6targetE0EEEvT1_.uses_vcc, 0
	.set _ZN7rocprim17ROCPRIM_400000_NS6detail17trampoline_kernelINS0_14default_configENS1_25partition_config_selectorILNS1_17partition_subalgoE8ElNS0_10empty_typeEbEEZZNS1_14partition_implILS5_8ELb0ES3_jPKlPS6_PKS6_NS0_5tupleIJPlS6_EEENSE_IJSB_SB_EEENS0_18inequality_wrapperIN6hipcub16HIPCUB_304000_NS8EqualityEEESF_JS6_EEE10hipError_tPvRmT3_T4_T5_T6_T7_T9_mT8_P12ihipStream_tbDpT10_ENKUlT_T0_E_clISt17integral_constantIbLb0EES15_IbLb1EEEEDaS11_S12_EUlS11_E_NS1_11comp_targetILNS1_3genE9ELNS1_11target_archE1100ELNS1_3gpuE3ELNS1_3repE0EEENS1_30default_config_static_selectorELNS0_4arch9wavefront6targetE0EEEvT1_.uses_flat_scratch, 0
	.set _ZN7rocprim17ROCPRIM_400000_NS6detail17trampoline_kernelINS0_14default_configENS1_25partition_config_selectorILNS1_17partition_subalgoE8ElNS0_10empty_typeEbEEZZNS1_14partition_implILS5_8ELb0ES3_jPKlPS6_PKS6_NS0_5tupleIJPlS6_EEENSE_IJSB_SB_EEENS0_18inequality_wrapperIN6hipcub16HIPCUB_304000_NS8EqualityEEESF_JS6_EEE10hipError_tPvRmT3_T4_T5_T6_T7_T9_mT8_P12ihipStream_tbDpT10_ENKUlT_T0_E_clISt17integral_constantIbLb0EES15_IbLb1EEEEDaS11_S12_EUlS11_E_NS1_11comp_targetILNS1_3genE9ELNS1_11target_archE1100ELNS1_3gpuE3ELNS1_3repE0EEENS1_30default_config_static_selectorELNS0_4arch9wavefront6targetE0EEEvT1_.has_dyn_sized_stack, 0
	.set _ZN7rocprim17ROCPRIM_400000_NS6detail17trampoline_kernelINS0_14default_configENS1_25partition_config_selectorILNS1_17partition_subalgoE8ElNS0_10empty_typeEbEEZZNS1_14partition_implILS5_8ELb0ES3_jPKlPS6_PKS6_NS0_5tupleIJPlS6_EEENSE_IJSB_SB_EEENS0_18inequality_wrapperIN6hipcub16HIPCUB_304000_NS8EqualityEEESF_JS6_EEE10hipError_tPvRmT3_T4_T5_T6_T7_T9_mT8_P12ihipStream_tbDpT10_ENKUlT_T0_E_clISt17integral_constantIbLb0EES15_IbLb1EEEEDaS11_S12_EUlS11_E_NS1_11comp_targetILNS1_3genE9ELNS1_11target_archE1100ELNS1_3gpuE3ELNS1_3repE0EEENS1_30default_config_static_selectorELNS0_4arch9wavefront6targetE0EEEvT1_.has_recursion, 0
	.set _ZN7rocprim17ROCPRIM_400000_NS6detail17trampoline_kernelINS0_14default_configENS1_25partition_config_selectorILNS1_17partition_subalgoE8ElNS0_10empty_typeEbEEZZNS1_14partition_implILS5_8ELb0ES3_jPKlPS6_PKS6_NS0_5tupleIJPlS6_EEENSE_IJSB_SB_EEENS0_18inequality_wrapperIN6hipcub16HIPCUB_304000_NS8EqualityEEESF_JS6_EEE10hipError_tPvRmT3_T4_T5_T6_T7_T9_mT8_P12ihipStream_tbDpT10_ENKUlT_T0_E_clISt17integral_constantIbLb0EES15_IbLb1EEEEDaS11_S12_EUlS11_E_NS1_11comp_targetILNS1_3genE9ELNS1_11target_archE1100ELNS1_3gpuE3ELNS1_3repE0EEENS1_30default_config_static_selectorELNS0_4arch9wavefront6targetE0EEEvT1_.has_indirect_call, 0
	.section	.AMDGPU.csdata,"",@progbits
; Kernel info:
; codeLenInByte = 0
; TotalNumSgprs: 0
; NumVgprs: 0
; ScratchSize: 0
; MemoryBound: 0
; FloatMode: 240
; IeeeMode: 1
; LDSByteSize: 0 bytes/workgroup (compile time only)
; SGPRBlocks: 0
; VGPRBlocks: 0
; NumSGPRsForWavesPerEU: 1
; NumVGPRsForWavesPerEU: 1
; Occupancy: 16
; WaveLimiterHint : 0
; COMPUTE_PGM_RSRC2:SCRATCH_EN: 0
; COMPUTE_PGM_RSRC2:USER_SGPR: 6
; COMPUTE_PGM_RSRC2:TRAP_HANDLER: 0
; COMPUTE_PGM_RSRC2:TGID_X_EN: 1
; COMPUTE_PGM_RSRC2:TGID_Y_EN: 0
; COMPUTE_PGM_RSRC2:TGID_Z_EN: 0
; COMPUTE_PGM_RSRC2:TIDIG_COMP_CNT: 0
	.section	.text._ZN7rocprim17ROCPRIM_400000_NS6detail17trampoline_kernelINS0_14default_configENS1_25partition_config_selectorILNS1_17partition_subalgoE8ElNS0_10empty_typeEbEEZZNS1_14partition_implILS5_8ELb0ES3_jPKlPS6_PKS6_NS0_5tupleIJPlS6_EEENSE_IJSB_SB_EEENS0_18inequality_wrapperIN6hipcub16HIPCUB_304000_NS8EqualityEEESF_JS6_EEE10hipError_tPvRmT3_T4_T5_T6_T7_T9_mT8_P12ihipStream_tbDpT10_ENKUlT_T0_E_clISt17integral_constantIbLb0EES15_IbLb1EEEEDaS11_S12_EUlS11_E_NS1_11comp_targetILNS1_3genE8ELNS1_11target_archE1030ELNS1_3gpuE2ELNS1_3repE0EEENS1_30default_config_static_selectorELNS0_4arch9wavefront6targetE0EEEvT1_,"axG",@progbits,_ZN7rocprim17ROCPRIM_400000_NS6detail17trampoline_kernelINS0_14default_configENS1_25partition_config_selectorILNS1_17partition_subalgoE8ElNS0_10empty_typeEbEEZZNS1_14partition_implILS5_8ELb0ES3_jPKlPS6_PKS6_NS0_5tupleIJPlS6_EEENSE_IJSB_SB_EEENS0_18inequality_wrapperIN6hipcub16HIPCUB_304000_NS8EqualityEEESF_JS6_EEE10hipError_tPvRmT3_T4_T5_T6_T7_T9_mT8_P12ihipStream_tbDpT10_ENKUlT_T0_E_clISt17integral_constantIbLb0EES15_IbLb1EEEEDaS11_S12_EUlS11_E_NS1_11comp_targetILNS1_3genE8ELNS1_11target_archE1030ELNS1_3gpuE2ELNS1_3repE0EEENS1_30default_config_static_selectorELNS0_4arch9wavefront6targetE0EEEvT1_,comdat
	.protected	_ZN7rocprim17ROCPRIM_400000_NS6detail17trampoline_kernelINS0_14default_configENS1_25partition_config_selectorILNS1_17partition_subalgoE8ElNS0_10empty_typeEbEEZZNS1_14partition_implILS5_8ELb0ES3_jPKlPS6_PKS6_NS0_5tupleIJPlS6_EEENSE_IJSB_SB_EEENS0_18inequality_wrapperIN6hipcub16HIPCUB_304000_NS8EqualityEEESF_JS6_EEE10hipError_tPvRmT3_T4_T5_T6_T7_T9_mT8_P12ihipStream_tbDpT10_ENKUlT_T0_E_clISt17integral_constantIbLb0EES15_IbLb1EEEEDaS11_S12_EUlS11_E_NS1_11comp_targetILNS1_3genE8ELNS1_11target_archE1030ELNS1_3gpuE2ELNS1_3repE0EEENS1_30default_config_static_selectorELNS0_4arch9wavefront6targetE0EEEvT1_ ; -- Begin function _ZN7rocprim17ROCPRIM_400000_NS6detail17trampoline_kernelINS0_14default_configENS1_25partition_config_selectorILNS1_17partition_subalgoE8ElNS0_10empty_typeEbEEZZNS1_14partition_implILS5_8ELb0ES3_jPKlPS6_PKS6_NS0_5tupleIJPlS6_EEENSE_IJSB_SB_EEENS0_18inequality_wrapperIN6hipcub16HIPCUB_304000_NS8EqualityEEESF_JS6_EEE10hipError_tPvRmT3_T4_T5_T6_T7_T9_mT8_P12ihipStream_tbDpT10_ENKUlT_T0_E_clISt17integral_constantIbLb0EES15_IbLb1EEEEDaS11_S12_EUlS11_E_NS1_11comp_targetILNS1_3genE8ELNS1_11target_archE1030ELNS1_3gpuE2ELNS1_3repE0EEENS1_30default_config_static_selectorELNS0_4arch9wavefront6targetE0EEEvT1_
	.globl	_ZN7rocprim17ROCPRIM_400000_NS6detail17trampoline_kernelINS0_14default_configENS1_25partition_config_selectorILNS1_17partition_subalgoE8ElNS0_10empty_typeEbEEZZNS1_14partition_implILS5_8ELb0ES3_jPKlPS6_PKS6_NS0_5tupleIJPlS6_EEENSE_IJSB_SB_EEENS0_18inequality_wrapperIN6hipcub16HIPCUB_304000_NS8EqualityEEESF_JS6_EEE10hipError_tPvRmT3_T4_T5_T6_T7_T9_mT8_P12ihipStream_tbDpT10_ENKUlT_T0_E_clISt17integral_constantIbLb0EES15_IbLb1EEEEDaS11_S12_EUlS11_E_NS1_11comp_targetILNS1_3genE8ELNS1_11target_archE1030ELNS1_3gpuE2ELNS1_3repE0EEENS1_30default_config_static_selectorELNS0_4arch9wavefront6targetE0EEEvT1_
	.p2align	8
	.type	_ZN7rocprim17ROCPRIM_400000_NS6detail17trampoline_kernelINS0_14default_configENS1_25partition_config_selectorILNS1_17partition_subalgoE8ElNS0_10empty_typeEbEEZZNS1_14partition_implILS5_8ELb0ES3_jPKlPS6_PKS6_NS0_5tupleIJPlS6_EEENSE_IJSB_SB_EEENS0_18inequality_wrapperIN6hipcub16HIPCUB_304000_NS8EqualityEEESF_JS6_EEE10hipError_tPvRmT3_T4_T5_T6_T7_T9_mT8_P12ihipStream_tbDpT10_ENKUlT_T0_E_clISt17integral_constantIbLb0EES15_IbLb1EEEEDaS11_S12_EUlS11_E_NS1_11comp_targetILNS1_3genE8ELNS1_11target_archE1030ELNS1_3gpuE2ELNS1_3repE0EEENS1_30default_config_static_selectorELNS0_4arch9wavefront6targetE0EEEvT1_,@function
_ZN7rocprim17ROCPRIM_400000_NS6detail17trampoline_kernelINS0_14default_configENS1_25partition_config_selectorILNS1_17partition_subalgoE8ElNS0_10empty_typeEbEEZZNS1_14partition_implILS5_8ELb0ES3_jPKlPS6_PKS6_NS0_5tupleIJPlS6_EEENSE_IJSB_SB_EEENS0_18inequality_wrapperIN6hipcub16HIPCUB_304000_NS8EqualityEEESF_JS6_EEE10hipError_tPvRmT3_T4_T5_T6_T7_T9_mT8_P12ihipStream_tbDpT10_ENKUlT_T0_E_clISt17integral_constantIbLb0EES15_IbLb1EEEEDaS11_S12_EUlS11_E_NS1_11comp_targetILNS1_3genE8ELNS1_11target_archE1030ELNS1_3gpuE2ELNS1_3repE0EEENS1_30default_config_static_selectorELNS0_4arch9wavefront6targetE0EEEvT1_: ; @_ZN7rocprim17ROCPRIM_400000_NS6detail17trampoline_kernelINS0_14default_configENS1_25partition_config_selectorILNS1_17partition_subalgoE8ElNS0_10empty_typeEbEEZZNS1_14partition_implILS5_8ELb0ES3_jPKlPS6_PKS6_NS0_5tupleIJPlS6_EEENSE_IJSB_SB_EEENS0_18inequality_wrapperIN6hipcub16HIPCUB_304000_NS8EqualityEEESF_JS6_EEE10hipError_tPvRmT3_T4_T5_T6_T7_T9_mT8_P12ihipStream_tbDpT10_ENKUlT_T0_E_clISt17integral_constantIbLb0EES15_IbLb1EEEEDaS11_S12_EUlS11_E_NS1_11comp_targetILNS1_3genE8ELNS1_11target_archE1030ELNS1_3gpuE2ELNS1_3repE0EEENS1_30default_config_static_selectorELNS0_4arch9wavefront6targetE0EEEvT1_
; %bb.0:
	s_clause 0x3
	s_load_dwordx2 s[16:17], s[4:5], 0x28
	s_load_dwordx4 s[12:15], s[4:5], 0x40
	s_load_dwordx2 s[2:3], s[4:5], 0x50
	s_load_dwordx2 s[18:19], s[4:5], 0x60
	v_cmp_ne_u32_e64 s1, 0, v0
	v_cmp_eq_u32_e64 s0, 0, v0
	s_and_saveexec_b32 s6, s0
	s_cbranch_execz .LBB257_4
; %bb.1:
	s_mov_b32 s8, exec_lo
	s_mov_b32 s7, exec_lo
	v_mbcnt_lo_u32_b32 v1, s8, 0
                                        ; implicit-def: $vgpr2
	v_cmpx_eq_u32_e32 0, v1
	s_cbranch_execz .LBB257_3
; %bb.2:
	s_load_dwordx2 s[10:11], s[4:5], 0x70
	s_bcnt1_i32_b32 s8, s8
	v_mov_b32_e32 v2, 0
	v_mov_b32_e32 v3, s8
	s_waitcnt lgkmcnt(0)
	global_atomic_add v2, v2, v3, s[10:11] glc
.LBB257_3:
	s_or_b32 exec_lo, exec_lo, s7
	s_waitcnt vmcnt(0)
	v_readfirstlane_b32 s7, v2
	v_mov_b32_e32 v2, 0
	v_add_nc_u32_e32 v1, s7, v1
	ds_write_b32 v2, v1
.LBB257_4:
	s_or_b32 exec_lo, exec_lo, s6
	v_mov_b32_e32 v2, 0
	s_clause 0x1
	s_load_dwordx4 s[8:11], s[4:5], 0x8
	s_load_dword s4, s[4:5], 0x68
	s_waitcnt lgkmcnt(0)
	s_barrier
	buffer_gl0_inv
	ds_read_b32 v1, v2
	s_waitcnt lgkmcnt(0)
	s_barrier
	buffer_gl0_inv
	global_load_dwordx2 v[21:22], v2, s[14:15]
	v_lshlrev_b32_e32 v40, 3, v0
	v_lshrrev_b32_e32 v27, 2, v0
	v_or_b32_e32 v29, 0x200, v0
	v_or_b32_e32 v28, 0x400, v0
	;; [unrolled: 1-line block ×7, first 2 shown]
	s_lshl_b64 s[6:7], s[10:11], 3
	s_add_u32 s5, s8, s6
	s_addc_u32 s8, s9, s7
	s_add_i32 s9, s4, -1
	v_readfirstlane_b32 s15, v1
	s_lshl_b32 s6, s9, 12
	v_lshlrev_b32_e32 v1, 12, v1
	s_lshl_b32 s7, s4, 12
	s_add_i32 s4, s10, s6
	s_add_u32 s6, s10, s7
	s_addc_u32 s7, s11, 0
	v_lshlrev_b64 v[1:2], 3, v[1:2]
	v_cmp_le_u64_e64 s3, s[2:3], s[6:7]
	s_cmp_eq_u32 s15, s9
	s_cselect_b32 s9, -1, 0
	v_add_co_u32 v25, vcc_lo, s5, v1
	s_and_b32 s20, s3, s9
	v_add_co_ci_u32_e64 v26, null, s8, v2, vcc_lo
	s_xor_b32 s14, s20, -1
	s_mov_b32 s3, -1
	s_and_b32 vcc_lo, exec_lo, s14
	s_cbranch_vccz .LBB257_6
; %bb.5:
	v_add_co_u32 v15, vcc_lo, v25, v40
	v_add_co_ci_u32_e64 v16, null, 0, v26, vcc_lo
	v_readfirstlane_b32 s6, v25
	v_add_co_u32 v3, vcc_lo, 0x1000, v15
	v_add_co_ci_u32_e64 v4, null, 0, v16, vcc_lo
	v_add_co_u32 v5, vcc_lo, 0x2000, v15
	v_add_co_ci_u32_e64 v6, null, 0, v16, vcc_lo
	;; [unrolled: 2-line block ×4, first 2 shown]
	v_add_co_u32 v11, vcc_lo, 0x5000, v15
	v_readfirstlane_b32 s7, v26
	v_add_co_ci_u32_e64 v12, null, 0, v16, vcc_lo
	v_add_co_u32 v13, vcc_lo, 0x6000, v15
	v_add_co_ci_u32_e64 v14, null, 0, v16, vcc_lo
	v_add_co_u32 v15, vcc_lo, 0x7000, v15
	v_add_co_ci_u32_e64 v16, null, 0, v16, vcc_lo
	s_clause 0x7
	global_load_dwordx2 v[1:2], v40, s[6:7]
	global_load_dwordx2 v[3:4], v[3:4], off
	global_load_dwordx2 v[5:6], v[5:6], off
	;; [unrolled: 1-line block ×7, first 2 shown]
	v_lshrrev_b32_e32 v30, 2, v29
	v_lshrrev_b32_e32 v31, 2, v28
	;; [unrolled: 1-line block ×4, first 2 shown]
	v_and_b32_e32 v17, 0x78, v27
	v_lshrrev_b32_e32 v34, 2, v20
	v_lshrrev_b32_e32 v35, 2, v19
	;; [unrolled: 1-line block ×3, first 2 shown]
	v_and_b32_e32 v30, 0xf8, v30
	v_and_b32_e32 v31, 0x178, v31
	;; [unrolled: 1-line block ×4, first 2 shown]
	v_add_nc_u32_e32 v17, v17, v40
	v_and_b32_e32 v34, 0x2f8, v34
	v_and_b32_e32 v35, 0x378, v35
	;; [unrolled: 1-line block ×3, first 2 shown]
	v_add_nc_u32_e32 v30, v30, v40
	v_add_nc_u32_e32 v31, v31, v40
	;; [unrolled: 1-line block ×4, first 2 shown]
	s_mov_b32 s3, 0
	v_add_nc_u32_e32 v34, v34, v40
	v_add_nc_u32_e32 v35, v35, v40
	;; [unrolled: 1-line block ×3, first 2 shown]
	s_waitcnt vmcnt(7)
	ds_write_b64 v17, v[1:2]
	s_waitcnt vmcnt(6)
	ds_write_b64 v30, v[3:4] offset:4096
	s_waitcnt vmcnt(5)
	ds_write_b64 v31, v[5:6] offset:8192
	;; [unrolled: 2-line block ×7, first 2 shown]
	s_waitcnt lgkmcnt(0)
	s_barrier
.LBB257_6:
	s_andn2_b32 vcc_lo, exec_lo, s3
	s_sub_i32 s21, s2, s4
	s_cbranch_vccnz .LBB257_17
; %bb.7:
	v_mov_b32_e32 v1, 0
	s_mov_b32 s2, exec_lo
	v_mov_b32_e32 v2, v1
	v_mov_b32_e32 v3, v1
	;; [unrolled: 1-line block ×15, first 2 shown]
	v_cmpx_gt_u32_e64 s21, v0
	s_cbranch_execnz .LBB257_24
; %bb.8:
	s_or_b32 exec_lo, exec_lo, s2
	s_mov_b32 s2, exec_lo
	v_cmpx_gt_u32_e64 s21, v29
	s_cbranch_execnz .LBB257_25
.LBB257_9:
	s_or_b32 exec_lo, exec_lo, s2
	s_mov_b32 s2, exec_lo
	v_cmpx_gt_u32_e64 s21, v28
	s_cbranch_execnz .LBB257_26
.LBB257_10:
	s_or_b32 exec_lo, exec_lo, s2
	s_mov_b32 s2, exec_lo
	v_cmpx_gt_u32_e64 s21, v24
	s_cbranch_execnz .LBB257_27
.LBB257_11:
	s_or_b32 exec_lo, exec_lo, s2
	s_mov_b32 s2, exec_lo
	v_cmpx_gt_u32_e64 s21, v23
	s_cbranch_execnz .LBB257_28
.LBB257_12:
	s_or_b32 exec_lo, exec_lo, s2
	s_mov_b32 s2, exec_lo
	v_cmpx_gt_u32_e64 s21, v20
	s_cbranch_execnz .LBB257_29
.LBB257_13:
	s_or_b32 exec_lo, exec_lo, s2
	s_mov_b32 s2, exec_lo
	v_cmpx_gt_u32_e64 s21, v19
	s_cbranch_execnz .LBB257_30
.LBB257_14:
	s_or_b32 exec_lo, exec_lo, s2
	s_mov_b32 s2, exec_lo
	v_cmpx_gt_u32_e64 s21, v18
	s_cbranch_execz .LBB257_16
.LBB257_15:
	v_lshlrev_b32_e32 v15, 3, v18
	v_readfirstlane_b32 s4, v25
	v_readfirstlane_b32 s5, v26
	global_load_dwordx2 v[15:16], v15, s[4:5]
.LBB257_16:
	s_or_b32 exec_lo, exec_lo, s2
	v_lshrrev_b32_e32 v17, 2, v29
	v_lshrrev_b32_e32 v28, 2, v28
	v_and_b32_e32 v27, 0x78, v27
	v_lshrrev_b32_e32 v24, 2, v24
	v_lshrrev_b32_e32 v23, 2, v23
	v_and_b32_e32 v17, 0xf8, v17
	v_and_b32_e32 v28, 0x1f8, v28
	v_add_nc_u32_e32 v27, v27, v40
	v_lshrrev_b32_e32 v20, 2, v20
	v_lshrrev_b32_e32 v19, 2, v19
	v_add_nc_u32_e32 v17, v17, v40
	v_add_nc_u32_e32 v28, v28, v40
	v_lshrrev_b32_e32 v18, 2, v18
	ds_write_b64 v27, v[1:2]
	s_waitcnt vmcnt(0)
	ds_write_b64 v17, v[3:4] offset:4096
	ds_write_b64 v28, v[5:6] offset:8192
	v_and_b32_e32 v1, 0x1f8, v24
	v_and_b32_e32 v2, 0x3f8, v23
	;; [unrolled: 1-line block ×5, first 2 shown]
	v_add_nc_u32_e32 v1, v1, v40
	v_add_nc_u32_e32 v2, v2, v40
	;; [unrolled: 1-line block ×5, first 2 shown]
	ds_write_b64 v1, v[7:8] offset:12288
	ds_write_b64 v2, v[9:10] offset:16384
	;; [unrolled: 1-line block ×5, first 2 shown]
	s_waitcnt lgkmcnt(0)
	s_barrier
.LBB257_17:
	v_lshlrev_b32_e32 v1, 1, v0
	s_waitcnt vmcnt(0)
	buffer_gl0_inv
	s_cmp_lg_u32 s15, 0
	s_cselect_b32 s22, -1, 0
	v_and_b32_e32 v1, 0x3f8, v1
	s_cmp_lg_u64 s[10:11], 0
	s_mov_b32 s10, 0
	s_cselect_b32 s2, -1, 0
	s_or_b32 s2, s2, s22
	v_lshl_add_u32 v23, v0, 6, v1
	s_and_b32 vcc_lo, exec_lo, s2
	ds_read2_b64 v[9:12], v23 offset0:2 offset1:3
	ds_read2_b64 v[5:8], v23 offset0:3 offset1:4
	ds_read2_b64 v[13:16], v23 offset1:1
	ds_read2_b64 v[17:20], v23 offset0:1 offset1:2
	ds_read2_b64 v[1:4], v23 offset0:5 offset1:6
	ds_read_b64 v[23:24], v23 offset:56
	s_waitcnt lgkmcnt(0)
	s_barrier
	buffer_gl0_inv
	s_cbranch_vccz .LBB257_22
; %bb.18:
	global_load_dwordx2 v[25:26], v[25:26], off offset:-8
	s_and_b32 vcc_lo, exec_lo, s14
	ds_write_b64 v40, v[23:24]
	s_cbranch_vccz .LBB257_31
; %bb.19:
	s_waitcnt vmcnt(0)
	v_mov_b32_e32 v28, v26
	v_mov_b32_e32 v27, v25
	s_waitcnt lgkmcnt(0)
	s_barrier
	buffer_gl0_inv
	s_and_saveexec_b32 s2, s1
; %bb.20:
	v_add_nc_u32_e32 v27, -8, v40
	ds_read_b64 v[27:28], v27
; %bb.21:
	s_or_b32 exec_lo, exec_lo, s2
	v_cmp_ne_u64_e32 vcc_lo, v[3:4], v[23:24]
	s_waitcnt lgkmcnt(0)
	v_cmp_ne_u64_e64 s2, v[27:28], v[13:14]
	v_cndmask_b32_e64 v29, 0, 1, vcc_lo
	v_cmp_ne_u64_e32 vcc_lo, v[1:2], v[3:4]
	v_lshlrev_b16 v29, 8, v29
	v_cndmask_b32_e64 v30, 0, 1, vcc_lo
	v_cmp_ne_u64_e32 vcc_lo, v[7:8], v[1:2]
	v_or_b32_sdwa v29, v30, v29 dst_sel:WORD_1 dst_unused:UNUSED_PAD src0_sel:DWORD src1_sel:DWORD
	v_cndmask_b32_e64 v31, 0, 1, vcc_lo
	v_cmp_ne_u64_e32 vcc_lo, v[9:10], v[11:12]
	v_lshlrev_b16 v31, 8, v31
	v_cndmask_b32_e64 v32, 0, 1, vcc_lo
	v_cmp_ne_u64_e32 vcc_lo, v[11:12], v[7:8]
	v_lshlrev_b16 v32, 8, v32
	v_cndmask_b32_e64 v33, 0, 1, vcc_lo
	v_cmp_ne_u64_e32 vcc_lo, v[15:16], v[9:10]
	v_or_b32_e32 v31, v33, v31
	v_cndmask_b32_e64 v34, 0, 1, vcc_lo
	v_cmp_ne_u64_e32 vcc_lo, v[13:14], v[15:16]
	v_or_b32_sdwa v29, v31, v29 dst_sel:DWORD dst_unused:UNUSED_PAD src0_sel:WORD_0 src1_sel:DWORD
	v_or_b32_sdwa v32, v34, v32 dst_sel:WORD_1 dst_unused:UNUSED_PAD src0_sel:DWORD src1_sel:DWORD
	v_cndmask_b32_e64 v35, 0, 1, vcc_lo
	v_lshlrev_b16 v34, 8, v35
	v_or_b32_sdwa v28, v34, v32 dst_sel:DWORD dst_unused:UNUSED_PAD src0_sel:WORD_0 src1_sel:DWORD
	s_branch .LBB257_35
.LBB257_22:
                                        ; implicit-def: $sgpr2
                                        ; implicit-def: $vgpr29
	s_branch .LBB257_36
.LBB257_23:
                                        ; implicit-def: $vgpr25
                                        ; implicit-def: $vgpr45
                                        ; implicit-def: $vgpr44
                                        ; implicit-def: $vgpr27
                                        ; implicit-def: $vgpr43
                                        ; implicit-def: $vgpr42
                                        ; implicit-def: $vgpr41
	s_branch .LBB257_44
.LBB257_24:
	v_readfirstlane_b32 s4, v25
	v_readfirstlane_b32 s5, v26
	v_mov_b32_e32 v17, v1
	v_mov_b32_e32 v4, v1
	;; [unrolled: 1-line block ×4, first 2 shown]
	global_load_dwordx2 v[2:3], v40, s[4:5]
	v_mov_b32_e32 v7, v1
	v_mov_b32_e32 v8, v1
	;; [unrolled: 1-line block ×10, first 2 shown]
	s_waitcnt vmcnt(0)
	v_mov_b32_e32 v1, v2
	v_mov_b32_e32 v2, v3
	;; [unrolled: 1-line block ×16, first 2 shown]
	s_or_b32 exec_lo, exec_lo, s2
	s_mov_b32 s2, exec_lo
	v_cmpx_gt_u32_e64 s21, v29
	s_cbranch_execz .LBB257_9
.LBB257_25:
	v_lshlrev_b32_e32 v3, 3, v29
	v_readfirstlane_b32 s4, v25
	v_readfirstlane_b32 s5, v26
	global_load_dwordx2 v[3:4], v3, s[4:5]
	s_or_b32 exec_lo, exec_lo, s2
	s_mov_b32 s2, exec_lo
	v_cmpx_gt_u32_e64 s21, v28
	s_cbranch_execz .LBB257_10
.LBB257_26:
	v_lshlrev_b32_e32 v5, 3, v28
	v_readfirstlane_b32 s4, v25
	v_readfirstlane_b32 s5, v26
	global_load_dwordx2 v[5:6], v5, s[4:5]
	s_or_b32 exec_lo, exec_lo, s2
	s_mov_b32 s2, exec_lo
	v_cmpx_gt_u32_e64 s21, v24
	s_cbranch_execz .LBB257_11
.LBB257_27:
	v_lshlrev_b32_e32 v7, 3, v24
	v_readfirstlane_b32 s4, v25
	v_readfirstlane_b32 s5, v26
	global_load_dwordx2 v[7:8], v7, s[4:5]
	s_or_b32 exec_lo, exec_lo, s2
	s_mov_b32 s2, exec_lo
	v_cmpx_gt_u32_e64 s21, v23
	s_cbranch_execz .LBB257_12
.LBB257_28:
	v_lshlrev_b32_e32 v9, 3, v23
	v_readfirstlane_b32 s4, v25
	v_readfirstlane_b32 s5, v26
	global_load_dwordx2 v[9:10], v9, s[4:5]
	s_or_b32 exec_lo, exec_lo, s2
	s_mov_b32 s2, exec_lo
	v_cmpx_gt_u32_e64 s21, v20
	s_cbranch_execz .LBB257_13
.LBB257_29:
	v_lshlrev_b32_e32 v11, 3, v20
	v_readfirstlane_b32 s4, v25
	v_readfirstlane_b32 s5, v26
	global_load_dwordx2 v[11:12], v11, s[4:5]
	s_or_b32 exec_lo, exec_lo, s2
	s_mov_b32 s2, exec_lo
	v_cmpx_gt_u32_e64 s21, v19
	s_cbranch_execz .LBB257_14
.LBB257_30:
	v_lshlrev_b32_e32 v13, 3, v19
	v_readfirstlane_b32 s4, v25
	v_readfirstlane_b32 s5, v26
	global_load_dwordx2 v[13:14], v13, s[4:5]
	s_or_b32 exec_lo, exec_lo, s2
	s_mov_b32 s2, exec_lo
	v_cmpx_gt_u32_e64 s21, v18
	s_cbranch_execnz .LBB257_15
	s_branch .LBB257_16
.LBB257_31:
                                        ; implicit-def: $sgpr2
                                        ; implicit-def: $vgpr29
	s_cbranch_execz .LBB257_35
; %bb.32:
	s_waitcnt vmcnt(0) lgkmcnt(0)
	s_barrier
	buffer_gl0_inv
	s_and_saveexec_b32 s2, s1
; %bb.33:
	v_add_nc_u32_e32 v25, -8, v40
	ds_read_b64 v[25:26], v25
; %bb.34:
	s_or_b32 exec_lo, exec_lo, s2
	v_or_b32_e32 v27, 7, v40
	v_or_b32_e32 v28, 6, v40
	v_cmp_ne_u64_e32 vcc_lo, v[3:4], v[23:24]
	v_or_b32_e32 v29, 5, v40
	v_cmp_ne_u64_e64 s3, v[1:2], v[3:4]
	v_cmp_gt_u32_e64 s2, s21, v27
	v_cmp_gt_u32_e64 s4, s21, v28
	v_cmp_ne_u64_e64 s5, v[7:8], v[1:2]
	v_cmp_gt_u32_e64 s6, s21, v29
	v_or_b32_e32 v29, 3, v40
	s_and_b32 s2, s2, vcc_lo
	v_or_b32_e32 v30, 4, v40
	v_cndmask_b32_e64 v27, 0, 1, s2
	s_and_b32 s2, s4, s3
	v_cmp_ne_u64_e32 vcc_lo, v[9:10], v[11:12]
	v_cndmask_b32_e64 v28, 0, 1, s2
	s_and_b32 s2, s6, s5
	v_cmp_gt_u32_e64 s3, s21, v30
	v_cndmask_b32_e64 v31, 0, 1, s2
	v_cmp_gt_u32_e64 s2, s21, v29
	v_or_b32_e32 v29, 2, v40
	v_or_b32_e32 v30, 1, v40
	v_cmp_ne_u64_e64 s4, v[11:12], v[7:8]
	v_cmp_ne_u64_e64 s6, v[13:14], v[15:16]
	s_and_b32 s2, s2, vcc_lo
	v_cmp_ne_u64_e32 vcc_lo, v[15:16], v[9:10]
	v_cndmask_b32_e64 v32, 0, 1, s2
	v_cmp_gt_u32_e64 s2, s21, v29
	v_cmp_gt_u32_e64 s5, s21, v30
	s_and_b32 s3, s3, s4
	v_lshlrev_b16 v31, 8, v31
	v_cndmask_b32_e64 v29, 0, 1, s3
	s_and_b32 s2, s2, vcc_lo
	v_lshlrev_b16 v32, 8, v32
	v_cndmask_b32_e64 v30, 0, 1, s2
	s_and_b32 s2, s5, s6
	v_lshlrev_b16 v27, 8, v27
	v_cndmask_b32_e64 v33, 0, 1, s2
	v_or_b32_e32 v29, v29, v31
	v_or_b32_sdwa v30, v30, v32 dst_sel:WORD_1 dst_unused:UNUSED_PAD src0_sel:DWORD src1_sel:DWORD
	s_waitcnt lgkmcnt(0)
	v_cmp_ne_u64_e32 vcc_lo, v[25:26], v[13:14]
	v_or_b32_sdwa v27, v28, v27 dst_sel:WORD_1 dst_unused:UNUSED_PAD src0_sel:DWORD src1_sel:DWORD
	v_lshlrev_b16 v32, 8, v33
	v_cmp_gt_u32_e64 s2, s21, v40
	v_or_b32_sdwa v29, v29, v27 dst_sel:DWORD dst_unused:UNUSED_PAD src0_sel:WORD_0 src1_sel:DWORD
	v_or_b32_sdwa v28, v32, v30 dst_sel:DWORD dst_unused:UNUSED_PAD src0_sel:WORD_0 src1_sel:DWORD
	s_and_b32 s2, s2, vcc_lo
.LBB257_35:
	s_mov_b32 s10, -1
	s_cbranch_execnz .LBB257_23
.LBB257_36:
	v_cmp_ne_u64_e64 s2, v[3:4], v[23:24]
	v_cmp_ne_u64_e64 s3, v[1:2], v[3:4]
	s_and_b32 vcc_lo, exec_lo, s14
	ds_write_b64 v40, v[23:24]
	s_cbranch_vccz .LBB257_40
; %bb.37:
	v_cmp_ne_u64_e32 vcc_lo, v[11:12], v[7:8]
	v_cndmask_b32_e64 v41, 0, 1, s2
	v_cndmask_b32_e64 v42, 0, 1, s3
	s_waitcnt vmcnt(0)
	v_mov_b32_e32 v25, 1
	s_waitcnt lgkmcnt(0)
	s_barrier
	v_cndmask_b32_e64 v26, 0, 1, vcc_lo
	v_cmp_ne_u64_e32 vcc_lo, v[7:8], v[1:2]
	buffer_gl0_inv
                                        ; implicit-def: $sgpr2
                                        ; implicit-def: $vgpr29
	v_cndmask_b32_e64 v43, 0, 1, vcc_lo
	v_cmp_ne_u64_e32 vcc_lo, v[9:10], v[11:12]
	v_cndmask_b32_e64 v27, 0, 1, vcc_lo
	v_cmp_ne_u64_e32 vcc_lo, v[15:16], v[9:10]
	v_cndmask_b32_e64 v44, 0, 1, vcc_lo
	v_cmp_ne_u64_e32 vcc_lo, v[13:14], v[15:16]
	v_cndmask_b32_e64 v45, 0, 1, vcc_lo
	s_and_saveexec_b32 s3, s1
	s_xor_b32 s3, exec_lo, s3
	s_cbranch_execz .LBB257_39
; %bb.38:
	v_add_nc_u32_e32 v28, -8, v40
	v_lshlrev_b16 v29, 8, v41
	v_lshlrev_b16 v32, 8, v27
	;; [unrolled: 1-line block ×3, first 2 shown]
	s_or_b32 s10, s10, exec_lo
	ds_read_b64 v[30:31], v28
	v_lshlrev_b16 v28, 8, v43
	v_or_b32_sdwa v29, v42, v29 dst_sel:WORD_1 dst_unused:UNUSED_PAD src0_sel:DWORD src1_sel:DWORD
	v_or_b32_sdwa v32, v44, v32 dst_sel:WORD_1 dst_unused:UNUSED_PAD src0_sel:DWORD src1_sel:DWORD
	v_or_b32_e32 v33, 1, v33
	v_or_b32_e32 v28, v26, v28
	v_or_b32_sdwa v29, v28, v29 dst_sel:DWORD dst_unused:UNUSED_PAD src0_sel:WORD_0 src1_sel:DWORD
	v_or_b32_sdwa v28, v33, v32 dst_sel:DWORD dst_unused:UNUSED_PAD src0_sel:WORD_0 src1_sel:DWORD
	s_waitcnt lgkmcnt(0)
	v_cmp_ne_u64_e64 s2, v[30:31], v[13:14]
.LBB257_39:
	s_or_b32 exec_lo, exec_lo, s3
	s_branch .LBB257_44
.LBB257_40:
                                        ; implicit-def: $sgpr2
                                        ; implicit-def: $vgpr29
                                        ; implicit-def: $vgpr25
                                        ; implicit-def: $vgpr45
                                        ; implicit-def: $vgpr44
                                        ; implicit-def: $vgpr27
                                        ; implicit-def: $vgpr43
                                        ; implicit-def: $vgpr42
                                        ; implicit-def: $vgpr41
	s_cbranch_execz .LBB257_44
; %bb.41:
	s_waitcnt vmcnt(0)
	v_or_b32_e32 v25, 4, v40
	v_cmp_ne_u64_e64 s2, v[11:12], v[7:8]
	v_or_b32_e32 v26, 7, v40
	v_or_b32_e32 v28, 2, v40
	v_cmp_ne_u64_e64 s4, v[9:10], v[5:6]
	v_cmp_gt_u32_e64 s3, s21, v25
	v_or_b32_e32 v25, 3, v40
	v_cmp_gt_u32_e64 s5, s21, v26
	v_cmp_ne_u64_e64 s6, v[15:16], v[19:20]
	v_cmp_gt_u32_e64 s7, s21, v28
	s_and_b32 s2, s3, s2
	v_or_b32_e32 v6, 1, v40
	v_cndmask_b32_e64 v26, 0, 1, s2
	v_cmp_gt_u32_e64 s2, s21, v25
	v_or_b32_e32 v27, 6, v40
	v_or_b32_e32 v25, 5, v40
	v_cmp_ne_u64_e32 vcc_lo, v[3:4], v[23:24]
	v_lshlrev_b16 v5, 8, v26
	s_and_b32 s2, s2, s4
	s_and_b32 s4, s7, s6
	v_cndmask_b32_e64 v20, 0, 1, s2
	v_cndmask_b32_e64 v19, 0, 1, s4
	v_cmp_ne_u64_e64 s4, v[13:14], v[17:18]
	v_cmp_gt_u32_e64 s6, s21, v6
	v_cmp_gt_u32_e64 s3, s21, v27
	v_or_b32_e32 v27, v20, v5
	v_cmp_ne_u64_e64 s7, v[7:8], v[1:2]
	v_cmp_gt_u32_e64 s8, s21, v25
	v_cmp_ne_u64_e64 s2, v[1:2], v[3:4]
	s_and_b32 s4, s6, s4
	v_lshlrev_b16 v5, 8, v19
	v_lshlrev_b32_e32 v6, 16, v27
	v_cndmask_b32_e64 v18, 0, 1, s4
	s_and_b32 s4, s8, s7
	s_and_b32 s2, s3, s2
	v_cndmask_b32_e64 v43, 0, 1, s4
	s_and_b32 s4, s5, vcc_lo
	v_or_b32_sdwa v17, v5, v6 dst_sel:DWORD dst_unused:UNUSED_PAD src0_sel:WORD_0 src1_sel:DWORD
	v_mov_b32_e32 v25, 1
	v_cndmask_b32_e64 v41, 0, 1, s4
	v_cndmask_b32_e64 v42, 0, 1, s2
	s_waitcnt lgkmcnt(0)
	s_barrier
	buffer_gl0_inv
                                        ; implicit-def: $sgpr2
                                        ; implicit-def: $vgpr29
	s_and_saveexec_b32 s3, s1
	s_cbranch_execz .LBB257_43
; %bb.42:
	v_add_nc_u32_e32 v28, -8, v40
	v_lshlrev_b16 v20, 8, v20
	v_lshlrev_b16 v30, 8, v18
	;; [unrolled: 1-line block ×4, first 2 shown]
	ds_read_b64 v[28:29], v28
	v_or_b32_sdwa v19, v19, v20 dst_sel:WORD_1 dst_unused:UNUSED_PAD src0_sel:DWORD src1_sel:DWORD
	v_or_b32_e32 v20, 1, v30
	v_or_b32_e32 v26, v26, v31
	v_or_b32_sdwa v30, v42, v32 dst_sel:WORD_1 dst_unused:UNUSED_PAD src0_sel:DWORD src1_sel:DWORD
	v_cmp_gt_u32_e64 s1, s21, v40
	s_or_b32 s10, s10, exec_lo
	s_waitcnt lgkmcnt(0)
	v_cmp_ne_u64_e32 vcc_lo, v[28:29], v[13:14]
	v_or_b32_sdwa v28, v20, v19 dst_sel:DWORD dst_unused:UNUSED_PAD src0_sel:WORD_0 src1_sel:DWORD
	v_or_b32_sdwa v29, v26, v30 dst_sel:DWORD dst_unused:UNUSED_PAD src0_sel:WORD_0 src1_sel:DWORD
	s_and_b32 s2, s1, vcc_lo
.LBB257_43:
	s_or_b32 exec_lo, exec_lo, s3
	v_or_b32_e32 v45, v18, v5
	v_lshrrev_b32_e32 v26, 24, v6
	v_lshrrev_b32_e32 v44, 8, v17
.LBB257_44:
	s_and_saveexec_b32 s1, s10
	s_cbranch_execz .LBB257_46
; %bb.45:
	v_lshrrev_b32_e32 v44, 16, v28
	v_lshrrev_b32_e32 v45, 8, v28
	v_lshrrev_b64 v[27:28], 24, v[28:29]
	v_lshrrev_b32_e32 v43, 8, v29
	v_lshrrev_b32_e32 v42, 16, v29
	;; [unrolled: 1-line block ×3, first 2 shown]
	s_waitcnt vmcnt(0)
	v_cndmask_b32_e64 v25, 0, 1, s2
	v_mov_b32_e32 v26, v29
.LBB257_46:
	s_or_b32 exec_lo, exec_lo, s1
	s_andn2_b32 vcc_lo, exec_lo, s20
	s_cbranch_vccnz .LBB257_50
; %bb.47:
	v_perm_b32 v5, v44, v27, 0xc0c0004
	s_waitcnt vmcnt(0)
	v_perm_b32 v6, v25, v45, 0xc0c0004
	v_cmp_gt_u32_e32 vcc_lo, s21, v40
	v_or_b32_e32 v17, 1, v40
	v_or_b32_e32 v18, 2, v40
	v_lshlrev_b32_e32 v5, 16, v5
	v_perm_b32 v19, v42, v41, 0xc0c0004
	v_or_b32_e32 v6, v6, v5
	v_cndmask_b32_e32 v5, v5, v6, vcc_lo
	v_cmp_gt_u32_e32 vcc_lo, s21, v17
	v_and_b32_e32 v5, 0xffff00ff, v5
	v_cndmask_b32_e32 v5, v5, v6, vcc_lo
	v_cmp_gt_u32_e32 vcc_lo, s21, v18
	v_or_b32_e32 v18, 3, v40
	v_lshrrev_b32_e32 v17, 24, v5
	v_perm_b32 v5, v17, v5, 0x40c0100
	v_perm_b32 v17, v26, v43, 0xc0c0004
	v_cndmask_b32_e32 v5, v5, v6, vcc_lo
	v_lshl_or_b32 v17, v19, 16, v17
	v_or_b32_e32 v19, 4, v40
	v_cmp_gt_u32_e32 vcc_lo, s21, v18
	v_and_b32_e32 v5, 0xffffff, v5
	v_and_b32_e32 v20, 0xffffff00, v17
	v_cndmask_b32_e32 v5, v5, v6, vcc_lo
	v_cmp_gt_u32_e32 vcc_lo, s21, v19
	v_or_b32_e32 v19, 5, v40
	v_cndmask_b32_e32 v18, v20, v17, vcc_lo
	v_cndmask_b32_e32 v5, v5, v6, vcc_lo
	v_cmp_gt_u32_e32 vcc_lo, s21, v19
	v_or_b32_e32 v20, 6, v40
	v_and_b32_e32 v18, 0xffff00ff, v18
	v_cmp_gt_u32_e64 s1, s21, v20
	v_cndmask_b32_e32 v18, v18, v17, vcc_lo
	s_or_b32 vcc_lo, s1, vcc_lo
	v_lshrrev_b32_e32 v19, 24, v18
	v_cndmask_b32_e32 v25, v5, v6, vcc_lo
	v_or_b32_e32 v5, 7, v40
	v_perm_b32 v18, v19, v18, 0x40c0100
	v_lshrrev_b32_e32 v44, 16, v25
	v_lshrrev_b32_e32 v45, 8, v25
	v_cndmask_b32_e64 v26, v18, v17, s1
	s_mov_b32 s1, exec_lo
	v_lshrrev_b64 v[27:28], 24, v[25:26]
	v_lshrrev_b32_e32 v41, 24, v26
	v_lshrrev_b32_e32 v42, 16, v26
	;; [unrolled: 1-line block ×3, first 2 shown]
	v_cmpx_le_u32_e64 s21, v5
; %bb.48:
	v_mov_b32_e32 v41, 0
; %bb.49:
	s_or_b32 exec_lo, exec_lo, s1
.LBB257_50:
	v_and_b32_e32 v33, 0xff, v44
	v_and_b32_e32 v35, 0xff, v27
	s_waitcnt vmcnt(0)
	v_add_nc_u32_sdwa v5, v45, v25 dst_sel:DWORD dst_unused:UNUSED_PAD src0_sel:BYTE_0 src1_sel:BYTE_0
	v_and_b32_e32 v37, 0xff, v26
	v_and_b32_e32 v39, 0xff, v43
	v_mbcnt_lo_u32_b32 v47, -1, 0
	v_and_b32_e32 v46, 0xff, v42
	v_add3_u32 v5, v5, v33, v35
	v_and_b32_e32 v6, 0xff, v41
	v_lshrrev_b32_e32 v48, 5, v0
	v_and_b32_e32 v17, 15, v47
	s_and_b32 vcc_lo, exec_lo, s22
	v_add3_u32 v5, v5, v37, v39
	s_mov_b32 s7, -1
	s_waitcnt lgkmcnt(0)
	v_cmp_eq_u32_e64 s1, 0, v17
	v_cmp_lt_u32_e64 s3, 1, v17
	v_add3_u32 v49, v5, v46, v6
	v_and_b32_e32 v5, 16, v47
	v_or_b32_e32 v6, 31, v0
	v_cmp_lt_u32_e64 s4, 3, v17
	v_cmp_lt_u32_e64 s2, 7, v17
	s_barrier
	v_cmp_eq_u32_e64 s6, 0, v5
	v_cmp_eq_u32_e64 s5, v0, v6
	buffer_gl0_inv
                                        ; implicit-def: $vgpr17
                                        ; implicit-def: $vgpr19
                                        ; implicit-def: $vgpr28
                                        ; implicit-def: $vgpr30
                                        ; implicit-def: $vgpr32
                                        ; implicit-def: $vgpr34
                                        ; implicit-def: $vgpr36
                                        ; implicit-def: $vgpr38
                                        ; implicit-def: $vgpr6
	s_cbranch_vccz .LBB257_77
; %bb.51:
	v_mov_b32_dpp v5, v49 row_shr:1 row_mask:0xf bank_mask:0xf
	v_cndmask_b32_e64 v5, v5, 0, s1
	v_add_nc_u32_e32 v5, v5, v49
	v_mov_b32_dpp v6, v5 row_shr:2 row_mask:0xf bank_mask:0xf
	v_cndmask_b32_e64 v6, 0, v6, s3
	v_add_nc_u32_e32 v5, v5, v6
	v_mov_b32_dpp v6, v5 row_shr:4 row_mask:0xf bank_mask:0xf
	v_cndmask_b32_e64 v6, 0, v6, s4
	v_add_nc_u32_e32 v5, v5, v6
	v_mov_b32_dpp v6, v5 row_shr:8 row_mask:0xf bank_mask:0xf
	v_cndmask_b32_e64 v6, 0, v6, s2
	v_add_nc_u32_e32 v5, v5, v6
	ds_swizzle_b32 v6, v5 offset:swizzle(BROADCAST,32,15)
	s_waitcnt lgkmcnt(0)
	v_cndmask_b32_e64 v6, v6, 0, s6
	v_add_nc_u32_e32 v5, v5, v6
	s_and_saveexec_b32 s7, s5
; %bb.52:
	v_lshlrev_b32_e32 v6, 2, v48
	ds_write_b32 v6, v5
; %bb.53:
	s_or_b32 exec_lo, exec_lo, s7
	s_mov_b32 s7, exec_lo
	s_waitcnt lgkmcnt(0)
	s_barrier
	buffer_gl0_inv
	v_cmpx_gt_u32_e32 16, v0
	s_cbranch_execz .LBB257_55
; %bb.54:
	v_lshlrev_b32_e32 v6, 2, v0
	ds_read_b32 v17, v6
	s_waitcnt lgkmcnt(0)
	v_mov_b32_dpp v18, v17 row_shr:1 row_mask:0xf bank_mask:0xf
	v_cndmask_b32_e64 v18, v18, 0, s1
	v_add_nc_u32_e32 v17, v18, v17
	v_mov_b32_dpp v18, v17 row_shr:2 row_mask:0xf bank_mask:0xf
	v_cndmask_b32_e64 v18, 0, v18, s3
	v_add_nc_u32_e32 v17, v17, v18
	;; [unrolled: 3-line block ×4, first 2 shown]
	ds_write_b32 v6, v17
.LBB257_55:
	s_or_b32 exec_lo, exec_lo, s7
	s_mov_b32 s8, exec_lo
	v_cmp_gt_u32_e32 vcc_lo, 32, v0
	s_waitcnt lgkmcnt(0)
	s_barrier
	buffer_gl0_inv
                                        ; implicit-def: $vgpr32
	v_cmpx_lt_u32_e32 31, v0
	s_cbranch_execz .LBB257_57
; %bb.56:
	v_lshl_add_u32 v6, v48, 2, -4
	ds_read_b32 v32, v6
	s_waitcnt lgkmcnt(0)
	v_add_nc_u32_e32 v5, v32, v5
.LBB257_57:
	s_or_b32 exec_lo, exec_lo, s8
	v_sub_co_u32 v6, s7, v47, 1
	v_cmp_gt_i32_e64 s8, 0, v6
	v_cndmask_b32_e64 v6, v6, v47, s8
	v_lshlrev_b32_e32 v6, 2, v6
	ds_bpermute_b32 v34, v6, v5
	s_and_saveexec_b32 s8, vcc_lo
	s_cbranch_execz .LBB257_76
; %bb.58:
	v_mov_b32_e32 v29, 0
	ds_read_b32 v5, v29 offset:60
	s_and_saveexec_b32 s10, s7
	s_cbranch_execz .LBB257_60
; %bb.59:
	s_add_i32 s20, s15, 32
	s_mov_b32 s21, 0
	v_mov_b32_e32 v6, 1
	s_lshl_b64 s[20:21], s[20:21], 3
	s_add_u32 s20, s18, s20
	s_addc_u32 s21, s19, s21
	s_waitcnt lgkmcnt(0)
	global_store_dwordx2 v29, v[5:6], s[20:21]
.LBB257_60:
	s_or_b32 exec_lo, exec_lo, s10
	v_xad_u32 v17, v47, -1, s15
	s_mov_b32 s11, 0
	v_add_nc_u32_e32 v28, 32, v17
	v_lshlrev_b64 v[18:19], 3, v[28:29]
	v_add_co_u32 v30, vcc_lo, s18, v18
	v_add_co_ci_u32_e64 v31, null, s19, v19, vcc_lo
	global_load_dwordx2 v[19:20], v[30:31], off glc dlc
	s_waitcnt vmcnt(0)
	v_cmp_eq_u16_sdwa s20, v20, v29 src0_sel:BYTE_0 src1_sel:DWORD
	s_and_saveexec_b32 s10, s20
	s_cbranch_execz .LBB257_64
; %bb.61:
	v_mov_b32_e32 v6, 0
.LBB257_62:                             ; =>This Inner Loop Header: Depth=1
	global_load_dwordx2 v[19:20], v[30:31], off glc dlc
	s_waitcnt vmcnt(0)
	v_cmp_ne_u16_sdwa s20, v20, v6 src0_sel:BYTE_0 src1_sel:DWORD
	s_or_b32 s11, s20, s11
	s_andn2_b32 exec_lo, exec_lo, s11
	s_cbranch_execnz .LBB257_62
; %bb.63:
	s_or_b32 exec_lo, exec_lo, s11
.LBB257_64:
	s_or_b32 exec_lo, exec_lo, s10
	v_cmp_ne_u32_e32 vcc_lo, 31, v47
	v_mov_b32_e32 v31, 2
	v_lshlrev_b32_e64 v36, v47, -1
	v_add_nc_u32_e32 v50, 2, v47
	v_add_nc_u32_e32 v52, 4, v47
	v_add_co_ci_u32_e64 v6, null, 0, v47, vcc_lo
	v_cmp_eq_u16_sdwa s10, v20, v31 src0_sel:BYTE_0 src1_sel:DWORD
	v_cmp_gt_u32_e32 vcc_lo, 30, v47
	v_add_nc_u32_e32 v54, 8, v47
	v_lshlrev_b32_e32 v30, 2, v6
	v_lshl_or_b32 v55, v47, 2, 64
	v_and_or_b32 v18, s10, v36, 0x80000000
	v_cndmask_b32_e64 v28, 0, 2, vcc_lo
	v_add_nc_u32_e32 v56, 16, v47
	ds_bpermute_b32 v6, v30, v19
	v_ffbl_b32_e32 v18, v18
	v_add_lshl_u32 v38, v28, v47, 2
	v_cmp_lt_u32_e32 vcc_lo, v47, v18
	s_waitcnt lgkmcnt(0)
	v_cndmask_b32_e32 v6, 0, v6, vcc_lo
	v_cmp_gt_u32_e32 vcc_lo, 28, v47
	v_add_nc_u32_e32 v6, v6, v19
	v_cndmask_b32_e64 v28, 0, 4, vcc_lo
	v_cmp_le_u32_e32 vcc_lo, v50, v18
	ds_bpermute_b32 v19, v38, v6
	v_add_lshl_u32 v51, v28, v47, 2
	s_waitcnt lgkmcnt(0)
	v_cndmask_b32_e32 v19, 0, v19, vcc_lo
	v_cmp_gt_u32_e32 vcc_lo, 24, v47
	v_add_nc_u32_e32 v6, v6, v19
	v_cndmask_b32_e64 v28, 0, 8, vcc_lo
	v_cmp_le_u32_e32 vcc_lo, v52, v18
	ds_bpermute_b32 v19, v51, v6
	v_add_lshl_u32 v53, v28, v47, 2
	s_waitcnt lgkmcnt(0)
	v_cndmask_b32_e32 v19, 0, v19, vcc_lo
	v_cmp_le_u32_e32 vcc_lo, v54, v18
	v_add_nc_u32_e32 v6, v6, v19
	ds_bpermute_b32 v19, v53, v6
	s_waitcnt lgkmcnt(0)
	v_cndmask_b32_e32 v19, 0, v19, vcc_lo
	v_cmp_le_u32_e32 vcc_lo, v56, v18
	v_add_nc_u32_e32 v6, v6, v19
	ds_bpermute_b32 v19, v55, v6
	s_waitcnt lgkmcnt(0)
	v_cndmask_b32_e32 v18, 0, v19, vcc_lo
	v_add_nc_u32_e32 v19, v6, v18
	v_mov_b32_e32 v18, 0
	s_branch .LBB257_67
.LBB257_65:                             ;   in Loop: Header=BB257_67 Depth=1
	s_or_b32 exec_lo, exec_lo, s10
	ds_bpermute_b32 v28, v30, v19
	v_cmp_eq_u16_sdwa s10, v20, v31 src0_sel:BYTE_0 src1_sel:DWORD
	v_subrev_nc_u32_e32 v17, 32, v17
	v_and_or_b32 v29, s10, v36, 0x80000000
	s_mov_b32 s10, 0
	v_ffbl_b32_e32 v29, v29
	v_cmp_lt_u32_e32 vcc_lo, v47, v29
	s_waitcnt lgkmcnt(0)
	v_cndmask_b32_e32 v28, 0, v28, vcc_lo
	v_cmp_le_u32_e32 vcc_lo, v50, v29
	v_add_nc_u32_e32 v19, v28, v19
	ds_bpermute_b32 v28, v38, v19
	s_waitcnt lgkmcnt(0)
	v_cndmask_b32_e32 v28, 0, v28, vcc_lo
	v_cmp_le_u32_e32 vcc_lo, v52, v29
	v_add_nc_u32_e32 v19, v19, v28
	ds_bpermute_b32 v28, v51, v19
	;; [unrolled: 5-line block ×4, first 2 shown]
	s_waitcnt lgkmcnt(0)
	v_cndmask_b32_e32 v28, 0, v28, vcc_lo
	v_add3_u32 v19, v28, v6, v19
.LBB257_66:                             ;   in Loop: Header=BB257_67 Depth=1
	s_and_b32 vcc_lo, exec_lo, s10
	s_cbranch_vccnz .LBB257_72
.LBB257_67:                             ; =>This Loop Header: Depth=1
                                        ;     Child Loop BB257_70 Depth 2
	v_cmp_ne_u16_sdwa s10, v20, v31 src0_sel:BYTE_0 src1_sel:DWORD
	v_mov_b32_e32 v6, v19
                                        ; implicit-def: $vgpr19
                                        ; implicit-def: $vgpr20
	s_cmp_lg_u32 s10, exec_lo
	s_mov_b32 s10, -1
	s_cbranch_scc1 .LBB257_66
; %bb.68:                               ;   in Loop: Header=BB257_67 Depth=1
	v_lshlrev_b64 v[19:20], 3, v[17:18]
	v_add_co_u32 v28, vcc_lo, s18, v19
	v_add_co_ci_u32_e64 v29, null, s19, v20, vcc_lo
	global_load_dwordx2 v[19:20], v[28:29], off glc dlc
	s_waitcnt vmcnt(0)
	v_cmp_eq_u16_sdwa s11, v20, v18 src0_sel:BYTE_0 src1_sel:DWORD
	s_and_saveexec_b32 s10, s11
	s_cbranch_execz .LBB257_65
; %bb.69:                               ;   in Loop: Header=BB257_67 Depth=1
	s_mov_b32 s11, 0
.LBB257_70:                             ;   Parent Loop BB257_67 Depth=1
                                        ; =>  This Inner Loop Header: Depth=2
	global_load_dwordx2 v[19:20], v[28:29], off glc dlc
	s_waitcnt vmcnt(0)
	v_cmp_ne_u16_sdwa s20, v20, v18 src0_sel:BYTE_0 src1_sel:DWORD
	s_or_b32 s11, s20, s11
	s_andn2_b32 exec_lo, exec_lo, s11
	s_cbranch_execnz .LBB257_70
; %bb.71:                               ;   in Loop: Header=BB257_67 Depth=1
	s_or_b32 exec_lo, exec_lo, s11
	s_branch .LBB257_65
.LBB257_72:
	s_and_saveexec_b32 s10, s7
	s_cbranch_execz .LBB257_74
; %bb.73:
	s_add_i32 s20, s15, 32
	s_mov_b32 s21, 0
	v_add_nc_u32_e32 v17, v6, v5
	v_mov_b32_e32 v18, 2
	s_lshl_b64 s[20:21], s[20:21], 3
	v_mov_b32_e32 v19, 0
	s_add_u32 s20, s18, s20
	s_addc_u32 s21, s19, s21
	global_store_dwordx2 v19, v[17:18], s[20:21]
	ds_write_b64 v19, v[5:6] offset:33792
.LBB257_74:
	s_or_b32 exec_lo, exec_lo, s10
	s_and_b32 exec_lo, exec_lo, s0
; %bb.75:
	v_mov_b32_e32 v5, 0
	ds_write_b32 v5, v6 offset:60
.LBB257_76:
	s_or_b32 exec_lo, exec_lo, s8
	v_mov_b32_e32 v5, 0
	s_waitcnt lgkmcnt(0)
	s_waitcnt_vscnt null, 0x0
	s_barrier
	buffer_gl0_inv
	v_cndmask_b32_e64 v17, v34, v32, s7
	ds_read_b32 v6, v5 offset:60
	s_waitcnt lgkmcnt(0)
	s_barrier
	buffer_gl0_inv
	v_cndmask_b32_e64 v17, v17, 0, s0
	s_mov_b32 s7, 0
	v_add_nc_u32_e32 v38, v6, v17
	ds_read_b64 v[5:6], v5 offset:33792
	v_add_nc_u32_sdwa v36, v38, v25 dst_sel:DWORD dst_unused:UNUSED_PAD src0_sel:DWORD src1_sel:BYTE_0
	v_add_nc_u32_sdwa v34, v36, v45 dst_sel:DWORD dst_unused:UNUSED_PAD src0_sel:DWORD src1_sel:BYTE_0
	v_add_nc_u32_e32 v32, v34, v33
	v_add_nc_u32_e32 v30, v32, v35
	;; [unrolled: 1-line block ×5, first 2 shown]
.LBB257_77:
	s_and_b32 vcc_lo, exec_lo, s7
	s_cbranch_vccz .LBB257_87
; %bb.78:
	s_waitcnt lgkmcnt(0)
	v_mov_b32_dpp v5, v49 row_shr:1 row_mask:0xf bank_mask:0xf
	v_cndmask_b32_e64 v5, v5, 0, s1
	v_add_nc_u32_e32 v5, v5, v49
	v_mov_b32_dpp v6, v5 row_shr:2 row_mask:0xf bank_mask:0xf
	v_cndmask_b32_e64 v6, 0, v6, s3
	v_add_nc_u32_e32 v5, v5, v6
	;; [unrolled: 3-line block ×4, first 2 shown]
	ds_swizzle_b32 v6, v5 offset:swizzle(BROADCAST,32,15)
	s_waitcnt lgkmcnt(0)
	v_cndmask_b32_e64 v6, v6, 0, s6
	v_add_nc_u32_e32 v5, v5, v6
	s_and_saveexec_b32 s6, s5
; %bb.79:
	v_lshlrev_b32_e32 v6, 2, v48
	ds_write_b32 v6, v5
; %bb.80:
	s_or_b32 exec_lo, exec_lo, s6
	s_mov_b32 s5, exec_lo
	s_waitcnt lgkmcnt(0)
	s_barrier
	buffer_gl0_inv
	v_cmpx_gt_u32_e32 16, v0
	s_cbranch_execz .LBB257_82
; %bb.81:
	v_lshlrev_b32_e32 v6, 2, v0
	ds_read_b32 v17, v6
	s_waitcnt lgkmcnt(0)
	v_mov_b32_dpp v18, v17 row_shr:1 row_mask:0xf bank_mask:0xf
	v_cndmask_b32_e64 v18, v18, 0, s1
	v_add_nc_u32_e32 v17, v18, v17
	v_mov_b32_dpp v18, v17 row_shr:2 row_mask:0xf bank_mask:0xf
	v_cndmask_b32_e64 v18, 0, v18, s3
	v_add_nc_u32_e32 v17, v17, v18
	;; [unrolled: 3-line block ×4, first 2 shown]
	ds_write_b32 v6, v17
.LBB257_82:
	s_or_b32 exec_lo, exec_lo, s5
	v_mov_b32_e32 v6, 0
	v_mov_b32_e32 v17, 0
	s_mov_b32 s1, exec_lo
	s_waitcnt lgkmcnt(0)
	s_barrier
	buffer_gl0_inv
	v_cmpx_lt_u32_e32 31, v0
; %bb.83:
	v_lshl_add_u32 v17, v48, 2, -4
	ds_read_b32 v17, v17
; %bb.84:
	s_or_b32 exec_lo, exec_lo, s1
	v_sub_co_u32 v18, vcc_lo, v47, 1
	s_waitcnt lgkmcnt(0)
	v_add_nc_u32_e32 v5, v17, v5
	v_cmp_gt_i32_e64 s1, 0, v18
	v_cndmask_b32_e64 v18, v18, v47, s1
	v_lshlrev_b32_e32 v18, 2, v18
	ds_bpermute_b32 v18, v18, v5
	ds_read_b32 v5, v6 offset:60
	s_and_saveexec_b32 s1, s0
	s_cbranch_execz .LBB257_86
; %bb.85:
	v_mov_b32_e32 v19, 0
	v_mov_b32_e32 v6, 2
	s_waitcnt lgkmcnt(0)
	global_store_dwordx2 v19, v[5:6], s[18:19] offset:256
.LBB257_86:
	s_or_b32 exec_lo, exec_lo, s1
	s_waitcnt lgkmcnt(1)
	v_cndmask_b32_e32 v6, v18, v17, vcc_lo
	s_waitcnt lgkmcnt(0)
	s_waitcnt_vscnt null, 0x0
	s_barrier
	buffer_gl0_inv
	v_cndmask_b32_e64 v38, v6, 0, s0
	v_mov_b32_e32 v6, 0
	v_add_nc_u32_sdwa v36, v38, v25 dst_sel:DWORD dst_unused:UNUSED_PAD src0_sel:DWORD src1_sel:BYTE_0
	v_add_nc_u32_sdwa v34, v36, v45 dst_sel:DWORD dst_unused:UNUSED_PAD src0_sel:DWORD src1_sel:BYTE_0
	v_add_nc_u32_e32 v32, v34, v33
	v_add_nc_u32_e32 v30, v32, v35
	;; [unrolled: 1-line block ×5, first 2 shown]
.LBB257_87:
	v_and_b32_e32 v25, 1, v25
	s_waitcnt lgkmcnt(0)
	v_cmp_gt_u32_e32 vcc_lo, 0x201, v5
	s_mov_b32 s2, -1
	v_cmp_eq_u32_e64 s1, 1, v25
	s_cbranch_vccnz .LBB257_91
; %bb.88:
	s_and_b32 vcc_lo, exec_lo, s2
	s_cbranch_vccnz .LBB257_108
.LBB257_89:
	s_and_b32 s0, s0, s9
	s_and_saveexec_b32 s1, s0
	s_cbranch_execnz .LBB257_128
.LBB257_90:
	s_endpgm
.LBB257_91:
	v_add_nc_u32_e32 v18, v6, v5
	v_lshlrev_b64 v[46:47], 3, v[21:22]
	v_cmp_lt_u32_e32 vcc_lo, v38, v18
	v_add_co_u32 v46, s2, s16, v46
	v_add_co_ci_u32_e64 v47, null, s17, v47, s2
	s_or_b32 s2, s14, vcc_lo
	s_and_b32 s2, s2, s1
	s_and_saveexec_b32 s1, s2
	s_cbranch_execz .LBB257_93
; %bb.92:
	v_mov_b32_e32 v39, 0
	v_lshlrev_b64 v[48:49], 3, v[38:39]
	v_add_co_u32 v48, vcc_lo, v46, v48
	v_add_co_ci_u32_e64 v49, null, v47, v49, vcc_lo
	global_store_dwordx2 v[48:49], v[13:14], off
.LBB257_93:
	s_or_b32 exec_lo, exec_lo, s1
	v_and_b32_e32 v20, 1, v45
	v_cmp_lt_u32_e32 vcc_lo, v36, v18
	v_cmp_eq_u32_e64 s1, 1, v20
	s_or_b32 s2, s14, vcc_lo
	s_and_b32 s2, s2, s1
	s_and_saveexec_b32 s1, s2
	s_cbranch_execz .LBB257_95
; %bb.94:
	v_mov_b32_e32 v37, 0
	v_lshlrev_b64 v[48:49], 3, v[36:37]
	v_add_co_u32 v48, vcc_lo, v46, v48
	v_add_co_ci_u32_e64 v49, null, v47, v49, vcc_lo
	global_store_dwordx2 v[48:49], v[15:16], off
.LBB257_95:
	s_or_b32 exec_lo, exec_lo, s1
	v_and_b32_e32 v20, 1, v44
	v_cmp_lt_u32_e32 vcc_lo, v34, v18
	v_cmp_eq_u32_e64 s1, 1, v20
	;; [unrolled: 15-line block ×7, first 2 shown]
	s_or_b32 s2, s14, vcc_lo
	s_and_b32 s2, s2, s1
	s_and_saveexec_b32 s1, s2
	s_cbranch_execz .LBB257_107
; %bb.106:
	v_mov_b32_e32 v18, 0
	v_lshlrev_b64 v[48:49], 3, v[17:18]
	v_add_co_u32 v46, vcc_lo, v46, v48
	v_add_co_ci_u32_e64 v47, null, v47, v49, vcc_lo
	global_store_dwordx2 v[46:47], v[23:24], off
.LBB257_107:
	s_or_b32 exec_lo, exec_lo, s1
	s_branch .LBB257_89
.LBB257_108:
	s_mov_b32 s1, exec_lo
	v_cmpx_eq_u32_e32 1, v25
; %bb.109:
	v_sub_nc_u32_e32 v18, v38, v6
	v_lshlrev_b32_e32 v18, 3, v18
	ds_write_b64 v18, v[13:14]
; %bb.110:
	s_or_b32 exec_lo, exec_lo, s1
	v_and_b32_e32 v13, 1, v45
	s_mov_b32 s1, exec_lo
	v_cmpx_eq_u32_e32 1, v13
; %bb.111:
	v_sub_nc_u32_e32 v13, v36, v6
	v_lshlrev_b32_e32 v13, 3, v13
	ds_write_b64 v13, v[15:16]
; %bb.112:
	s_or_b32 exec_lo, exec_lo, s1
	v_and_b32_e32 v13, 1, v44
	;; [unrolled: 9-line block ×7, first 2 shown]
	s_mov_b32 s1, exec_lo
	v_cmpx_eq_u32_e32 1, v1
; %bb.123:
	v_sub_nc_u32_e32 v1, v17, v6
	v_lshlrev_b32_e32 v1, 3, v1
	ds_write_b64 v1, v[23:24]
; %bb.124:
	s_or_b32 exec_lo, exec_lo, s1
	s_mov_b32 s2, exec_lo
	s_waitcnt lgkmcnt(0)
	s_waitcnt_vscnt null, 0x0
	s_barrier
	buffer_gl0_inv
	v_cmpx_lt_u32_e64 v0, v5
	s_cbranch_execz .LBB257_127
; %bb.125:
	v_mov_b32_e32 v2, 0
	v_mov_b32_e32 v1, v6
	v_lshlrev_b64 v[3:4], 3, v[21:22]
	s_mov_b32 s3, 0
	v_lshlrev_b64 v[1:2], 3, v[1:2]
	v_add_co_u32 v1, vcc_lo, v3, v1
	v_add_co_ci_u32_e64 v2, null, v4, v2, vcc_lo
	v_add_co_u32 v1, vcc_lo, s16, v1
	v_add_co_ci_u32_e64 v2, null, s17, v2, vcc_lo
	;; [unrolled: 2-line block ×3, first 2 shown]
	.p2align	6
.LBB257_126:                            ; =>This Inner Loop Header: Depth=1
	ds_read_b64 v[3:4], v40
	v_add_nc_u32_e32 v0, 0x200, v0
	v_add_nc_u32_e32 v40, 0x1000, v40
	v_cmp_ge_u32_e32 vcc_lo, v0, v5
	s_or_b32 s3, vcc_lo, s3
	s_waitcnt lgkmcnt(0)
	global_store_dwordx2 v[1:2], v[3:4], off
	v_add_co_u32 v1, s1, 0x1000, v1
	v_add_co_ci_u32_e64 v2, null, 0, v2, s1
	s_andn2_b32 exec_lo, exec_lo, s3
	s_cbranch_execnz .LBB257_126
.LBB257_127:
	s_or_b32 exec_lo, exec_lo, s2
	s_and_b32 s0, s0, s9
	s_and_saveexec_b32 s1, s0
	s_cbranch_execz .LBB257_90
.LBB257_128:
	v_add_co_u32 v0, vcc_lo, v21, v5
	v_add_co_ci_u32_e64 v1, null, 0, v22, vcc_lo
	v_mov_b32_e32 v2, 0
	v_add_co_u32 v0, vcc_lo, v0, v6
	v_add_co_ci_u32_e64 v1, null, 0, v1, vcc_lo
	global_store_dwordx2 v2, v[0:1], s[12:13]
	s_endpgm
	.section	.rodata,"a",@progbits
	.p2align	6, 0x0
	.amdhsa_kernel _ZN7rocprim17ROCPRIM_400000_NS6detail17trampoline_kernelINS0_14default_configENS1_25partition_config_selectorILNS1_17partition_subalgoE8ElNS0_10empty_typeEbEEZZNS1_14partition_implILS5_8ELb0ES3_jPKlPS6_PKS6_NS0_5tupleIJPlS6_EEENSE_IJSB_SB_EEENS0_18inequality_wrapperIN6hipcub16HIPCUB_304000_NS8EqualityEEESF_JS6_EEE10hipError_tPvRmT3_T4_T5_T6_T7_T9_mT8_P12ihipStream_tbDpT10_ENKUlT_T0_E_clISt17integral_constantIbLb0EES15_IbLb1EEEEDaS11_S12_EUlS11_E_NS1_11comp_targetILNS1_3genE8ELNS1_11target_archE1030ELNS1_3gpuE2ELNS1_3repE0EEENS1_30default_config_static_selectorELNS0_4arch9wavefront6targetE0EEEvT1_
		.amdhsa_group_segment_fixed_size 33800
		.amdhsa_private_segment_fixed_size 0
		.amdhsa_kernarg_size 128
		.amdhsa_user_sgpr_count 6
		.amdhsa_user_sgpr_private_segment_buffer 1
		.amdhsa_user_sgpr_dispatch_ptr 0
		.amdhsa_user_sgpr_queue_ptr 0
		.amdhsa_user_sgpr_kernarg_segment_ptr 1
		.amdhsa_user_sgpr_dispatch_id 0
		.amdhsa_user_sgpr_flat_scratch_init 0
		.amdhsa_user_sgpr_private_segment_size 0
		.amdhsa_wavefront_size32 1
		.amdhsa_uses_dynamic_stack 0
		.amdhsa_system_sgpr_private_segment_wavefront_offset 0
		.amdhsa_system_sgpr_workgroup_id_x 1
		.amdhsa_system_sgpr_workgroup_id_y 0
		.amdhsa_system_sgpr_workgroup_id_z 0
		.amdhsa_system_sgpr_workgroup_info 0
		.amdhsa_system_vgpr_workitem_id 0
		.amdhsa_next_free_vgpr 65
		.amdhsa_next_free_sgpr 23
		.amdhsa_reserve_vcc 1
		.amdhsa_reserve_flat_scratch 0
		.amdhsa_float_round_mode_32 0
		.amdhsa_float_round_mode_16_64 0
		.amdhsa_float_denorm_mode_32 3
		.amdhsa_float_denorm_mode_16_64 3
		.amdhsa_dx10_clamp 1
		.amdhsa_ieee_mode 1
		.amdhsa_fp16_overflow 0
		.amdhsa_workgroup_processor_mode 1
		.amdhsa_memory_ordered 1
		.amdhsa_forward_progress 1
		.amdhsa_shared_vgpr_count 0
		.amdhsa_exception_fp_ieee_invalid_op 0
		.amdhsa_exception_fp_denorm_src 0
		.amdhsa_exception_fp_ieee_div_zero 0
		.amdhsa_exception_fp_ieee_overflow 0
		.amdhsa_exception_fp_ieee_underflow 0
		.amdhsa_exception_fp_ieee_inexact 0
		.amdhsa_exception_int_div_zero 0
	.end_amdhsa_kernel
	.section	.text._ZN7rocprim17ROCPRIM_400000_NS6detail17trampoline_kernelINS0_14default_configENS1_25partition_config_selectorILNS1_17partition_subalgoE8ElNS0_10empty_typeEbEEZZNS1_14partition_implILS5_8ELb0ES3_jPKlPS6_PKS6_NS0_5tupleIJPlS6_EEENSE_IJSB_SB_EEENS0_18inequality_wrapperIN6hipcub16HIPCUB_304000_NS8EqualityEEESF_JS6_EEE10hipError_tPvRmT3_T4_T5_T6_T7_T9_mT8_P12ihipStream_tbDpT10_ENKUlT_T0_E_clISt17integral_constantIbLb0EES15_IbLb1EEEEDaS11_S12_EUlS11_E_NS1_11comp_targetILNS1_3genE8ELNS1_11target_archE1030ELNS1_3gpuE2ELNS1_3repE0EEENS1_30default_config_static_selectorELNS0_4arch9wavefront6targetE0EEEvT1_,"axG",@progbits,_ZN7rocprim17ROCPRIM_400000_NS6detail17trampoline_kernelINS0_14default_configENS1_25partition_config_selectorILNS1_17partition_subalgoE8ElNS0_10empty_typeEbEEZZNS1_14partition_implILS5_8ELb0ES3_jPKlPS6_PKS6_NS0_5tupleIJPlS6_EEENSE_IJSB_SB_EEENS0_18inequality_wrapperIN6hipcub16HIPCUB_304000_NS8EqualityEEESF_JS6_EEE10hipError_tPvRmT3_T4_T5_T6_T7_T9_mT8_P12ihipStream_tbDpT10_ENKUlT_T0_E_clISt17integral_constantIbLb0EES15_IbLb1EEEEDaS11_S12_EUlS11_E_NS1_11comp_targetILNS1_3genE8ELNS1_11target_archE1030ELNS1_3gpuE2ELNS1_3repE0EEENS1_30default_config_static_selectorELNS0_4arch9wavefront6targetE0EEEvT1_,comdat
.Lfunc_end257:
	.size	_ZN7rocprim17ROCPRIM_400000_NS6detail17trampoline_kernelINS0_14default_configENS1_25partition_config_selectorILNS1_17partition_subalgoE8ElNS0_10empty_typeEbEEZZNS1_14partition_implILS5_8ELb0ES3_jPKlPS6_PKS6_NS0_5tupleIJPlS6_EEENSE_IJSB_SB_EEENS0_18inequality_wrapperIN6hipcub16HIPCUB_304000_NS8EqualityEEESF_JS6_EEE10hipError_tPvRmT3_T4_T5_T6_T7_T9_mT8_P12ihipStream_tbDpT10_ENKUlT_T0_E_clISt17integral_constantIbLb0EES15_IbLb1EEEEDaS11_S12_EUlS11_E_NS1_11comp_targetILNS1_3genE8ELNS1_11target_archE1030ELNS1_3gpuE2ELNS1_3repE0EEENS1_30default_config_static_selectorELNS0_4arch9wavefront6targetE0EEEvT1_, .Lfunc_end257-_ZN7rocprim17ROCPRIM_400000_NS6detail17trampoline_kernelINS0_14default_configENS1_25partition_config_selectorILNS1_17partition_subalgoE8ElNS0_10empty_typeEbEEZZNS1_14partition_implILS5_8ELb0ES3_jPKlPS6_PKS6_NS0_5tupleIJPlS6_EEENSE_IJSB_SB_EEENS0_18inequality_wrapperIN6hipcub16HIPCUB_304000_NS8EqualityEEESF_JS6_EEE10hipError_tPvRmT3_T4_T5_T6_T7_T9_mT8_P12ihipStream_tbDpT10_ENKUlT_T0_E_clISt17integral_constantIbLb0EES15_IbLb1EEEEDaS11_S12_EUlS11_E_NS1_11comp_targetILNS1_3genE8ELNS1_11target_archE1030ELNS1_3gpuE2ELNS1_3repE0EEENS1_30default_config_static_selectorELNS0_4arch9wavefront6targetE0EEEvT1_
                                        ; -- End function
	.set _ZN7rocprim17ROCPRIM_400000_NS6detail17trampoline_kernelINS0_14default_configENS1_25partition_config_selectorILNS1_17partition_subalgoE8ElNS0_10empty_typeEbEEZZNS1_14partition_implILS5_8ELb0ES3_jPKlPS6_PKS6_NS0_5tupleIJPlS6_EEENSE_IJSB_SB_EEENS0_18inequality_wrapperIN6hipcub16HIPCUB_304000_NS8EqualityEEESF_JS6_EEE10hipError_tPvRmT3_T4_T5_T6_T7_T9_mT8_P12ihipStream_tbDpT10_ENKUlT_T0_E_clISt17integral_constantIbLb0EES15_IbLb1EEEEDaS11_S12_EUlS11_E_NS1_11comp_targetILNS1_3genE8ELNS1_11target_archE1030ELNS1_3gpuE2ELNS1_3repE0EEENS1_30default_config_static_selectorELNS0_4arch9wavefront6targetE0EEEvT1_.num_vgpr, 57
	.set _ZN7rocprim17ROCPRIM_400000_NS6detail17trampoline_kernelINS0_14default_configENS1_25partition_config_selectorILNS1_17partition_subalgoE8ElNS0_10empty_typeEbEEZZNS1_14partition_implILS5_8ELb0ES3_jPKlPS6_PKS6_NS0_5tupleIJPlS6_EEENSE_IJSB_SB_EEENS0_18inequality_wrapperIN6hipcub16HIPCUB_304000_NS8EqualityEEESF_JS6_EEE10hipError_tPvRmT3_T4_T5_T6_T7_T9_mT8_P12ihipStream_tbDpT10_ENKUlT_T0_E_clISt17integral_constantIbLb0EES15_IbLb1EEEEDaS11_S12_EUlS11_E_NS1_11comp_targetILNS1_3genE8ELNS1_11target_archE1030ELNS1_3gpuE2ELNS1_3repE0EEENS1_30default_config_static_selectorELNS0_4arch9wavefront6targetE0EEEvT1_.num_agpr, 0
	.set _ZN7rocprim17ROCPRIM_400000_NS6detail17trampoline_kernelINS0_14default_configENS1_25partition_config_selectorILNS1_17partition_subalgoE8ElNS0_10empty_typeEbEEZZNS1_14partition_implILS5_8ELb0ES3_jPKlPS6_PKS6_NS0_5tupleIJPlS6_EEENSE_IJSB_SB_EEENS0_18inequality_wrapperIN6hipcub16HIPCUB_304000_NS8EqualityEEESF_JS6_EEE10hipError_tPvRmT3_T4_T5_T6_T7_T9_mT8_P12ihipStream_tbDpT10_ENKUlT_T0_E_clISt17integral_constantIbLb0EES15_IbLb1EEEEDaS11_S12_EUlS11_E_NS1_11comp_targetILNS1_3genE8ELNS1_11target_archE1030ELNS1_3gpuE2ELNS1_3repE0EEENS1_30default_config_static_selectorELNS0_4arch9wavefront6targetE0EEEvT1_.numbered_sgpr, 23
	.set _ZN7rocprim17ROCPRIM_400000_NS6detail17trampoline_kernelINS0_14default_configENS1_25partition_config_selectorILNS1_17partition_subalgoE8ElNS0_10empty_typeEbEEZZNS1_14partition_implILS5_8ELb0ES3_jPKlPS6_PKS6_NS0_5tupleIJPlS6_EEENSE_IJSB_SB_EEENS0_18inequality_wrapperIN6hipcub16HIPCUB_304000_NS8EqualityEEESF_JS6_EEE10hipError_tPvRmT3_T4_T5_T6_T7_T9_mT8_P12ihipStream_tbDpT10_ENKUlT_T0_E_clISt17integral_constantIbLb0EES15_IbLb1EEEEDaS11_S12_EUlS11_E_NS1_11comp_targetILNS1_3genE8ELNS1_11target_archE1030ELNS1_3gpuE2ELNS1_3repE0EEENS1_30default_config_static_selectorELNS0_4arch9wavefront6targetE0EEEvT1_.num_named_barrier, 0
	.set _ZN7rocprim17ROCPRIM_400000_NS6detail17trampoline_kernelINS0_14default_configENS1_25partition_config_selectorILNS1_17partition_subalgoE8ElNS0_10empty_typeEbEEZZNS1_14partition_implILS5_8ELb0ES3_jPKlPS6_PKS6_NS0_5tupleIJPlS6_EEENSE_IJSB_SB_EEENS0_18inequality_wrapperIN6hipcub16HIPCUB_304000_NS8EqualityEEESF_JS6_EEE10hipError_tPvRmT3_T4_T5_T6_T7_T9_mT8_P12ihipStream_tbDpT10_ENKUlT_T0_E_clISt17integral_constantIbLb0EES15_IbLb1EEEEDaS11_S12_EUlS11_E_NS1_11comp_targetILNS1_3genE8ELNS1_11target_archE1030ELNS1_3gpuE2ELNS1_3repE0EEENS1_30default_config_static_selectorELNS0_4arch9wavefront6targetE0EEEvT1_.private_seg_size, 0
	.set _ZN7rocprim17ROCPRIM_400000_NS6detail17trampoline_kernelINS0_14default_configENS1_25partition_config_selectorILNS1_17partition_subalgoE8ElNS0_10empty_typeEbEEZZNS1_14partition_implILS5_8ELb0ES3_jPKlPS6_PKS6_NS0_5tupleIJPlS6_EEENSE_IJSB_SB_EEENS0_18inequality_wrapperIN6hipcub16HIPCUB_304000_NS8EqualityEEESF_JS6_EEE10hipError_tPvRmT3_T4_T5_T6_T7_T9_mT8_P12ihipStream_tbDpT10_ENKUlT_T0_E_clISt17integral_constantIbLb0EES15_IbLb1EEEEDaS11_S12_EUlS11_E_NS1_11comp_targetILNS1_3genE8ELNS1_11target_archE1030ELNS1_3gpuE2ELNS1_3repE0EEENS1_30default_config_static_selectorELNS0_4arch9wavefront6targetE0EEEvT1_.uses_vcc, 1
	.set _ZN7rocprim17ROCPRIM_400000_NS6detail17trampoline_kernelINS0_14default_configENS1_25partition_config_selectorILNS1_17partition_subalgoE8ElNS0_10empty_typeEbEEZZNS1_14partition_implILS5_8ELb0ES3_jPKlPS6_PKS6_NS0_5tupleIJPlS6_EEENSE_IJSB_SB_EEENS0_18inequality_wrapperIN6hipcub16HIPCUB_304000_NS8EqualityEEESF_JS6_EEE10hipError_tPvRmT3_T4_T5_T6_T7_T9_mT8_P12ihipStream_tbDpT10_ENKUlT_T0_E_clISt17integral_constantIbLb0EES15_IbLb1EEEEDaS11_S12_EUlS11_E_NS1_11comp_targetILNS1_3genE8ELNS1_11target_archE1030ELNS1_3gpuE2ELNS1_3repE0EEENS1_30default_config_static_selectorELNS0_4arch9wavefront6targetE0EEEvT1_.uses_flat_scratch, 0
	.set _ZN7rocprim17ROCPRIM_400000_NS6detail17trampoline_kernelINS0_14default_configENS1_25partition_config_selectorILNS1_17partition_subalgoE8ElNS0_10empty_typeEbEEZZNS1_14partition_implILS5_8ELb0ES3_jPKlPS6_PKS6_NS0_5tupleIJPlS6_EEENSE_IJSB_SB_EEENS0_18inequality_wrapperIN6hipcub16HIPCUB_304000_NS8EqualityEEESF_JS6_EEE10hipError_tPvRmT3_T4_T5_T6_T7_T9_mT8_P12ihipStream_tbDpT10_ENKUlT_T0_E_clISt17integral_constantIbLb0EES15_IbLb1EEEEDaS11_S12_EUlS11_E_NS1_11comp_targetILNS1_3genE8ELNS1_11target_archE1030ELNS1_3gpuE2ELNS1_3repE0EEENS1_30default_config_static_selectorELNS0_4arch9wavefront6targetE0EEEvT1_.has_dyn_sized_stack, 0
	.set _ZN7rocprim17ROCPRIM_400000_NS6detail17trampoline_kernelINS0_14default_configENS1_25partition_config_selectorILNS1_17partition_subalgoE8ElNS0_10empty_typeEbEEZZNS1_14partition_implILS5_8ELb0ES3_jPKlPS6_PKS6_NS0_5tupleIJPlS6_EEENSE_IJSB_SB_EEENS0_18inequality_wrapperIN6hipcub16HIPCUB_304000_NS8EqualityEEESF_JS6_EEE10hipError_tPvRmT3_T4_T5_T6_T7_T9_mT8_P12ihipStream_tbDpT10_ENKUlT_T0_E_clISt17integral_constantIbLb0EES15_IbLb1EEEEDaS11_S12_EUlS11_E_NS1_11comp_targetILNS1_3genE8ELNS1_11target_archE1030ELNS1_3gpuE2ELNS1_3repE0EEENS1_30default_config_static_selectorELNS0_4arch9wavefront6targetE0EEEvT1_.has_recursion, 0
	.set _ZN7rocprim17ROCPRIM_400000_NS6detail17trampoline_kernelINS0_14default_configENS1_25partition_config_selectorILNS1_17partition_subalgoE8ElNS0_10empty_typeEbEEZZNS1_14partition_implILS5_8ELb0ES3_jPKlPS6_PKS6_NS0_5tupleIJPlS6_EEENSE_IJSB_SB_EEENS0_18inequality_wrapperIN6hipcub16HIPCUB_304000_NS8EqualityEEESF_JS6_EEE10hipError_tPvRmT3_T4_T5_T6_T7_T9_mT8_P12ihipStream_tbDpT10_ENKUlT_T0_E_clISt17integral_constantIbLb0EES15_IbLb1EEEEDaS11_S12_EUlS11_E_NS1_11comp_targetILNS1_3genE8ELNS1_11target_archE1030ELNS1_3gpuE2ELNS1_3repE0EEENS1_30default_config_static_selectorELNS0_4arch9wavefront6targetE0EEEvT1_.has_indirect_call, 0
	.section	.AMDGPU.csdata,"",@progbits
; Kernel info:
; codeLenInByte = 6600
; TotalNumSgprs: 25
; NumVgprs: 57
; ScratchSize: 0
; MemoryBound: 0
; FloatMode: 240
; IeeeMode: 1
; LDSByteSize: 33800 bytes/workgroup (compile time only)
; SGPRBlocks: 0
; VGPRBlocks: 8
; NumSGPRsForWavesPerEU: 25
; NumVGPRsForWavesPerEU: 65
; Occupancy: 12
; WaveLimiterHint : 1
; COMPUTE_PGM_RSRC2:SCRATCH_EN: 0
; COMPUTE_PGM_RSRC2:USER_SGPR: 6
; COMPUTE_PGM_RSRC2:TRAP_HANDLER: 0
; COMPUTE_PGM_RSRC2:TGID_X_EN: 1
; COMPUTE_PGM_RSRC2:TGID_Y_EN: 0
; COMPUTE_PGM_RSRC2:TGID_Z_EN: 0
; COMPUTE_PGM_RSRC2:TIDIG_COMP_CNT: 0
	.section	.text._ZN2at6native12_GLOBAL__N_113renorm_kernelIddKlEEvPT_PT1_T0_S8_llllPS3_,"axG",@progbits,_ZN2at6native12_GLOBAL__N_113renorm_kernelIddKlEEvPT_PT1_T0_S8_llllPS3_,comdat
	.globl	_ZN2at6native12_GLOBAL__N_113renorm_kernelIddKlEEvPT_PT1_T0_S8_llllPS3_ ; -- Begin function _ZN2at6native12_GLOBAL__N_113renorm_kernelIddKlEEvPT_PT1_T0_S8_llllPS3_
	.p2align	8
	.type	_ZN2at6native12_GLOBAL__N_113renorm_kernelIddKlEEvPT_PT1_T0_S8_llllPS3_,@function
_ZN2at6native12_GLOBAL__N_113renorm_kernelIddKlEEvPT_PT1_T0_S8_llllPS3_: ; @_ZN2at6native12_GLOBAL__N_113renorm_kernelIddKlEEvPT_PT1_T0_S8_llllPS3_
; %bb.0:
	s_load_dwordx2 s[0:1], s[4:5], 0x40
	s_mov_b32 s7, 0
	s_waitcnt lgkmcnt(0)
	s_load_dwordx2 s[0:1], s[0:1], 0x0
	s_waitcnt lgkmcnt(0)
	v_cmp_le_i64_e64 s0, s[0:1], s[6:7]
	s_and_b32 vcc_lo, exec_lo, s0
	s_cbranch_vccnz .LBB258_28
; %bb.1:
	s_load_dwordx16 s[8:23], s[4:5], 0x0
	s_lshl_b64 s[0:1], s[6:7], 3
	s_waitcnt lgkmcnt(0)
	s_add_u32 s0, s10, s0
	s_addc_u32 s1, s11, s1
	s_load_dwordx2 s[2:3], s[0:1], 0x0
	s_waitcnt lgkmcnt(0)
	v_cmp_lt_i64_e64 s0, s[2:3], 0
	s_and_b32 vcc_lo, exec_lo, s0
	s_cbranch_vccnz .LBB258_29
; %bb.2:
	s_getpc_b64 s[0:1]
	s_add_u32 s0, s0, .str.4@rel32@lo+4
	s_addc_u32 s1, s1, .str.4@rel32@hi+12
	v_cmp_ge_i64_e64 s6, s[2:3], s[18:19]
	s_cmp_eq_u64 s[0:1], 0
	s_cselect_b32 s0, -1, 0
	s_or_b32 s33, s6, s0
	s_andn2_b32 vcc_lo, exec_lo, s33
	s_cbranch_vccz .LBB258_27
; %bb.3:
	v_mov_b32_e32 v1, 0
	s_mul_i32 s0, s2, s21
	s_mul_hi_u32 s1, s2, s20
	v_mov_b32_e32 v2, 0
	s_add_i32 s1, s1, s0
	v_cmp_gt_i64_e64 s0, s[16:17], v[0:1]
	v_mov_b32_e32 v3, 0
	s_mul_i32 s3, s3, s20
	s_mul_i32 s10, s2, s20
	s_add_i32 s11, s1, s3
	s_and_saveexec_b32 s74, s0
	s_cbranch_execz .LBB258_13
; %bb.4:
	s_load_dword s1, s[4:5], 0x54
	v_cmp_neq_f64_e64 s75, s[14:15], 1.0
	v_cmp_neq_f64_e64 s76, s[14:15], 2.0
	s_lshl_b64 s[2:3], s[10:11], 3
	v_mov_b32_e32 v2, 0
	s_add_u32 s78, s8, s2
	s_addc_u32 s79, s9, s3
	v_mov_b32_e32 v6, v1
	v_mov_b32_e32 v3, 0
	;; [unrolled: 1-line block ×3, first 2 shown]
	s_mov_b32 s18, 0x55555555
	s_mov_b32 s20, 0x968915a9
	;; [unrolled: 1-line block ×10, first 2 shown]
	s_waitcnt lgkmcnt(0)
	s_and_b32 s80, s1, 0xffff
	s_mov_b32 s42, 0xfefa39ef
	v_add_nc_u32_e32 v4, s80, v0
	s_mov_b32 s44, 0x3b39803f
	s_mov_b32 s46, 0xd5df274d
	;; [unrolled: 1-line block ×41, first 2 shown]
	s_branch .LBB258_7
.LBB258_5:                              ;   in Loop: Header=BB258_7 Depth=1
	s_waitcnt vmcnt(0)
	v_and_b32_e32 v6, 0x7fffffff, v6
	v_mov_b32_e32 v8, v6
	v_mov_b32_e32 v7, v5
.LBB258_6:                              ;   in Loop: Header=BB258_7 Depth=1
	v_add_f64 v[2:3], v[2:3], v[7:8]
	s_waitcnt vmcnt(0)
	v_ashrrev_i32_e32 v5, 31, v4
	v_cmp_le_i64_e32 vcc_lo, s[16:17], v[4:5]
	v_mov_b32_e32 v6, v5
	v_mov_b32_e32 v5, v4
	v_add_nc_u32_e32 v4, s80, v4
	s_or_b32 s77, vcc_lo, s77
	s_andn2_b32 exec_lo, exec_lo, s77
	s_cbranch_execz .LBB258_12
.LBB258_7:                              ; =>This Inner Loop Header: Depth=1
	v_mul_lo_u32 v7, v6, s22
	v_mul_lo_u32 v8, v5, s23
	v_mad_u64_u32 v[5:6], null, v5, s22, 0
	v_add3_u32 v6, v6, v8, v7
	v_lshlrev_b64 v[5:6], 3, v[5:6]
	v_add_co_u32 v5, vcc_lo, s78, v5
	v_add_co_ci_u32_e64 v6, null, s79, v6, vcc_lo
	s_and_b32 vcc_lo, exec_lo, s75
	global_load_dwordx2 v[5:6], v[5:6], off
	s_cbranch_vccz .LBB258_5
; %bb.8:                                ;   in Loop: Header=BB258_7 Depth=1
	s_and_b32 vcc_lo, exec_lo, s76
	s_cbranch_vccz .LBB258_10
; %bb.9:                                ;   in Loop: Header=BB258_7 Depth=1
	s_waitcnt vmcnt(0)
	v_cmp_neq_f64_e32 vcc_lo, 1.0, v[5:6]
	v_mov_b32_e32 v7, s15
	s_mov_b32 s6, s18
	s_mov_b32 s50, s42
	s_mov_b32 s52, s44
	v_cndmask_b32_e32 v8, 0x3ff00000, v7, vcc_lo
	v_cndmask_b32_e64 v7, 0, s14, vcc_lo
	v_cmp_neq_f64_e32 vcc_lo, 0, v[7:8]
	v_cndmask_b32_e32 v10, 0x3ff00000, v6, vcc_lo
	v_cndmask_b32_e32 v9, 0, v5, vcc_lo
	v_frexp_mant_f64_e64 v[11:12], |v[9:10]|
	v_cmp_eq_f64_e64 s3, 0, v[9:10]
	v_cmp_gt_f64_e32 vcc_lo, s[18:19], v[11:12]
	v_cndmask_b32_e64 v13, 0, 1, vcc_lo
	v_ldexp_f64 v[11:12], v[11:12], v13
	v_add_f64 v[13:14], v[11:12], 1.0
	v_add_f64 v[19:20], v[11:12], -1.0
	v_rcp_f64_e32 v[15:16], v[13:14]
	v_add_f64 v[21:22], v[13:14], -1.0
	v_add_f64 v[11:12], v[11:12], -v[21:22]
	v_fma_f64 v[17:18], -v[13:14], v[15:16], 1.0
	v_fma_f64 v[15:16], v[17:18], v[15:16], v[15:16]
	v_fma_f64 v[17:18], -v[13:14], v[15:16], 1.0
	v_fma_f64 v[15:16], v[17:18], v[15:16], v[15:16]
	v_mul_f64 v[17:18], v[19:20], v[15:16]
	v_mul_f64 v[23:24], v[13:14], v[17:18]
	v_fma_f64 v[13:14], v[17:18], v[13:14], -v[23:24]
	v_fma_f64 v[11:12], v[17:18], v[11:12], v[13:14]
	v_add_f64 v[13:14], v[23:24], v[11:12]
	v_add_f64 v[21:22], v[19:20], -v[13:14]
	v_add_f64 v[23:24], v[13:14], -v[23:24]
	;; [unrolled: 1-line block ×5, first 2 shown]
	v_add_f64 v[11:12], v[11:12], v[13:14]
	v_add_f64 v[11:12], v[21:22], v[11:12]
	v_mul_f64 v[11:12], v[15:16], v[11:12]
	v_add_f64 v[13:14], v[17:18], v[11:12]
	v_add_f64 v[15:16], v[13:14], -v[17:18]
	v_mul_f64 v[17:18], v[13:14], v[13:14]
	v_add_f64 v[11:12], v[11:12], -v[15:16]
	v_fma_f64 v[15:16], v[13:14], v[13:14], -v[17:18]
	v_add_f64 v[19:20], v[11:12], v[11:12]
	v_fma_f64 v[15:16], v[13:14], v[19:20], v[15:16]
	v_add_f64 v[19:20], v[17:18], v[15:16]
	v_fma_f64 v[21:22], v[19:20], s[24:25], s[20:21]
	v_add_f64 v[17:18], v[19:20], -v[17:18]
	v_mul_f64 v[27:28], v[13:14], v[19:20]
	v_fma_f64 v[21:22], v[19:20], v[21:22], s[26:27]
	v_add_f64 v[15:16], v[15:16], -v[17:18]
	v_fma_f64 v[21:22], v[19:20], v[21:22], s[28:29]
	v_fma_f64 v[21:22], v[19:20], v[21:22], s[30:31]
	;; [unrolled: 1-line block ×6, first 2 shown]
	v_mul_f64 v[23:24], v[19:20], v[21:22]
	v_fma_f64 v[17:18], v[19:20], v[21:22], -v[23:24]
	v_fma_f64 v[17:18], v[15:16], v[21:22], v[17:18]
	v_add_f64 v[21:22], v[23:24], v[17:18]
	v_add_f64 v[25:26], v[21:22], s[18:19]
	v_add_f64 v[23:24], v[21:22], -v[23:24]
	v_add_f64 v[29:30], v[25:26], s[6:7]
	v_add_f64 v[17:18], v[17:18], -v[23:24]
	v_fma_f64 v[23:24], v[19:20], v[13:14], -v[27:28]
	v_cmp_neq_f64_e64 s6, v[7:8], |v[7:8]|
	v_add_f64 v[21:22], v[21:22], -v[29:30]
	v_add_f64 v[17:18], v[17:18], s[46:47]
	v_fma_f64 v[19:20], v[19:20], v[11:12], v[23:24]
	v_ldexp_f64 v[11:12], v[11:12], 1
	v_add_f64 v[17:18], v[17:18], v[21:22]
	v_fma_f64 v[15:16], v[15:16], v[13:14], v[19:20]
	v_ldexp_f64 v[13:14], v[13:14], 1
	v_add_f64 v[19:20], v[25:26], v[17:18]
	v_add_f64 v[21:22], v[27:28], v[15:16]
	v_add_f64 v[23:24], v[25:26], -v[19:20]
	v_mul_f64 v[25:26], v[21:22], v[19:20]
	v_add_f64 v[27:28], v[21:22], -v[27:28]
	v_add_f64 v[17:18], v[17:18], v[23:24]
	v_fma_f64 v[23:24], v[21:22], v[19:20], -v[25:26]
	v_add_f64 v[15:16], v[15:16], -v[27:28]
	v_fma_f64 v[17:18], v[21:22], v[17:18], v[23:24]
	v_fma_f64 v[15:16], v[15:16], v[19:20], v[17:18]
	v_frexp_exp_i32_f64_e32 v19, v[9:10]
	v_add_f64 v[17:18], v[25:26], v[15:16]
	v_subrev_co_ci_u32_e64 v19, null, 0, v19, vcc_lo
	v_cvt_f64_i32_e32 v[19:20], v19
	v_add_f64 v[21:22], v[13:14], v[17:18]
	v_add_f64 v[23:24], v[17:18], -v[25:26]
	v_mul_f64 v[25:26], v[19:20], s[42:43]
	v_add_f64 v[13:14], v[21:22], -v[13:14]
	v_add_f64 v[15:16], v[15:16], -v[23:24]
	v_fma_f64 v[23:24], v[19:20], s[42:43], -v[25:26]
	v_add_f64 v[13:14], v[17:18], -v[13:14]
	v_add_f64 v[11:12], v[11:12], v[15:16]
	v_fma_f64 v[15:16], v[19:20], s[44:45], v[23:24]
	v_add_f64 v[11:12], v[11:12], v[13:14]
	v_add_f64 v[13:14], v[25:26], v[15:16]
	;; [unrolled: 1-line block ×3, first 2 shown]
	v_add_f64 v[25:26], v[13:14], -v[25:26]
	v_add_f64 v[19:20], v[13:14], v[17:18]
	v_add_f64 v[21:22], v[17:18], -v[21:22]
	v_add_f64 v[15:16], v[15:16], -v[25:26]
	v_add_f64 v[23:24], v[19:20], -v[13:14]
	v_add_f64 v[11:12], v[11:12], -v[21:22]
	v_add_f64 v[27:28], v[19:20], -v[23:24]
	v_add_f64 v[17:18], v[17:18], -v[23:24]
	v_add_f64 v[21:22], v[15:16], v[11:12]
	v_add_f64 v[13:14], v[13:14], -v[27:28]
	v_add_f64 v[13:14], v[17:18], v[13:14]
	v_add_f64 v[17:18], v[21:22], -v[15:16]
	v_add_f64 v[13:14], v[21:22], v[13:14]
	v_add_f64 v[21:22], v[21:22], -v[17:18]
	v_add_f64 v[11:12], v[11:12], -v[17:18]
	v_add_f64 v[23:24], v[19:20], v[13:14]
	v_add_f64 v[15:16], v[15:16], -v[21:22]
	v_add_f64 v[17:18], v[23:24], -v[19:20]
	v_add_f64 v[11:12], v[11:12], v[15:16]
	v_add_f64 v[13:14], v[13:14], -v[17:18]
	v_add_f64 v[11:12], v[11:12], v[13:14]
	v_add_f64 v[13:14], v[23:24], v[11:12]
	v_add_f64 v[15:16], v[13:14], -v[23:24]
	v_mul_f64 v[17:18], v[7:8], v[13:14]
	v_add_f64 v[11:12], v[11:12], -v[15:16]
	v_fma_f64 v[13:14], v[7:8], v[13:14], -v[17:18]
	v_cmp_class_f64_e64 vcc_lo, v[17:18], 0x204
	v_fma_f64 v[11:12], v[7:8], v[11:12], v[13:14]
	v_add_f64 v[13:14], v[17:18], v[11:12]
	v_cndmask_b32_e32 v16, v14, v18, vcc_lo
	v_cndmask_b32_e32 v15, v13, v17, vcc_lo
	v_add_f64 v[13:14], v[13:14], -v[17:18]
	v_mul_f64 v[19:20], v[15:16], s[48:49]
	v_cmp_nlt_f64_e64 s1, 0x40900000, v[15:16]
	v_cmp_neq_f64_e64 vcc_lo, 0x7ff00000, |v[15:16]|
	v_cmp_ngt_f64_e64 s2, 0xc090cc00, v[15:16]
	v_add_f64 v[11:12], v[11:12], -v[13:14]
	v_trunc_f64_e32 v[13:14], v[7:8]
	v_rndne_f64_e32 v[19:20], v[19:20]
	v_cndmask_b32_e32 v12, 0, v12, vcc_lo
	v_cndmask_b32_e32 v11, 0, v11, vcc_lo
	s_and_b32 vcc_lo, s2, s1
	v_fma_f64 v[21:22], v[19:20], s[50:51], v[15:16]
	v_cvt_i32_f64_e32 v25, v[19:20]
	v_cmp_lt_f64_e64 s50, |v[9:10]|, 1.0
	v_fma_f64 v[21:22], v[19:20], s[52:53], v[21:22]
	s_xor_b32 s6, s6, s50
	v_cmp_class_f64_e64 s50, v[9:10], 0x204
	v_fma_f64 v[23:24], v[21:22], s[56:57], s[54:55]
	v_fma_f64 v[23:24], v[21:22], v[23:24], s[58:59]
	;; [unrolled: 1-line block ×9, first 2 shown]
	v_fma_f64 v[23:24], v[21:22], v[23:24], 1.0
	v_fma_f64 v[19:20], v[21:22], v[23:24], 1.0
	v_ldexp_f64 v[17:18], v[19:20], v25
	v_mul_f64 v[19:20], v[7:8], 0.5
	v_cndmask_b32_e64 v18, 0x7ff00000, v18, s1
	v_trunc_f64_e32 v[15:16], v[19:20]
	v_cndmask_b32_e32 v17, 0, v17, vcc_lo
	v_cmp_eq_f64_e32 vcc_lo, v[13:14], v[7:8]
	v_cndmask_b32_e64 v18, 0, v18, s2
	v_fma_f64 v[11:12], v[17:18], v[11:12], v[17:18]
	v_cmp_class_f64_e64 s2, v[17:18], 0x204
	v_cmp_neq_f64_e64 s1, v[15:16], v[19:20]
	v_cndmask_b32_e64 v15, 0x7ff00000, 0, s6
	v_cmp_neq_f64_e64 s6, |v[9:10]|, 1.0
	v_cndmask_b32_e64 v12, v12, v18, s2
	v_cndmask_b32_e64 v11, v11, v17, s2
	v_cmp_gt_f64_e64 s2, 0, v[7:8]
	v_cndmask_b32_e32 v14, 0, v11, vcc_lo
	s_and_b32 s1, vcc_lo, s1
	v_cndmask_b32_e64 v13, 0x3ff00000, v10, s1
	v_cndmask_b32_e64 v15, 0x3ff00000, v15, s6
	v_bfi_b32 v12, 0x7fffffff, v12, v13
	v_cndmask_b32_e32 v13, 0x7ff80000, v12, vcc_lo
	v_cmp_gt_f64_e32 vcc_lo, 0, v[9:10]
	s_xor_b32 s2, s2, s3
	v_cndmask_b32_e32 v11, v11, v14, vcc_lo
	v_cndmask_b32_e32 v12, v12, v13, vcc_lo
	v_cmp_class_f64_e64 vcc_lo, v[7:8], 0x204
	v_cndmask_b32_e64 v13, 0x7ff00000, 0, s2
	v_cndmask_b32_e64 v14, 0, v10, s1
	s_or_b32 s1, s3, s50
	v_bfi_b32 v13, 0x7fffffff, v13, v14
	v_cndmask_b32_e32 v12, v12, v15, vcc_lo
	v_cndmask_b32_e64 v12, v12, v13, s1
	s_or_b32 s1, s1, vcc_lo
	v_cmp_o_f64_e32 vcc_lo, v[9:10], v[7:8]
	v_cndmask_b32_e64 v11, v11, 0, s1
	v_cndmask_b32_e32 v7, 0, v11, vcc_lo
	v_cndmask_b32_e32 v8, 0x7ff80000, v12, vcc_lo
	s_cbranch_execnz .LBB258_6
	s_branch .LBB258_11
.LBB258_10:                             ;   in Loop: Header=BB258_7 Depth=1
                                        ; implicit-def: $vgpr7_vgpr8
.LBB258_11:                             ;   in Loop: Header=BB258_7 Depth=1
	s_waitcnt vmcnt(0)
	v_mul_f64 v[7:8], v[5:6], v[5:6]
	s_branch .LBB258_6
.LBB258_12:
	s_or_b32 exec_lo, exec_lo, s77
.LBB258_13:
	s_or_b32 exec_lo, exec_lo, s74
; %bb.14:
	v_mbcnt_lo_u32_b32 v10, -1, 0
	v_and_b32_e32 v11, 31, v0
	s_mov_b32 s1, exec_lo
	s_barrier
	v_lshl_or_b32 v6, v10, 2, 64
	v_cmp_gt_u32_e32 vcc_lo, 24, v10
	buffer_gl0_inv
	ds_bpermute_b32 v4, v6, v2
	ds_bpermute_b32 v5, v6, v3
	s_waitcnt lgkmcnt(0)
	v_add_f64 v[2:3], v[2:3], v[4:5]
	v_cndmask_b32_e64 v4, 0, 8, vcc_lo
	v_cmp_gt_u32_e32 vcc_lo, 28, v10
	v_add_lshl_u32 v7, v4, v10, 2
	ds_bpermute_b32 v4, v7, v2
	ds_bpermute_b32 v5, v7, v3
	s_waitcnt lgkmcnt(0)
	v_add_f64 v[2:3], v[2:3], v[4:5]
	v_cndmask_b32_e64 v4, 0, 4, vcc_lo
	v_cmp_gt_u32_e32 vcc_lo, 30, v10
	v_add_lshl_u32 v8, v4, v10, 2
	ds_bpermute_b32 v4, v8, v2
	ds_bpermute_b32 v5, v8, v3
	s_waitcnt lgkmcnt(0)
	v_add_f64 v[2:3], v[2:3], v[4:5]
	v_cndmask_b32_e64 v4, 0, 2, vcc_lo
	v_cmp_ne_u32_e32 vcc_lo, 31, v10
	v_add_lshl_u32 v9, v4, v10, 2
	ds_bpermute_b32 v4, v9, v2
	ds_bpermute_b32 v5, v9, v3
	s_waitcnt lgkmcnt(0)
	v_add_f64 v[2:3], v[2:3], v[4:5]
	v_add_co_ci_u32_e64 v4, null, 0, v10, vcc_lo
	v_lshlrev_b32_e32 v10, 2, v4
	ds_bpermute_b32 v4, v10, v2
	ds_bpermute_b32 v5, v10, v3
	v_cmpx_eq_u32_e32 0, v11
	s_cbranch_execz .LBB258_16
; %bb.15:
	s_waitcnt lgkmcnt(0)
	v_add_f64 v[2:3], v[2:3], v[4:5]
	v_lshrrev_b32_e32 v4, 2, v0
	v_add_nc_u32_e32 v4, 0, v4
	ds_write_b64 v4, v[2:3]
.LBB258_16:
	s_or_b32 exec_lo, exec_lo, s1
	s_waitcnt lgkmcnt(0)
	s_barrier
	buffer_gl0_inv
	s_load_dword s5, s[4:5], 0x54
	v_mov_b32_e32 v4, 0
	v_mov_b32_e32 v5, 0
	s_waitcnt lgkmcnt(0)
	s_bfe_u32 s1, s5, 0xb0005
	v_cmp_gt_u32_e32 vcc_lo, s1, v0
	s_and_saveexec_b32 s1, vcc_lo
; %bb.17:
	v_lshl_add_u32 v2, v11, 3, 0
	ds_read_b64 v[4:5], v2
; %bb.18:
	s_or_b32 exec_lo, exec_lo, s1
	s_mov_b32 s1, exec_lo
	v_cmpx_gt_u32_e32 32, v0
	s_cbranch_execz .LBB258_20
; %bb.19:
	s_waitcnt lgkmcnt(0)
	ds_bpermute_b32 v2, v6, v4
	ds_bpermute_b32 v3, v6, v5
	s_waitcnt lgkmcnt(0)
	v_add_f64 v[2:3], v[4:5], v[2:3]
	ds_bpermute_b32 v4, v7, v2
	ds_bpermute_b32 v5, v7, v3
	s_waitcnt lgkmcnt(0)
	v_add_f64 v[2:3], v[2:3], v[4:5]
	;; [unrolled: 4-line block ×5, first 2 shown]
.LBB258_20:
	s_or_b32 exec_lo, exec_lo, s1
	s_mov_b32 s6, exec_lo
	v_cmpx_eq_u32_e32 0, v0
	s_cbranch_execz .LBB258_22
; %bb.21:
	v_div_scale_f64 v[2:3], null, s[14:15], s[14:15], 1.0
	v_div_scale_f64 v[10:11], vcc_lo, 1.0, s[14:15], 1.0
	s_mov_b32 s3, 0x3fe55555
	s_mov_b32 s2, 0x55555555
	;; [unrolled: 1-line block ×4, first 2 shown]
	v_rcp_f64_e32 v[6:7], v[2:3]
	v_fma_f64 v[8:9], -v[2:3], v[6:7], 1.0
	v_fma_f64 v[6:7], v[6:7], v[8:9], v[6:7]
	v_fma_f64 v[8:9], -v[2:3], v[6:7], 1.0
	v_fma_f64 v[6:7], v[6:7], v[8:9], v[6:7]
	v_mul_f64 v[8:9], v[10:11], v[6:7]
	v_fma_f64 v[2:3], -v[2:3], v[8:9], v[10:11]
	v_div_fmas_f64 v[2:3], v[2:3], v[6:7], v[8:9]
	s_waitcnt lgkmcnt(0)
	v_cmp_neq_f64_e32 vcc_lo, 1.0, v[4:5]
	v_div_fixup_f64 v[2:3], v[2:3], s[14:15], 1.0
	s_mov_b32 s14, 0x968915a9
	s_mov_b32 s15, 0x3fba6564
	v_cndmask_b32_e32 v3, 0x3ff00000, v3, vcc_lo
	v_cndmask_b32_e32 v2, 0, v2, vcc_lo
	v_cmp_neq_f64_e32 vcc_lo, 0, v[2:3]
	v_cmp_neq_f64_e64 s4, v[2:3], |v[2:3]|
	v_cndmask_b32_e32 v5, 0x3ff00000, v5, vcc_lo
	v_cndmask_b32_e32 v4, 0, v4, vcc_lo
	v_frexp_mant_f64_e64 v[6:7], |v[4:5]|
	v_cmp_lt_f64_e64 s7, |v[4:5]|, 1.0
	v_cmp_gt_f64_e32 vcc_lo, s[2:3], v[6:7]
	s_xor_b32 s4, s4, s7
	v_cmp_class_f64_e64 s7, v[4:5], 0x204
	v_cndmask_b32_e64 v8, 0, 1, vcc_lo
	v_ldexp_f64 v[6:7], v[6:7], v8
	v_add_f64 v[8:9], v[6:7], 1.0
	v_add_f64 v[14:15], v[6:7], -1.0
	v_rcp_f64_e32 v[10:11], v[8:9]
	v_add_f64 v[16:17], v[8:9], -1.0
	v_add_f64 v[6:7], v[6:7], -v[16:17]
	v_fma_f64 v[12:13], -v[8:9], v[10:11], 1.0
	v_fma_f64 v[10:11], v[12:13], v[10:11], v[10:11]
	v_fma_f64 v[12:13], -v[8:9], v[10:11], 1.0
	v_fma_f64 v[10:11], v[12:13], v[10:11], v[10:11]
	v_mul_f64 v[12:13], v[14:15], v[10:11]
	v_mul_f64 v[18:19], v[8:9], v[12:13]
	v_fma_f64 v[8:9], v[12:13], v[8:9], -v[18:19]
	v_fma_f64 v[6:7], v[12:13], v[6:7], v[8:9]
	v_add_f64 v[8:9], v[18:19], v[6:7]
	v_add_f64 v[16:17], v[14:15], -v[8:9]
	v_add_f64 v[18:19], v[8:9], -v[18:19]
	;; [unrolled: 1-line block ×5, first 2 shown]
	v_add_f64 v[6:7], v[6:7], v[8:9]
	v_add_f64 v[6:7], v[16:17], v[6:7]
	v_mul_f64 v[6:7], v[10:11], v[6:7]
	v_add_f64 v[8:9], v[12:13], v[6:7]
	v_add_f64 v[10:11], v[8:9], -v[12:13]
	v_mul_f64 v[12:13], v[8:9], v[8:9]
	v_add_f64 v[6:7], v[6:7], -v[10:11]
	v_fma_f64 v[10:11], v[8:9], v[8:9], -v[12:13]
	v_add_f64 v[14:15], v[6:7], v[6:7]
	v_fma_f64 v[10:11], v[8:9], v[14:15], v[10:11]
	v_add_f64 v[14:15], v[12:13], v[10:11]
	v_fma_f64 v[16:17], v[14:15], s[18:19], s[14:15]
	s_mov_b32 s14, 0x3abe935a
	s_mov_b32 s15, 0x3fbe25e4
	v_add_f64 v[12:13], v[14:15], -v[12:13]
	v_mul_f64 v[22:23], v[8:9], v[14:15]
	s_mov_b32 s18, 0x652b82fe
	s_mov_b32 s19, 0x3ff71547
	v_fma_f64 v[16:17], v[14:15], v[16:17], s[14:15]
	s_mov_b32 s14, 0x47e6c9c2
	s_mov_b32 s15, 0x3fc110ef
	v_add_f64 v[10:11], v[10:11], -v[12:13]
	v_fma_f64 v[16:17], v[14:15], v[16:17], s[14:15]
	s_mov_b32 s14, 0xcfa74449
	s_mov_b32 s15, 0x3fc3b13b
	v_fma_f64 v[16:17], v[14:15], v[16:17], s[14:15]
	s_mov_b32 s14, 0x71bf3c30
	s_mov_b32 s15, 0x3fc745d1
	;; [unrolled: 3-line block ×6, first 2 shown]
	v_mul_f64 v[18:19], v[14:15], v[16:17]
	v_fma_f64 v[12:13], v[14:15], v[16:17], -v[18:19]
	v_fma_f64 v[12:13], v[10:11], v[16:17], v[12:13]
	v_add_f64 v[16:17], v[18:19], v[12:13]
	v_add_f64 v[20:21], v[16:17], s[2:3]
	v_add_f64 v[18:19], v[16:17], -v[18:19]
	s_mov_b32 s3, 0xbfe55555
	v_add_f64 v[24:25], v[20:21], s[2:3]
	v_add_f64 v[12:13], v[12:13], -v[18:19]
	v_fma_f64 v[18:19], v[14:15], v[8:9], -v[22:23]
	s_mov_b32 s2, 0xd5df274d
	s_mov_b32 s3, 0x3c8543b0
	v_add_f64 v[16:17], v[16:17], -v[24:25]
	v_add_f64 v[12:13], v[12:13], s[2:3]
	v_fma_f64 v[14:15], v[14:15], v[6:7], v[18:19]
	s_mov_b32 s3, 0x3fe62e42
	s_mov_b32 s2, 0xfefa39ef
	v_ldexp_f64 v[6:7], v[6:7], 1
	v_add_f64 v[12:13], v[12:13], v[16:17]
	v_fma_f64 v[10:11], v[10:11], v[8:9], v[14:15]
	v_ldexp_f64 v[8:9], v[8:9], 1
	v_add_f64 v[14:15], v[20:21], v[12:13]
	v_add_f64 v[16:17], v[22:23], v[10:11]
	v_add_f64 v[18:19], v[20:21], -v[14:15]
	v_mul_f64 v[20:21], v[16:17], v[14:15]
	v_add_f64 v[22:23], v[16:17], -v[22:23]
	v_add_f64 v[12:13], v[12:13], v[18:19]
	v_fma_f64 v[18:19], v[16:17], v[14:15], -v[20:21]
	v_add_f64 v[10:11], v[10:11], -v[22:23]
	v_fma_f64 v[12:13], v[16:17], v[12:13], v[18:19]
	v_fma_f64 v[10:11], v[10:11], v[14:15], v[12:13]
	v_frexp_exp_i32_f64_e32 v14, v[4:5]
	v_add_f64 v[12:13], v[20:21], v[10:11]
	v_subrev_co_ci_u32_e64 v14, null, 0, v14, vcc_lo
	v_cvt_f64_i32_e32 v[14:15], v14
	v_add_f64 v[16:17], v[8:9], v[12:13]
	v_add_f64 v[18:19], v[12:13], -v[20:21]
	v_mul_f64 v[20:21], v[14:15], s[2:3]
	v_add_f64 v[8:9], v[16:17], -v[8:9]
	v_add_f64 v[10:11], v[10:11], -v[18:19]
	v_fma_f64 v[18:19], v[14:15], s[2:3], -v[20:21]
	s_mov_b32 s3, 0xbfe62e42
	v_add_f64 v[8:9], v[12:13], -v[8:9]
	v_add_f64 v[6:7], v[6:7], v[10:11]
	v_fma_f64 v[10:11], v[14:15], s[14:15], v[18:19]
	s_mov_b32 s15, 0xbc7abc9e
	v_add_f64 v[6:7], v[6:7], v[8:9]
	v_add_f64 v[8:9], v[20:21], v[10:11]
	v_add_f64 v[12:13], v[16:17], v[6:7]
	v_add_f64 v[20:21], v[8:9], -v[20:21]
	v_add_f64 v[14:15], v[8:9], v[12:13]
	v_add_f64 v[16:17], v[12:13], -v[16:17]
	v_add_f64 v[10:11], v[10:11], -v[20:21]
	;; [unrolled: 1-line block ×6, first 2 shown]
	v_add_f64 v[16:17], v[10:11], v[6:7]
	v_add_f64 v[8:9], v[8:9], -v[22:23]
	v_add_f64 v[8:9], v[12:13], v[8:9]
	v_add_f64 v[12:13], v[16:17], -v[10:11]
	;; [unrolled: 2-line block ×3, first 2 shown]
	v_add_f64 v[6:7], v[6:7], -v[12:13]
	v_add_f64 v[18:19], v[14:15], v[8:9]
	v_add_f64 v[10:11], v[10:11], -v[16:17]
	v_add_f64 v[12:13], v[18:19], -v[14:15]
	v_add_f64 v[6:7], v[6:7], v[10:11]
	v_add_f64 v[8:9], v[8:9], -v[12:13]
	v_add_f64 v[6:7], v[6:7], v[8:9]
	v_add_f64 v[8:9], v[18:19], v[6:7]
	v_add_f64 v[10:11], v[8:9], -v[18:19]
	v_mul_f64 v[12:13], v[2:3], v[8:9]
	v_add_f64 v[6:7], v[6:7], -v[10:11]
	v_fma_f64 v[8:9], v[2:3], v[8:9], -v[12:13]
	v_cmp_class_f64_e64 vcc_lo, v[12:13], 0x204
	v_fma_f64 v[6:7], v[2:3], v[6:7], v[8:9]
	v_add_f64 v[8:9], v[12:13], v[6:7]
	v_cndmask_b32_e32 v11, v9, v13, vcc_lo
	v_cndmask_b32_e32 v10, v8, v12, vcc_lo
	v_add_f64 v[8:9], v[8:9], -v[12:13]
	v_mul_f64 v[14:15], v[10:11], s[18:19]
	v_cmp_nlt_f64_e64 s1, 0x40900000, v[10:11]
	v_cmp_neq_f64_e64 vcc_lo, 0x7ff00000, |v[10:11]|
	v_add_f64 v[6:7], v[6:7], -v[8:9]
	v_trunc_f64_e32 v[8:9], v[2:3]
	v_rndne_f64_e32 v[14:15], v[14:15]
	v_cndmask_b32_e32 v7, 0, v7, vcc_lo
	v_cndmask_b32_e32 v6, 0, v6, vcc_lo
	v_fma_f64 v[16:17], v[14:15], s[2:3], v[10:11]
	s_mov_b32 s2, 0xfca7ab0c
	s_mov_b32 s3, 0x3e928af3
	v_cvt_i32_f64_e32 v20, v[14:15]
	v_fma_f64 v[16:17], v[14:15], s[14:15], v[16:17]
	s_mov_b32 s14, 0x6a5dcb37
	s_mov_b32 s15, 0x3e5ade15
	v_fma_f64 v[18:19], v[16:17], s[14:15], s[2:3]
	s_mov_b32 s2, 0x623fde64
	s_mov_b32 s3, 0x3ec71dee
	;; [unrolled: 3-line block ×9, first 2 shown]
	v_fma_f64 v[18:19], v[16:17], v[18:19], s[2:3]
	v_cmp_ngt_f64_e64 s2, 0xc090cc00, v[10:11]
	v_cmp_eq_f64_e64 s3, 0, v[4:5]
	v_fma_f64 v[18:19], v[16:17], v[18:19], 1.0
	s_and_b32 vcc_lo, s2, s1
	v_fma_f64 v[14:15], v[16:17], v[18:19], 1.0
	v_ldexp_f64 v[12:13], v[14:15], v20
	v_mul_f64 v[14:15], v[2:3], 0.5
	v_cndmask_b32_e64 v13, 0x7ff00000, v13, s1
	v_trunc_f64_e32 v[10:11], v[14:15]
	v_cndmask_b32_e32 v12, 0, v12, vcc_lo
	v_cmp_eq_f64_e32 vcc_lo, v[8:9], v[2:3]
	v_cndmask_b32_e64 v13, 0, v13, s2
	v_fma_f64 v[6:7], v[12:13], v[6:7], v[12:13]
	v_cmp_class_f64_e64 s2, v[12:13], 0x204
	v_cmp_neq_f64_e64 s1, v[10:11], v[14:15]
	v_cndmask_b32_e64 v10, 0x7ff00000, 0, s4
	v_cmp_neq_f64_e64 s4, |v[4:5]|, 1.0
	v_cndmask_b32_e64 v7, v7, v13, s2
	v_cndmask_b32_e64 v6, v6, v12, s2
	v_cmp_gt_f64_e64 s2, 0, v[2:3]
	v_cndmask_b32_e32 v9, 0, v6, vcc_lo
	s_and_b32 s1, vcc_lo, s1
	v_cndmask_b32_e64 v8, 0x3ff00000, v5, s1
	v_cndmask_b32_e64 v10, 0x3ff00000, v10, s4
	v_bfi_b32 v7, 0x7fffffff, v7, v8
	v_cndmask_b32_e32 v8, 0x7ff80000, v7, vcc_lo
	v_cmp_gt_f64_e32 vcc_lo, 0, v[4:5]
	s_xor_b32 s2, s2, s3
	v_cndmask_b32_e32 v6, v6, v9, vcc_lo
	v_cndmask_b32_e32 v7, v7, v8, vcc_lo
	v_cmp_class_f64_e64 vcc_lo, v[2:3], 0x204
	v_cndmask_b32_e64 v8, 0x7ff00000, 0, s2
	v_cndmask_b32_e64 v9, 0, v5, s1
	s_or_b32 s1, s3, s7
	v_bfi_b32 v8, 0x7fffffff, v8, v9
	v_cndmask_b32_e32 v7, v7, v10, vcc_lo
	v_cndmask_b32_e64 v7, v7, v8, s1
	s_or_b32 s1, s1, vcc_lo
	v_cmp_o_f64_e32 vcc_lo, v[4:5], v[2:3]
	v_cndmask_b32_e64 v6, v6, 0, s1
	v_mov_b32_e32 v4, 0
	v_cndmask_b32_e32 v2, 0, v6, vcc_lo
	v_cndmask_b32_e32 v3, 0x7ff80000, v7, vcc_lo
	ds_write_b64 v4, v[2:3]
.LBB258_22:
	s_or_b32 exec_lo, exec_lo, s6
	v_mov_b32_e32 v2, 0
	s_waitcnt lgkmcnt(0)
	s_barrier
	buffer_gl0_inv
	ds_read_b64 v[2:3], v2
	s_waitcnt lgkmcnt(0)
	v_cmp_nlt_f64_e32 vcc_lo, s[12:13], v[2:3]
	s_cbranch_vccnz .LBB258_27
; %bb.23:
	s_and_saveexec_b32 s1, s0
	s_cbranch_execz .LBB258_26
; %bb.24:
	s_mov_b32 s2, 0x9abcaf48
	s_mov_b32 s3, 0x3e7ad7f2
	s_and_b32 s0, 0xffff, s5
	v_add_f64 v[2:3], v[2:3], s[2:3]
	s_lshl_b64 s[2:3], s[10:11], 3
	s_mov_b32 s4, 0
	s_add_u32 s2, s8, s2
	s_addc_u32 s3, s9, s3
	v_div_scale_f64 v[4:5], null, v[2:3], v[2:3], s[12:13]
	v_rcp_f64_e32 v[6:7], v[4:5]
	v_fma_f64 v[8:9], -v[4:5], v[6:7], 1.0
	v_fma_f64 v[6:7], v[6:7], v[8:9], v[6:7]
	v_fma_f64 v[8:9], -v[4:5], v[6:7], 1.0
	v_fma_f64 v[6:7], v[6:7], v[8:9], v[6:7]
	v_div_scale_f64 v[8:9], vcc_lo, s[12:13], v[2:3], s[12:13]
	v_mul_f64 v[10:11], v[8:9], v[6:7]
	v_fma_f64 v[4:5], -v[4:5], v[10:11], v[8:9]
	v_div_fmas_f64 v[4:5], v[4:5], v[6:7], v[10:11]
	v_div_fixup_f64 v[2:3], v[4:5], v[2:3], s[12:13]
	v_add_nc_u32_e32 v4, s0, v0
	.p2align	6
.LBB258_25:                             ; =>This Inner Loop Header: Depth=1
	v_mul_lo_u32 v5, v1, s22
	v_mul_lo_u32 v6, v0, s23
	v_mad_u64_u32 v[0:1], null, v0, s22, 0
	v_add3_u32 v1, v1, v6, v5
	v_ashrrev_i32_e32 v5, 31, v4
	v_lshlrev_b64 v[0:1], 3, v[0:1]
	v_add_co_u32 v6, vcc_lo, s2, v0
	v_add_co_ci_u32_e64 v7, null, s3, v1, vcc_lo
	v_cmp_le_i64_e32 vcc_lo, s[16:17], v[4:5]
	global_load_dwordx2 v[0:1], v[6:7], off
	s_or_b32 s4, vcc_lo, s4
	s_waitcnt vmcnt(0)
	v_mul_f64 v[8:9], v[2:3], v[0:1]
	v_mov_b32_e32 v0, v4
	v_mov_b32_e32 v1, v5
	v_add_nc_u32_e32 v4, s0, v4
	global_store_dwordx2 v[6:7], v[8:9], off
	s_andn2_b32 exec_lo, exec_lo, s4
	s_cbranch_execnz .LBB258_25
.LBB258_26:
	s_or_b32 exec_lo, exec_lo, s1
.LBB258_27:
	s_and_b32 vcc_lo, exec_lo, s33
	s_cbranch_vccnz .LBB258_30
.LBB258_28:
	s_endpgm
.LBB258_29:
	s_cbranch_execz .LBB258_28
.LBB258_30:
	s_trap 2
	; divergent unreachable
	s_endpgm
	.section	.rodata,"a",@progbits
	.p2align	6, 0x0
	.amdhsa_kernel _ZN2at6native12_GLOBAL__N_113renorm_kernelIddKlEEvPT_PT1_T0_S8_llllPS3_
		.amdhsa_group_segment_fixed_size 0
		.amdhsa_private_segment_fixed_size 0
		.amdhsa_kernarg_size 328
		.amdhsa_user_sgpr_count 6
		.amdhsa_user_sgpr_private_segment_buffer 1
		.amdhsa_user_sgpr_dispatch_ptr 0
		.amdhsa_user_sgpr_queue_ptr 0
		.amdhsa_user_sgpr_kernarg_segment_ptr 1
		.amdhsa_user_sgpr_dispatch_id 0
		.amdhsa_user_sgpr_flat_scratch_init 0
		.amdhsa_user_sgpr_private_segment_size 0
		.amdhsa_wavefront_size32 1
		.amdhsa_uses_dynamic_stack 0
		.amdhsa_system_sgpr_private_segment_wavefront_offset 0
		.amdhsa_system_sgpr_workgroup_id_x 1
		.amdhsa_system_sgpr_workgroup_id_y 0
		.amdhsa_system_sgpr_workgroup_id_z 0
		.amdhsa_system_sgpr_workgroup_info 0
		.amdhsa_system_vgpr_workitem_id 0
		.amdhsa_next_free_vgpr 31
		.amdhsa_next_free_sgpr 81
		.amdhsa_reserve_vcc 1
		.amdhsa_reserve_flat_scratch 0
		.amdhsa_float_round_mode_32 0
		.amdhsa_float_round_mode_16_64 0
		.amdhsa_float_denorm_mode_32 3
		.amdhsa_float_denorm_mode_16_64 3
		.amdhsa_dx10_clamp 1
		.amdhsa_ieee_mode 1
		.amdhsa_fp16_overflow 0
		.amdhsa_workgroup_processor_mode 1
		.amdhsa_memory_ordered 1
		.amdhsa_forward_progress 1
		.amdhsa_shared_vgpr_count 0
		.amdhsa_exception_fp_ieee_invalid_op 0
		.amdhsa_exception_fp_denorm_src 0
		.amdhsa_exception_fp_ieee_div_zero 0
		.amdhsa_exception_fp_ieee_overflow 0
		.amdhsa_exception_fp_ieee_underflow 0
		.amdhsa_exception_fp_ieee_inexact 0
		.amdhsa_exception_int_div_zero 0
	.end_amdhsa_kernel
	.section	.text._ZN2at6native12_GLOBAL__N_113renorm_kernelIddKlEEvPT_PT1_T0_S8_llllPS3_,"axG",@progbits,_ZN2at6native12_GLOBAL__N_113renorm_kernelIddKlEEvPT_PT1_T0_S8_llllPS3_,comdat
.Lfunc_end258:
	.size	_ZN2at6native12_GLOBAL__N_113renorm_kernelIddKlEEvPT_PT1_T0_S8_llllPS3_, .Lfunc_end258-_ZN2at6native12_GLOBAL__N_113renorm_kernelIddKlEEvPT_PT1_T0_S8_llllPS3_
                                        ; -- End function
	.set _ZN2at6native12_GLOBAL__N_113renorm_kernelIddKlEEvPT_PT1_T0_S8_llllPS3_.num_vgpr, 31
	.set _ZN2at6native12_GLOBAL__N_113renorm_kernelIddKlEEvPT_PT1_T0_S8_llllPS3_.num_agpr, 0
	.set _ZN2at6native12_GLOBAL__N_113renorm_kernelIddKlEEvPT_PT1_T0_S8_llllPS3_.numbered_sgpr, 81
	.set _ZN2at6native12_GLOBAL__N_113renorm_kernelIddKlEEvPT_PT1_T0_S8_llllPS3_.num_named_barrier, 0
	.set _ZN2at6native12_GLOBAL__N_113renorm_kernelIddKlEEvPT_PT1_T0_S8_llllPS3_.private_seg_size, 0
	.set _ZN2at6native12_GLOBAL__N_113renorm_kernelIddKlEEvPT_PT1_T0_S8_llllPS3_.uses_vcc, 1
	.set _ZN2at6native12_GLOBAL__N_113renorm_kernelIddKlEEvPT_PT1_T0_S8_llllPS3_.uses_flat_scratch, 0
	.set _ZN2at6native12_GLOBAL__N_113renorm_kernelIddKlEEvPT_PT1_T0_S8_llllPS3_.has_dyn_sized_stack, 0
	.set _ZN2at6native12_GLOBAL__N_113renorm_kernelIddKlEEvPT_PT1_T0_S8_llllPS3_.has_recursion, 0
	.set _ZN2at6native12_GLOBAL__N_113renorm_kernelIddKlEEvPT_PT1_T0_S8_llllPS3_.has_indirect_call, 0
	.section	.AMDGPU.csdata,"",@progbits
; Kernel info:
; codeLenInByte = 5200
; TotalNumSgprs: 83
; NumVgprs: 31
; ScratchSize: 0
; MemoryBound: 0
; FloatMode: 240
; IeeeMode: 1
; LDSByteSize: 0 bytes/workgroup (compile time only)
; SGPRBlocks: 0
; VGPRBlocks: 3
; NumSGPRsForWavesPerEU: 83
; NumVGPRsForWavesPerEU: 31
; Occupancy: 16
; WaveLimiterHint : 1
; COMPUTE_PGM_RSRC2:SCRATCH_EN: 0
; COMPUTE_PGM_RSRC2:USER_SGPR: 6
; COMPUTE_PGM_RSRC2:TRAP_HANDLER: 0
; COMPUTE_PGM_RSRC2:TGID_X_EN: 1
; COMPUTE_PGM_RSRC2:TGID_Y_EN: 0
; COMPUTE_PGM_RSRC2:TGID_Z_EN: 0
; COMPUTE_PGM_RSRC2:TIDIG_COMP_CNT: 0
	.section	.text._ZN2at6native12_GLOBAL__N_113renorm_kernelIffKlEEvPT_PT1_T0_S8_llllPS3_,"axG",@progbits,_ZN2at6native12_GLOBAL__N_113renorm_kernelIffKlEEvPT_PT1_T0_S8_llllPS3_,comdat
	.globl	_ZN2at6native12_GLOBAL__N_113renorm_kernelIffKlEEvPT_PT1_T0_S8_llllPS3_ ; -- Begin function _ZN2at6native12_GLOBAL__N_113renorm_kernelIffKlEEvPT_PT1_T0_S8_llllPS3_
	.p2align	8
	.type	_ZN2at6native12_GLOBAL__N_113renorm_kernelIffKlEEvPT_PT1_T0_S8_llllPS3_,@function
_ZN2at6native12_GLOBAL__N_113renorm_kernelIffKlEEvPT_PT1_T0_S8_llllPS3_: ; @_ZN2at6native12_GLOBAL__N_113renorm_kernelIffKlEEvPT_PT1_T0_S8_llllPS3_
; %bb.0:
	s_load_dwordx2 s[0:1], s[4:5], 0x38
	s_mov_b32 s7, 0
	s_waitcnt lgkmcnt(0)
	s_load_dwordx2 s[0:1], s[0:1], 0x0
	s_waitcnt lgkmcnt(0)
	v_cmp_le_i64_e64 s0, s[0:1], s[6:7]
	s_and_b32 vcc_lo, exec_lo, s0
	s_cbranch_vccnz .LBB259_28
; %bb.1:
	s_load_dwordx4 s[16:19], s[4:5], 0x0
	s_lshl_b64 s[0:1], s[6:7], 3
	s_waitcnt lgkmcnt(0)
	s_add_u32 s0, s18, s0
	s_addc_u32 s1, s19, s1
	s_load_dwordx2 s[2:3], s[0:1], 0x0
	s_waitcnt lgkmcnt(0)
	v_cmp_lt_i64_e64 s0, s[2:3], 0
	s_and_b32 vcc_lo, exec_lo, s0
	s_cbranch_vccnz .LBB259_29
; %bb.2:
	s_load_dwordx8 s[8:15], s[4:5], 0x18
	s_getpc_b64 s[0:1]
	s_add_u32 s0, s0, .str.4@rel32@lo+4
	s_addc_u32 s1, s1, .str.4@rel32@hi+12
	s_cmp_eq_u64 s[0:1], 0
	s_cselect_b32 s0, -1, 0
	s_waitcnt lgkmcnt(0)
	v_cmp_ge_i64_e64 s6, s[2:3], s[10:11]
	s_or_b32 s18, s6, s0
	s_andn2_b32 vcc_lo, exec_lo, s18
	s_cbranch_vccz .LBB259_27
; %bb.3:
	s_load_dwordx2 s[6:7], s[4:5], 0x10
	v_mov_b32_e32 v1, 0
	s_mul_i32 s0, s2, s13
	s_mul_hi_u32 s1, s2, s12
	s_mul_i32 s3, s3, s12
	s_add_i32 s1, s1, s0
	v_cmp_gt_i64_e64 s0, s[8:9], v[0:1]
	v_mov_b32_e32 v5, v1
	s_add_i32 s11, s1, s3
	s_mul_i32 s10, s2, s12
	s_and_saveexec_b32 s12, s0
	s_cbranch_execz .LBB259_13
; %bb.4:
	s_load_dword s1, s[4:5], 0x4c
	s_lshl_b64 s[2:3], s[10:11], 2
	v_mov_b32_e32 v4, v1
	s_add_u32 s20, s16, s2
	s_addc_u32 s21, s17, s3
	s_waitcnt lgkmcnt(0)
	v_cmp_neq_f32_e64 s13, s7, 1.0
	v_cmp_neq_f32_e64 s19, s7, 2.0
	v_mov_b32_e32 v5, 0
	v_mov_b32_e32 v3, v0
	s_mov_b32 s23, 0
	s_mov_b32 s24, 0x3e76c4e1
	s_and_b32 s22, s1, 0xffff
	v_add_nc_u32_e32 v2, s22, v0
	s_branch .LBB259_7
.LBB259_5:                              ;   in Loop: Header=BB259_7 Depth=1
	s_waitcnt vmcnt(0)
	v_and_b32_e32 v4, 0x7fffffff, v3
.LBB259_6:                              ;   in Loop: Header=BB259_7 Depth=1
	s_waitcnt vmcnt(0)
	v_ashrrev_i32_e32 v3, 31, v2
	v_add_f32_e32 v5, v5, v4
	v_cmp_le_i64_e32 vcc_lo, s[8:9], v[2:3]
	v_mov_b32_e32 v4, v3
	v_mov_b32_e32 v3, v2
	v_add_nc_u32_e32 v2, s22, v2
	s_or_b32 s23, vcc_lo, s23
	s_andn2_b32 exec_lo, exec_lo, s23
	s_cbranch_execz .LBB259_12
.LBB259_7:                              ; =>This Inner Loop Header: Depth=1
	v_mul_lo_u32 v6, v4, s14
	v_mul_lo_u32 v7, v3, s15
	v_mad_u64_u32 v[3:4], null, v3, s14, 0
	v_add3_u32 v4, v4, v7, v6
	v_lshlrev_b64 v[3:4], 2, v[3:4]
	v_add_co_u32 v3, vcc_lo, s20, v3
	v_add_co_ci_u32_e64 v4, null, s21, v4, vcc_lo
	s_and_b32 vcc_lo, exec_lo, s13
	global_load_dword v3, v[3:4], off
	s_cbranch_vccz .LBB259_5
; %bb.8:                                ;   in Loop: Header=BB259_7 Depth=1
	s_and_b32 vcc_lo, exec_lo, s19
	s_cbranch_vccz .LBB259_10
; %bb.9:                                ;   in Loop: Header=BB259_7 Depth=1
	s_waitcnt vmcnt(0)
	v_cmp_neq_f32_e32 vcc_lo, 1.0, v3
	v_cndmask_b32_e64 v4, 1.0, s7, vcc_lo
	v_cmp_neq_f32_e32 vcc_lo, 0, v4
	v_cmp_neq_f32_e64 s25, v4, |v4|
	v_cndmask_b32_e32 v8, 1.0, v3, vcc_lo
	v_frexp_mant_f32_e64 v6, |v8|
	v_cmp_lt_f32_e64 s26, |v8|, 1.0
	v_cmp_eq_f32_e64 s3, 0, v8
	v_cmp_gt_f32_e32 vcc_lo, 0x3f2aaaab, v6
	s_xor_b32 s25, s25, s26
	v_cndmask_b32_e64 v7, 1.0, 2.0, vcc_lo
	v_mul_f32_e32 v6, v6, v7
	v_add_f32_e32 v7, 1.0, v6
	v_add_f32_e32 v10, -1.0, v6
	v_rcp_f32_e32 v9, v7
	v_add_f32_e32 v12, -1.0, v7
	v_sub_f32_e32 v6, v6, v12
	v_mul_f32_e32 v11, v10, v9
	v_mul_f32_e32 v13, v7, v11
	v_fma_f32 v7, v11, v7, -v13
	v_fmac_f32_e32 v7, v11, v6
	v_add_f32_e32 v6, v13, v7
	v_sub_f32_e32 v12, v10, v6
	v_sub_f32_e32 v13, v6, v13
	;; [unrolled: 1-line block ×5, first 2 shown]
	v_add_f32_e32 v6, v7, v6
	v_add_f32_e32 v6, v12, v6
	v_mul_f32_e32 v6, v9, v6
	v_add_f32_e32 v9, v11, v6
	v_sub_f32_e32 v7, v9, v11
	v_mul_f32_e32 v10, v9, v9
	v_sub_f32_e32 v11, v6, v7
	v_fma_f32 v6, v9, v9, -v10
	v_add_f32_e32 v7, v11, v11
	v_fmac_f32_e32 v6, v9, v7
	v_add_f32_e32 v12, v10, v6
	v_fmaak_f32 v7, s24, v12, 0x3e91f4c4
	v_sub_f32_e32 v10, v12, v10
	v_mul_f32_e32 v17, v9, v12
	v_fmaak_f32 v7, v12, v7, 0x3ecccdef
	v_sub_f32_e32 v10, v6, v10
	v_fma_f32 v18, v12, v9, -v17
	v_mul_f32_e32 v13, v12, v7
	v_fmac_f32_e32 v18, v12, v11
	v_ldexp_f32 v11, v11, 1
	v_fma_f32 v14, v12, v7, -v13
	v_fmac_f32_e32 v18, v10, v9
	v_fmac_f32_e32 v14, v10, v7
	v_cvt_f64_f32_e64 v[6:7], |v8|
	v_add_f32_e32 v15, v13, v14
	v_sub_f32_e32 v13, v15, v13
	v_add_f32_e32 v16, 0x3f2aaaaa, v15
	v_sub_f32_e32 v13, v14, v13
	v_add_f32_e32 v14, 0xbf2aaaaa, v16
	v_add_f32_e32 v13, 0x31739010, v13
	v_sub_f32_e32 v14, v15, v14
	v_frexp_exp_i32_f64_e32 v6, v[6:7]
	v_add_f32_e32 v12, v13, v14
	v_add_f32_e32 v13, v17, v18
	;; [unrolled: 1-line block ×3, first 2 shown]
	v_sub_f32_e32 v15, v13, v17
	v_sub_f32_e32 v7, v16, v10
	v_mul_f32_e32 v14, v13, v10
	v_sub_f32_e32 v15, v18, v15
	v_add_f32_e32 v7, v12, v7
	v_fma_f32 v12, v13, v10, -v14
	v_subrev_co_ci_u32_e64 v6, null, 0, v6, vcc_lo
	v_fmac_f32_e32 v12, v13, v7
	v_ldexp_f32 v7, v9, 1
	v_cvt_f32_i32_e32 v6, v6
	v_fmac_f32_e32 v12, v15, v10
	v_add_f32_e32 v9, v14, v12
	v_add_f32_e32 v10, v7, v9
	v_sub_f32_e32 v13, v9, v14
	v_mul_f32_e32 v14, 0x3f317218, v6
	v_sub_f32_e32 v7, v10, v7
	v_sub_f32_e32 v12, v12, v13
	v_fma_f32 v13, 0x3f317218, v6, -v14
	v_sub_f32_e32 v7, v9, v7
	v_add_f32_e32 v9, v11, v12
	v_fmac_f32_e32 v13, 0xb102e308, v6
	v_add_f32_e32 v6, v9, v7
	v_add_f32_e32 v7, v14, v13
	;; [unrolled: 1-line block ×3, first 2 shown]
	v_sub_f32_e32 v14, v7, v14
	v_add_f32_e32 v11, v7, v9
	v_sub_f32_e32 v10, v9, v10
	v_sub_f32_e32 v13, v13, v14
	;; [unrolled: 1-line block ×6, first 2 shown]
	v_add_f32_e32 v10, v13, v6
	v_sub_f32_e32 v7, v7, v15
	v_add_f32_e32 v7, v9, v7
	v_sub_f32_e32 v9, v10, v13
	;; [unrolled: 2-line block ×3, first 2 shown]
	v_sub_f32_e32 v6, v6, v9
	v_add_f32_e32 v12, v11, v7
	v_sub_f32_e32 v9, v13, v10
	v_sub_f32_e32 v10, v12, v11
	v_add_f32_e32 v6, v6, v9
	v_sub_f32_e32 v7, v7, v10
	v_add_f32_e32 v6, v6, v7
	v_add_f32_e32 v7, v12, v6
	v_sub_f32_e32 v9, v7, v12
	v_mul_f32_e32 v10, v4, v7
	v_sub_f32_e32 v6, v6, v9
	v_fma_f32 v7, v4, v7, -v10
	v_cmp_class_f32_e64 vcc_lo, v10, 0x204
	v_fmac_f32_e32 v7, v4, v6
	v_add_f32_e32 v6, v10, v7
	v_cndmask_b32_e32 v9, v6, v10, vcc_lo
	v_sub_f32_e32 v6, v6, v10
	v_cmp_eq_f32_e32 vcc_lo, 0x42b17218, v9
	v_sub_f32_e32 v6, v7, v6
	v_cndmask_b32_e64 v11, 0, 0x37000000, vcc_lo
	v_cmp_neq_f32_e64 vcc_lo, 0x7f800000, |v9|
	v_sub_f32_e32 v12, v9, v11
	v_cndmask_b32_e32 v6, 0, v6, vcc_lo
	v_trunc_f32_e32 v9, v4
	v_mul_f32_e32 v13, 0x3fb8aa3b, v12
	v_cmp_ngt_f32_e32 vcc_lo, 0xc2ce8ed0, v12
	v_add_f32_e32 v6, v11, v6
	v_fma_f32 v14, 0x3fb8aa3b, v12, -v13
	v_rndne_f32_e32 v15, v13
	v_fmac_f32_e32 v14, 0x32a5705f, v12
	v_sub_f32_e32 v13, v13, v15
	v_cvt_i32_f32_e32 v10, v15
	v_add_f32_e32 v13, v13, v14
	v_exp_f32_e32 v13, v13
	v_ldexp_f32 v7, v13, v10
	v_mul_f32_e32 v10, 0.5, v4
	v_cndmask_b32_e32 v7, 0, v7, vcc_lo
	v_cmp_nlt_f32_e32 vcc_lo, 0x42b17218, v12
	v_trunc_f32_e32 v13, v10
	v_cndmask_b32_e32 v7, 0x7f800000, v7, vcc_lo
	v_cmp_eq_f32_e32 vcc_lo, v9, v4
	v_cmp_neq_f32_e64 s1, v13, v10
	v_fma_f32 v6, v7, v6, v7
	v_cmp_class_f32_e64 s2, v7, 0x204
	s_and_b32 s1, vcc_lo, s1
	v_cndmask_b32_e64 v9, 1.0, v8, s1
	v_cndmask_b32_e64 v6, v6, v7, s2
	v_cndmask_b32_e64 v7, 0x7f800000, 0, s25
	v_cmp_gt_f32_e64 s2, 0, v4
	v_bfi_b32 v6, 0x7fffffff, v6, v9
	s_xor_b32 s2, s2, s3
	v_cndmask_b32_e64 v10, 0x7f800000, 0, s2
	v_cndmask_b32_e32 v9, 0x7fc00000, v6, vcc_lo
	v_cmp_neq_f32_e64 vcc_lo, |v8|, 1.0
	v_cndmask_b32_e32 v7, 1.0, v7, vcc_lo
	v_cmp_gt_f32_e32 vcc_lo, 0, v8
	v_cndmask_b32_e32 v6, v6, v9, vcc_lo
	v_cndmask_b32_e64 v9, 0, v8, s1
	v_cmp_class_f32_e64 vcc_lo, v4, 0x204
	v_cmp_class_f32_e64 s1, v8, 0x204
	v_cndmask_b32_e32 v6, v6, v7, vcc_lo
	v_bfi_b32 v7, 0x7fffffff, v10, v9
	s_or_b32 vcc_lo, s3, s1
	v_cndmask_b32_e32 v6, v6, v7, vcc_lo
	v_cmp_o_f32_e32 vcc_lo, v8, v4
	v_cndmask_b32_e32 v4, 0x7fc00000, v6, vcc_lo
	s_cbranch_execnz .LBB259_6
	s_branch .LBB259_11
.LBB259_10:                             ;   in Loop: Header=BB259_7 Depth=1
                                        ; implicit-def: $vgpr4
.LBB259_11:                             ;   in Loop: Header=BB259_7 Depth=1
	s_waitcnt vmcnt(0)
	v_mul_f32_e32 v4, v3, v3
	s_branch .LBB259_6
.LBB259_12:
	s_or_b32 exec_lo, exec_lo, s23
.LBB259_13:
	s_or_b32 exec_lo, exec_lo, s12
; %bb.14:
	v_mbcnt_lo_u32_b32 v6, -1, 0
	s_mov_b32 s1, exec_lo
	s_waitcnt lgkmcnt(0)
	s_barrier
	buffer_gl0_inv
	v_lshl_or_b32 v2, v6, 2, 64
	v_cmp_gt_u32_e32 vcc_lo, 24, v6
	ds_bpermute_b32 v4, v2, v5
	v_cndmask_b32_e64 v3, 0, 8, vcc_lo
	v_cmp_gt_u32_e32 vcc_lo, 28, v6
	v_add_lshl_u32 v3, v3, v6, 2
	s_waitcnt lgkmcnt(0)
	v_add_f32_e32 v5, v5, v4
	v_cndmask_b32_e64 v4, 0, 4, vcc_lo
	v_cmp_gt_u32_e32 vcc_lo, 30, v6
	ds_bpermute_b32 v7, v3, v5
	v_add_lshl_u32 v4, v4, v6, 2
	s_waitcnt lgkmcnt(0)
	v_add_f32_e32 v7, v5, v7
	v_cndmask_b32_e64 v5, 0, 2, vcc_lo
	v_cmp_ne_u32_e32 vcc_lo, 31, v6
	ds_bpermute_b32 v8, v4, v7
	v_add_lshl_u32 v5, v5, v6, 2
	v_add_co_ci_u32_e64 v6, null, 0, v6, vcc_lo
	v_lshlrev_b32_e32 v6, 2, v6
	s_waitcnt lgkmcnt(0)
	v_add_f32_e32 v7, v7, v8
	ds_bpermute_b32 v8, v5, v7
	s_waitcnt lgkmcnt(0)
	v_add_f32_e32 v7, v7, v8
	v_and_b32_e32 v8, 31, v0
	ds_bpermute_b32 v9, v6, v7
	v_cmpx_eq_u32_e32 0, v8
	s_cbranch_execz .LBB259_16
; %bb.15:
	v_lshrrev_b32_e32 v10, 3, v0
	s_waitcnt lgkmcnt(0)
	v_add_f32_e32 v7, v7, v9
	v_add_nc_u32_e32 v9, 0, v10
	ds_write_b32 v9, v7
.LBB259_16:
	s_or_b32 exec_lo, exec_lo, s1
	s_waitcnt lgkmcnt(0)
	s_barrier
	buffer_gl0_inv
	s_load_dword s4, s[4:5], 0x4c
	v_mov_b32_e32 v7, 0
	s_waitcnt lgkmcnt(0)
	s_bfe_u32 s1, s4, 0xb0005
	v_cmp_gt_u32_e32 vcc_lo, s1, v0
	s_and_saveexec_b32 s1, vcc_lo
; %bb.17:
	v_lshl_add_u32 v7, v8, 2, 0
	ds_read_b32 v7, v7
; %bb.18:
	s_or_b32 exec_lo, exec_lo, s1
	s_mov_b32 s1, exec_lo
	v_cmpx_gt_u32_e32 32, v0
	s_cbranch_execz .LBB259_20
; %bb.19:
	s_waitcnt lgkmcnt(0)
	ds_bpermute_b32 v2, v2, v7
	s_waitcnt lgkmcnt(0)
	v_add_f32_e32 v2, v7, v2
	ds_bpermute_b32 v3, v3, v2
	s_waitcnt lgkmcnt(0)
	v_add_f32_e32 v2, v2, v3
	;; [unrolled: 3-line block ×5, first 2 shown]
.LBB259_20:
	s_or_b32 exec_lo, exec_lo, s1
	s_mov_b32 s5, exec_lo
	v_cmpx_eq_u32_e32 0, v0
	s_cbranch_execz .LBB259_22
; %bb.21:
	v_div_scale_f32 v2, null, s7, s7, 1.0
	v_div_scale_f32 v5, vcc_lo, 1.0, s7, 1.0
	s_mov_b32 s1, 0x3e76c4e1
	v_rcp_f32_e32 v3, v2
	v_fma_f32 v4, -v2, v3, 1.0
	v_fmac_f32_e32 v3, v4, v3
	v_mul_f32_e32 v4, v5, v3
	v_fma_f32 v6, -v2, v4, v5
	v_fmac_f32_e32 v4, v6, v3
	v_fma_f32 v2, -v2, v4, v5
	v_div_fmas_f32 v2, v2, v3, v4
	s_waitcnt lgkmcnt(0)
	v_cmp_neq_f32_e32 vcc_lo, 1.0, v7
	v_div_fixup_f32 v2, v2, s7, 1.0
	v_cndmask_b32_e32 v4, 1.0, v2, vcc_lo
	v_cmp_neq_f32_e32 vcc_lo, 0, v4
	v_cmp_neq_f32_e64 s7, v4, |v4|
	v_cndmask_b32_e32 v5, 1.0, v7, vcc_lo
	v_frexp_mant_f32_e64 v2, |v5|
	v_cmp_lt_f32_e64 s12, |v5|, 1.0
	v_cmp_eq_f32_e64 s3, 0, v5
	v_cmp_gt_f32_e32 vcc_lo, 0x3f2aaaab, v2
	s_xor_b32 s7, s7, s12
	v_cndmask_b32_e64 v3, 1.0, 2.0, vcc_lo
	v_mul_f32_e32 v2, v2, v3
	v_add_f32_e32 v3, 1.0, v2
	v_add_f32_e32 v7, -1.0, v2
	v_rcp_f32_e32 v6, v3
	v_add_f32_e32 v9, -1.0, v3
	v_sub_f32_e32 v2, v2, v9
	v_mul_f32_e32 v8, v7, v6
	v_mul_f32_e32 v10, v3, v8
	v_fma_f32 v3, v8, v3, -v10
	v_fmac_f32_e32 v3, v8, v2
	v_add_f32_e32 v2, v10, v3
	v_sub_f32_e32 v9, v7, v2
	v_sub_f32_e32 v10, v2, v10
	;; [unrolled: 1-line block ×5, first 2 shown]
	v_add_f32_e32 v2, v3, v2
	v_add_f32_e32 v2, v9, v2
	v_mul_f32_e32 v2, v6, v2
	v_add_f32_e32 v6, v8, v2
	v_sub_f32_e32 v3, v6, v8
	v_mul_f32_e32 v7, v6, v6
	v_sub_f32_e32 v8, v2, v3
	v_fma_f32 v2, v6, v6, -v7
	v_add_f32_e32 v3, v8, v8
	v_fmac_f32_e32 v2, v6, v3
	v_add_f32_e32 v9, v7, v2
	v_fmaak_f32 v3, s1, v9, 0x3e91f4c4
	v_sub_f32_e32 v7, v9, v7
	v_mul_f32_e32 v14, v6, v9
	v_fmaak_f32 v3, v9, v3, 0x3ecccdef
	v_sub_f32_e32 v7, v2, v7
	v_fma_f32 v15, v9, v6, -v14
	v_mul_f32_e32 v10, v9, v3
	v_fmac_f32_e32 v15, v9, v8
	v_ldexp_f32 v8, v8, 1
	v_fma_f32 v11, v9, v3, -v10
	v_fmac_f32_e32 v15, v7, v6
	v_fmac_f32_e32 v11, v7, v3
	v_cvt_f64_f32_e64 v[2:3], |v5|
	v_add_f32_e32 v12, v10, v11
	v_sub_f32_e32 v10, v12, v10
	v_add_f32_e32 v13, 0x3f2aaaaa, v12
	v_sub_f32_e32 v10, v11, v10
	v_add_f32_e32 v11, 0xbf2aaaaa, v13
	v_add_f32_e32 v10, 0x31739010, v10
	v_sub_f32_e32 v11, v12, v11
	v_frexp_exp_i32_f64_e32 v2, v[2:3]
	v_add_f32_e32 v9, v10, v11
	v_add_f32_e32 v10, v14, v15
	;; [unrolled: 1-line block ×3, first 2 shown]
	v_sub_f32_e32 v12, v10, v14
	v_sub_f32_e32 v3, v13, v7
	v_mul_f32_e32 v11, v10, v7
	v_sub_f32_e32 v12, v15, v12
	v_add_f32_e32 v3, v9, v3
	v_fma_f32 v9, v10, v7, -v11
	v_subrev_co_ci_u32_e64 v2, null, 0, v2, vcc_lo
	v_fmac_f32_e32 v9, v10, v3
	v_ldexp_f32 v3, v6, 1
	v_cvt_f32_i32_e32 v2, v2
	v_fmac_f32_e32 v9, v12, v7
	v_add_f32_e32 v6, v11, v9
	v_add_f32_e32 v7, v3, v6
	v_sub_f32_e32 v10, v6, v11
	v_mul_f32_e32 v11, 0x3f317218, v2
	v_sub_f32_e32 v3, v7, v3
	v_sub_f32_e32 v9, v9, v10
	v_fma_f32 v10, 0x3f317218, v2, -v11
	v_sub_f32_e32 v3, v6, v3
	v_add_f32_e32 v6, v8, v9
	v_fmamk_f32 v2, v2, 0xb102e308, v10
	v_add_f32_e32 v3, v6, v3
	v_add_f32_e32 v6, v11, v2
	;; [unrolled: 1-line block ×3, first 2 shown]
	v_sub_f32_e32 v11, v6, v11
	v_add_f32_e32 v9, v6, v8
	v_sub_f32_e32 v7, v8, v7
	v_sub_f32_e32 v2, v2, v11
	;; [unrolled: 1-line block ×6, first 2 shown]
	v_add_f32_e32 v8, v2, v3
	v_sub_f32_e32 v6, v6, v12
	v_add_f32_e32 v6, v7, v6
	v_sub_f32_e32 v7, v8, v2
	;; [unrolled: 2-line block ×3, first 2 shown]
	v_sub_f32_e32 v3, v3, v7
	v_add_f32_e32 v10, v9, v6
	v_sub_f32_e32 v2, v2, v8
	v_sub_f32_e32 v7, v10, v9
	v_add_f32_e32 v2, v3, v2
	v_sub_f32_e32 v3, v6, v7
	v_add_f32_e32 v2, v2, v3
	v_add_f32_e32 v3, v10, v2
	v_sub_f32_e32 v6, v3, v10
	v_mul_f32_e32 v7, v4, v3
	v_sub_f32_e32 v2, v2, v6
	v_fma_f32 v3, v4, v3, -v7
	v_cmp_class_f32_e64 vcc_lo, v7, 0x204
	v_fmac_f32_e32 v3, v4, v2
	v_add_f32_e32 v2, v7, v3
	v_cndmask_b32_e32 v6, v2, v7, vcc_lo
	v_sub_f32_e32 v2, v2, v7
	v_cmp_eq_f32_e32 vcc_lo, 0x42b17218, v6
	v_sub_f32_e32 v2, v3, v2
	v_cndmask_b32_e64 v8, 0, 0x37000000, vcc_lo
	v_cmp_neq_f32_e64 vcc_lo, 0x7f800000, |v6|
	v_sub_f32_e32 v9, v6, v8
	v_cndmask_b32_e32 v2, 0, v2, vcc_lo
	v_trunc_f32_e32 v6, v4
	v_mul_f32_e32 v10, 0x3fb8aa3b, v9
	v_cmp_ngt_f32_e32 vcc_lo, 0xc2ce8ed0, v9
	v_add_f32_e32 v2, v8, v2
	v_fma_f32 v11, 0x3fb8aa3b, v9, -v10
	v_rndne_f32_e32 v12, v10
	v_fmamk_f32 v11, v9, 0x32a5705f, v11
	v_sub_f32_e32 v10, v10, v12
	v_cvt_i32_f32_e32 v7, v12
	v_add_f32_e32 v10, v10, v11
	v_exp_f32_e32 v10, v10
	v_ldexp_f32 v3, v10, v7
	v_mul_f32_e32 v7, 0.5, v4
	v_cndmask_b32_e32 v3, 0, v3, vcc_lo
	v_cmp_nlt_f32_e32 vcc_lo, 0x42b17218, v9
	v_trunc_f32_e32 v10, v7
	v_cndmask_b32_e32 v3, 0x7f800000, v3, vcc_lo
	v_cmp_eq_f32_e32 vcc_lo, v6, v4
	v_cmp_neq_f32_e64 s1, v10, v7
	v_fma_f32 v2, v3, v2, v3
	v_cmp_class_f32_e64 s2, v3, 0x204
	s_and_b32 s1, vcc_lo, s1
	v_cndmask_b32_e64 v6, 1.0, v5, s1
	v_cndmask_b32_e64 v8, 0, v5, s1
	v_cndmask_b32_e64 v2, v2, v3, s2
	;; [unrolled: 1-line block ×3, first 2 shown]
	v_cmp_gt_f32_e64 s2, 0, v4
	v_cmp_class_f32_e64 s1, v5, 0x204
	v_bfi_b32 v2, 0x7fffffff, v2, v6
	s_xor_b32 s2, s2, s3
	v_cndmask_b32_e64 v6, 0x7f800000, 0, s2
	v_cndmask_b32_e32 v7, 0x7fc00000, v2, vcc_lo
	v_cmp_neq_f32_e64 vcc_lo, |v5|, 1.0
	v_bfi_b32 v6, 0x7fffffff, v6, v8
	v_cndmask_b32_e32 v3, 1.0, v3, vcc_lo
	v_cmp_gt_f32_e32 vcc_lo, 0, v5
	v_cndmask_b32_e32 v2, v2, v7, vcc_lo
	v_cmp_class_f32_e64 vcc_lo, v4, 0x204
	v_cndmask_b32_e32 v2, v2, v3, vcc_lo
	s_or_b32 vcc_lo, s3, s1
	v_mov_b32_e32 v3, 0
	v_cndmask_b32_e32 v2, v2, v6, vcc_lo
	v_cmp_o_f32_e32 vcc_lo, v5, v4
	v_cndmask_b32_e32 v2, 0x7fc00000, v2, vcc_lo
	ds_write_b32 v3, v2
.LBB259_22:
	s_or_b32 exec_lo, exec_lo, s5
	v_mov_b32_e32 v2, 0
	s_waitcnt lgkmcnt(0)
	s_barrier
	buffer_gl0_inv
	ds_read_b32 v2, v2
	s_waitcnt lgkmcnt(0)
	v_cmp_nlt_f32_e32 vcc_lo, s6, v2
	s_cbranch_vccnz .LBB259_27
; %bb.23:
	s_and_saveexec_b32 s1, s0
	s_cbranch_execz .LBB259_26
; %bb.24:
	v_cvt_f64_f32_e32 v[2:3], v2
	s_mov_b32 s2, 0x9abcaf48
	s_mov_b32 s3, 0x3e7ad7f2
	v_cvt_f64_f32_e32 v[4:5], s6
	s_and_b32 s0, 0xffff, s4
	s_mov_b32 s4, 0
	v_add_f64 v[2:3], v[2:3], s[2:3]
	s_lshl_b64 s[2:3], s[10:11], 2
	s_add_u32 s2, s16, s2
	s_addc_u32 s3, s17, s3
	v_div_scale_f64 v[6:7], null, v[2:3], v[2:3], v[4:5]
	v_rcp_f64_e32 v[8:9], v[6:7]
	v_fma_f64 v[10:11], -v[6:7], v[8:9], 1.0
	v_fma_f64 v[8:9], v[8:9], v[10:11], v[8:9]
	v_fma_f64 v[10:11], -v[6:7], v[8:9], 1.0
	v_fma_f64 v[8:9], v[8:9], v[10:11], v[8:9]
	v_div_scale_f64 v[10:11], vcc_lo, v[4:5], v[2:3], v[4:5]
	v_mul_f64 v[12:13], v[10:11], v[8:9]
	v_fma_f64 v[6:7], -v[6:7], v[12:13], v[10:11]
	v_div_fmas_f64 v[6:7], v[6:7], v[8:9], v[12:13]
	v_div_fixup_f64 v[2:3], v[6:7], v[2:3], v[4:5]
	v_cvt_f32_f64_e32 v4, v[2:3]
	v_add_nc_u32_e32 v2, s0, v0
	.p2align	6
.LBB259_25:                             ; =>This Inner Loop Header: Depth=1
	v_mul_lo_u32 v3, v1, s14
	v_mul_lo_u32 v5, v0, s15
	v_mad_u64_u32 v[0:1], null, v0, s14, 0
	v_add3_u32 v1, v1, v5, v3
	v_ashrrev_i32_e32 v3, 31, v2
	v_lshlrev_b64 v[0:1], 2, v[0:1]
	v_add_co_u32 v5, vcc_lo, s2, v0
	v_add_co_ci_u32_e64 v6, null, s3, v1, vcc_lo
	v_cmp_le_i64_e32 vcc_lo, s[8:9], v[2:3]
	v_mov_b32_e32 v0, v2
	v_mov_b32_e32 v1, v3
	global_load_dword v7, v[5:6], off
	v_add_nc_u32_e32 v2, s0, v2
	s_or_b32 s4, vcc_lo, s4
	s_waitcnt vmcnt(0)
	v_mul_f32_e32 v3, v7, v4
	global_store_dword v[5:6], v3, off
	s_andn2_b32 exec_lo, exec_lo, s4
	s_cbranch_execnz .LBB259_25
.LBB259_26:
	s_or_b32 exec_lo, exec_lo, s1
.LBB259_27:
	s_and_b32 vcc_lo, exec_lo, s18
	s_cbranch_vccnz .LBB259_30
.LBB259_28:
	s_endpgm
.LBB259_29:
	s_cbranch_execz .LBB259_28
.LBB259_30:
	s_trap 2
	; divergent unreachable
	s_endpgm
	.section	.rodata,"a",@progbits
	.p2align	6, 0x0
	.amdhsa_kernel _ZN2at6native12_GLOBAL__N_113renorm_kernelIffKlEEvPT_PT1_T0_S8_llllPS3_
		.amdhsa_group_segment_fixed_size 0
		.amdhsa_private_segment_fixed_size 0
		.amdhsa_kernarg_size 320
		.amdhsa_user_sgpr_count 6
		.amdhsa_user_sgpr_private_segment_buffer 1
		.amdhsa_user_sgpr_dispatch_ptr 0
		.amdhsa_user_sgpr_queue_ptr 0
		.amdhsa_user_sgpr_kernarg_segment_ptr 1
		.amdhsa_user_sgpr_dispatch_id 0
		.amdhsa_user_sgpr_flat_scratch_init 0
		.amdhsa_user_sgpr_private_segment_size 0
		.amdhsa_wavefront_size32 1
		.amdhsa_uses_dynamic_stack 0
		.amdhsa_system_sgpr_private_segment_wavefront_offset 0
		.amdhsa_system_sgpr_workgroup_id_x 1
		.amdhsa_system_sgpr_workgroup_id_y 0
		.amdhsa_system_sgpr_workgroup_id_z 0
		.amdhsa_system_sgpr_workgroup_info 0
		.amdhsa_system_vgpr_workitem_id 0
		.amdhsa_next_free_vgpr 19
		.amdhsa_next_free_sgpr 27
		.amdhsa_reserve_vcc 1
		.amdhsa_reserve_flat_scratch 0
		.amdhsa_float_round_mode_32 0
		.amdhsa_float_round_mode_16_64 0
		.amdhsa_float_denorm_mode_32 3
		.amdhsa_float_denorm_mode_16_64 3
		.amdhsa_dx10_clamp 1
		.amdhsa_ieee_mode 1
		.amdhsa_fp16_overflow 0
		.amdhsa_workgroup_processor_mode 1
		.amdhsa_memory_ordered 1
		.amdhsa_forward_progress 1
		.amdhsa_shared_vgpr_count 0
		.amdhsa_exception_fp_ieee_invalid_op 0
		.amdhsa_exception_fp_denorm_src 0
		.amdhsa_exception_fp_ieee_div_zero 0
		.amdhsa_exception_fp_ieee_overflow 0
		.amdhsa_exception_fp_ieee_underflow 0
		.amdhsa_exception_fp_ieee_inexact 0
		.amdhsa_exception_int_div_zero 0
	.end_amdhsa_kernel
	.section	.text._ZN2at6native12_GLOBAL__N_113renorm_kernelIffKlEEvPT_PT1_T0_S8_llllPS3_,"axG",@progbits,_ZN2at6native12_GLOBAL__N_113renorm_kernelIffKlEEvPT_PT1_T0_S8_llllPS3_,comdat
.Lfunc_end259:
	.size	_ZN2at6native12_GLOBAL__N_113renorm_kernelIffKlEEvPT_PT1_T0_S8_llllPS3_, .Lfunc_end259-_ZN2at6native12_GLOBAL__N_113renorm_kernelIffKlEEvPT_PT1_T0_S8_llllPS3_
                                        ; -- End function
	.set _ZN2at6native12_GLOBAL__N_113renorm_kernelIffKlEEvPT_PT1_T0_S8_llllPS3_.num_vgpr, 19
	.set _ZN2at6native12_GLOBAL__N_113renorm_kernelIffKlEEvPT_PT1_T0_S8_llllPS3_.num_agpr, 0
	.set _ZN2at6native12_GLOBAL__N_113renorm_kernelIffKlEEvPT_PT1_T0_S8_llllPS3_.numbered_sgpr, 27
	.set _ZN2at6native12_GLOBAL__N_113renorm_kernelIffKlEEvPT_PT1_T0_S8_llllPS3_.num_named_barrier, 0
	.set _ZN2at6native12_GLOBAL__N_113renorm_kernelIffKlEEvPT_PT1_T0_S8_llllPS3_.private_seg_size, 0
	.set _ZN2at6native12_GLOBAL__N_113renorm_kernelIffKlEEvPT_PT1_T0_S8_llllPS3_.uses_vcc, 1
	.set _ZN2at6native12_GLOBAL__N_113renorm_kernelIffKlEEvPT_PT1_T0_S8_llllPS3_.uses_flat_scratch, 0
	.set _ZN2at6native12_GLOBAL__N_113renorm_kernelIffKlEEvPT_PT1_T0_S8_llllPS3_.has_dyn_sized_stack, 0
	.set _ZN2at6native12_GLOBAL__N_113renorm_kernelIffKlEEvPT_PT1_T0_S8_llllPS3_.has_recursion, 0
	.set _ZN2at6native12_GLOBAL__N_113renorm_kernelIffKlEEvPT_PT1_T0_S8_llllPS3_.has_indirect_call, 0
	.section	.AMDGPU.csdata,"",@progbits
; Kernel info:
; codeLenInByte = 3148
; TotalNumSgprs: 29
; NumVgprs: 19
; ScratchSize: 0
; MemoryBound: 0
; FloatMode: 240
; IeeeMode: 1
; LDSByteSize: 0 bytes/workgroup (compile time only)
; SGPRBlocks: 0
; VGPRBlocks: 2
; NumSGPRsForWavesPerEU: 29
; NumVGPRsForWavesPerEU: 19
; Occupancy: 16
; WaveLimiterHint : 1
; COMPUTE_PGM_RSRC2:SCRATCH_EN: 0
; COMPUTE_PGM_RSRC2:USER_SGPR: 6
; COMPUTE_PGM_RSRC2:TRAP_HANDLER: 0
; COMPUTE_PGM_RSRC2:TGID_X_EN: 1
; COMPUTE_PGM_RSRC2:TGID_Y_EN: 0
; COMPUTE_PGM_RSRC2:TGID_Z_EN: 0
; COMPUTE_PGM_RSRC2:TIDIG_COMP_CNT: 0
	.section	.text._ZN2at6native12_GLOBAL__N_113renorm_kernelIN3c104HalfEfKlEEvPT_PT1_T0_SA_llllPS5_,"axG",@progbits,_ZN2at6native12_GLOBAL__N_113renorm_kernelIN3c104HalfEfKlEEvPT_PT1_T0_SA_llllPS5_,comdat
	.globl	_ZN2at6native12_GLOBAL__N_113renorm_kernelIN3c104HalfEfKlEEvPT_PT1_T0_SA_llllPS5_ ; -- Begin function _ZN2at6native12_GLOBAL__N_113renorm_kernelIN3c104HalfEfKlEEvPT_PT1_T0_SA_llllPS5_
	.p2align	8
	.type	_ZN2at6native12_GLOBAL__N_113renorm_kernelIN3c104HalfEfKlEEvPT_PT1_T0_SA_llllPS5_,@function
_ZN2at6native12_GLOBAL__N_113renorm_kernelIN3c104HalfEfKlEEvPT_PT1_T0_SA_llllPS5_: ; @_ZN2at6native12_GLOBAL__N_113renorm_kernelIN3c104HalfEfKlEEvPT_PT1_T0_SA_llllPS5_
; %bb.0:
	s_load_dwordx2 s[0:1], s[4:5], 0x38
	s_mov_b32 s7, 0
	s_waitcnt lgkmcnt(0)
	s_load_dwordx2 s[0:1], s[0:1], 0x0
	s_waitcnt lgkmcnt(0)
	v_cmp_le_i64_e64 s0, s[0:1], s[6:7]
	s_and_b32 vcc_lo, exec_lo, s0
	s_cbranch_vccnz .LBB260_28
; %bb.1:
	s_load_dwordx4 s[16:19], s[4:5], 0x0
	s_lshl_b64 s[0:1], s[6:7], 3
	s_waitcnt lgkmcnt(0)
	s_add_u32 s0, s18, s0
	s_addc_u32 s1, s19, s1
	s_load_dwordx2 s[2:3], s[0:1], 0x0
	s_waitcnt lgkmcnt(0)
	v_cmp_lt_i64_e64 s0, s[2:3], 0
	s_and_b32 vcc_lo, exec_lo, s0
	s_cbranch_vccnz .LBB260_29
; %bb.2:
	s_load_dwordx8 s[8:15], s[4:5], 0x18
	s_getpc_b64 s[0:1]
	s_add_u32 s0, s0, .str.4@rel32@lo+4
	s_addc_u32 s1, s1, .str.4@rel32@hi+12
	s_cmp_eq_u64 s[0:1], 0
	s_cselect_b32 s0, -1, 0
	s_waitcnt lgkmcnt(0)
	v_cmp_ge_i64_e64 s6, s[2:3], s[10:11]
	s_or_b32 s18, s6, s0
	s_andn2_b32 vcc_lo, exec_lo, s18
	s_cbranch_vccz .LBB260_27
; %bb.3:
	s_load_dwordx2 s[10:11], s[4:5], 0x10
	v_mov_b32_e32 v1, 0
	s_mul_i32 s0, s2, s13
	s_mul_hi_u32 s1, s2, s12
	s_mul_i32 s3, s3, s12
	s_add_i32 s1, s1, s0
	v_cmp_gt_i64_e64 s0, s[8:9], v[0:1]
	v_mov_b32_e32 v5, v1
	s_add_i32 s7, s1, s3
	s_mul_i32 s6, s2, s12
	s_and_saveexec_b32 s12, s0
	s_cbranch_execz .LBB260_13
; %bb.4:
	s_load_dword s1, s[4:5], 0x4c
	s_lshl_b64 s[2:3], s[6:7], 1
	v_mov_b32_e32 v4, v1
	s_add_u32 s20, s16, s2
	s_addc_u32 s21, s17, s3
	s_waitcnt lgkmcnt(0)
	v_cmp_neq_f32_e64 s13, s11, 1.0
	v_cmp_neq_f32_e64 s19, s11, 2.0
	v_mov_b32_e32 v5, 0
	v_mov_b32_e32 v3, v0
	s_mov_b32 s23, 0
	s_mov_b32 s24, 0x3e76c4e1
	s_and_b32 s22, s1, 0xffff
	v_add_nc_u32_e32 v2, s22, v0
	s_branch .LBB260_7
.LBB260_5:                              ;   in Loop: Header=BB260_7 Depth=1
	v_and_b32_e32 v4, 0x7fffffff, v3
.LBB260_6:                              ;   in Loop: Header=BB260_7 Depth=1
	v_ashrrev_i32_e32 v3, 31, v2
	v_add_f32_e32 v5, v5, v4
	v_cmp_le_i64_e32 vcc_lo, s[8:9], v[2:3]
	v_mov_b32_e32 v4, v3
	v_mov_b32_e32 v3, v2
	v_add_nc_u32_e32 v2, s22, v2
	s_or_b32 s23, vcc_lo, s23
	s_andn2_b32 exec_lo, exec_lo, s23
	s_cbranch_execz .LBB260_12
.LBB260_7:                              ; =>This Inner Loop Header: Depth=1
	v_mul_lo_u32 v6, v4, s14
	v_mul_lo_u32 v7, v3, s15
	v_mad_u64_u32 v[3:4], null, v3, s14, 0
	v_add3_u32 v4, v4, v7, v6
	v_lshlrev_b64 v[3:4], 1, v[3:4]
	v_add_co_u32 v3, vcc_lo, s20, v3
	v_add_co_ci_u32_e64 v4, null, s21, v4, vcc_lo
	s_and_b32 vcc_lo, exec_lo, s13
	global_load_ushort v4, v[3:4], off
	s_waitcnt vmcnt(0)
	v_cvt_f32_f16_e32 v3, v4
	s_cbranch_vccz .LBB260_5
; %bb.8:                                ;   in Loop: Header=BB260_7 Depth=1
	s_and_b32 vcc_lo, exec_lo, s19
	s_cbranch_vccz .LBB260_10
; %bb.9:                                ;   in Loop: Header=BB260_7 Depth=1
	v_cmp_neq_f16_e32 vcc_lo, 1.0, v4
	v_cndmask_b32_e64 v4, 1.0, s11, vcc_lo
	v_cmp_neq_f32_e32 vcc_lo, 0, v4
	v_cmp_neq_f32_e64 s25, v4, |v4|
	v_cndmask_b32_e32 v8, 1.0, v3, vcc_lo
	v_frexp_mant_f32_e64 v6, |v8|
	v_cmp_lt_f32_e64 s26, |v8|, 1.0
	v_cmp_eq_f32_e64 s3, 0, v8
	v_cmp_gt_f32_e32 vcc_lo, 0x3f2aaaab, v6
	s_xor_b32 s25, s25, s26
	v_cndmask_b32_e64 v7, 1.0, 2.0, vcc_lo
	v_mul_f32_e32 v6, v6, v7
	v_add_f32_e32 v7, 1.0, v6
	v_add_f32_e32 v10, -1.0, v6
	v_rcp_f32_e32 v9, v7
	v_add_f32_e32 v12, -1.0, v7
	v_sub_f32_e32 v6, v6, v12
	v_mul_f32_e32 v11, v10, v9
	v_mul_f32_e32 v13, v7, v11
	v_fma_f32 v7, v11, v7, -v13
	v_fmac_f32_e32 v7, v11, v6
	v_add_f32_e32 v6, v13, v7
	v_sub_f32_e32 v12, v10, v6
	v_sub_f32_e32 v13, v6, v13
	;; [unrolled: 1-line block ×5, first 2 shown]
	v_add_f32_e32 v6, v7, v6
	v_add_f32_e32 v6, v12, v6
	v_mul_f32_e32 v6, v9, v6
	v_add_f32_e32 v9, v11, v6
	v_sub_f32_e32 v7, v9, v11
	v_mul_f32_e32 v10, v9, v9
	v_sub_f32_e32 v11, v6, v7
	v_fma_f32 v6, v9, v9, -v10
	v_add_f32_e32 v7, v11, v11
	v_fmac_f32_e32 v6, v9, v7
	v_add_f32_e32 v12, v10, v6
	v_fmaak_f32 v7, s24, v12, 0x3e91f4c4
	v_sub_f32_e32 v10, v12, v10
	v_mul_f32_e32 v17, v9, v12
	v_fmaak_f32 v7, v12, v7, 0x3ecccdef
	v_sub_f32_e32 v10, v6, v10
	v_fma_f32 v18, v12, v9, -v17
	v_mul_f32_e32 v13, v12, v7
	v_fmac_f32_e32 v18, v12, v11
	v_ldexp_f32 v11, v11, 1
	v_fma_f32 v14, v12, v7, -v13
	v_fmac_f32_e32 v18, v10, v9
	v_fmac_f32_e32 v14, v10, v7
	v_cvt_f64_f32_e64 v[6:7], |v8|
	v_add_f32_e32 v15, v13, v14
	v_sub_f32_e32 v13, v15, v13
	v_add_f32_e32 v16, 0x3f2aaaaa, v15
	v_sub_f32_e32 v13, v14, v13
	v_add_f32_e32 v14, 0xbf2aaaaa, v16
	v_add_f32_e32 v13, 0x31739010, v13
	v_sub_f32_e32 v14, v15, v14
	v_frexp_exp_i32_f64_e32 v6, v[6:7]
	v_add_f32_e32 v12, v13, v14
	v_add_f32_e32 v13, v17, v18
	;; [unrolled: 1-line block ×3, first 2 shown]
	v_sub_f32_e32 v15, v13, v17
	v_sub_f32_e32 v7, v16, v10
	v_mul_f32_e32 v14, v13, v10
	v_sub_f32_e32 v15, v18, v15
	v_add_f32_e32 v7, v12, v7
	v_fma_f32 v12, v13, v10, -v14
	v_subrev_co_ci_u32_e64 v6, null, 0, v6, vcc_lo
	v_fmac_f32_e32 v12, v13, v7
	v_ldexp_f32 v7, v9, 1
	v_cvt_f32_i32_e32 v6, v6
	v_fmac_f32_e32 v12, v15, v10
	v_add_f32_e32 v9, v14, v12
	v_add_f32_e32 v10, v7, v9
	v_sub_f32_e32 v13, v9, v14
	v_mul_f32_e32 v14, 0x3f317218, v6
	v_sub_f32_e32 v7, v10, v7
	v_sub_f32_e32 v12, v12, v13
	v_fma_f32 v13, 0x3f317218, v6, -v14
	v_sub_f32_e32 v7, v9, v7
	v_add_f32_e32 v9, v11, v12
	v_fmac_f32_e32 v13, 0xb102e308, v6
	v_add_f32_e32 v6, v9, v7
	v_add_f32_e32 v7, v14, v13
	;; [unrolled: 1-line block ×3, first 2 shown]
	v_sub_f32_e32 v14, v7, v14
	v_add_f32_e32 v11, v7, v9
	v_sub_f32_e32 v10, v9, v10
	v_sub_f32_e32 v13, v13, v14
	;; [unrolled: 1-line block ×6, first 2 shown]
	v_add_f32_e32 v10, v13, v6
	v_sub_f32_e32 v7, v7, v15
	v_add_f32_e32 v7, v9, v7
	v_sub_f32_e32 v9, v10, v13
	;; [unrolled: 2-line block ×3, first 2 shown]
	v_sub_f32_e32 v6, v6, v9
	v_add_f32_e32 v12, v11, v7
	v_sub_f32_e32 v9, v13, v10
	v_sub_f32_e32 v10, v12, v11
	v_add_f32_e32 v6, v6, v9
	v_sub_f32_e32 v7, v7, v10
	v_add_f32_e32 v6, v6, v7
	v_add_f32_e32 v7, v12, v6
	v_sub_f32_e32 v9, v7, v12
	v_mul_f32_e32 v10, v4, v7
	v_sub_f32_e32 v6, v6, v9
	v_fma_f32 v7, v4, v7, -v10
	v_cmp_class_f32_e64 vcc_lo, v10, 0x204
	v_fmac_f32_e32 v7, v4, v6
	v_add_f32_e32 v6, v10, v7
	v_cndmask_b32_e32 v9, v6, v10, vcc_lo
	v_sub_f32_e32 v6, v6, v10
	v_cmp_eq_f32_e32 vcc_lo, 0x42b17218, v9
	v_sub_f32_e32 v6, v7, v6
	v_cndmask_b32_e64 v11, 0, 0x37000000, vcc_lo
	v_cmp_neq_f32_e64 vcc_lo, 0x7f800000, |v9|
	v_sub_f32_e32 v12, v9, v11
	v_cndmask_b32_e32 v6, 0, v6, vcc_lo
	v_trunc_f32_e32 v9, v4
	v_mul_f32_e32 v13, 0x3fb8aa3b, v12
	v_cmp_ngt_f32_e32 vcc_lo, 0xc2ce8ed0, v12
	v_add_f32_e32 v6, v11, v6
	v_fma_f32 v14, 0x3fb8aa3b, v12, -v13
	v_rndne_f32_e32 v15, v13
	v_fmac_f32_e32 v14, 0x32a5705f, v12
	v_sub_f32_e32 v13, v13, v15
	v_cvt_i32_f32_e32 v10, v15
	v_add_f32_e32 v13, v13, v14
	v_exp_f32_e32 v13, v13
	v_ldexp_f32 v7, v13, v10
	v_mul_f32_e32 v10, 0.5, v4
	v_cndmask_b32_e32 v7, 0, v7, vcc_lo
	v_cmp_nlt_f32_e32 vcc_lo, 0x42b17218, v12
	v_trunc_f32_e32 v13, v10
	v_cndmask_b32_e32 v7, 0x7f800000, v7, vcc_lo
	v_cmp_eq_f32_e32 vcc_lo, v9, v4
	v_cmp_neq_f32_e64 s1, v13, v10
	v_fma_f32 v6, v7, v6, v7
	v_cmp_class_f32_e64 s2, v7, 0x204
	s_and_b32 s1, vcc_lo, s1
	v_cndmask_b32_e64 v9, 1.0, v8, s1
	v_cndmask_b32_e64 v6, v6, v7, s2
	v_cndmask_b32_e64 v7, 0x7f800000, 0, s25
	v_cmp_gt_f32_e64 s2, 0, v4
	v_bfi_b32 v6, 0x7fffffff, v6, v9
	s_xor_b32 s2, s2, s3
	v_cndmask_b32_e64 v10, 0x7f800000, 0, s2
	v_cndmask_b32_e32 v9, 0x7fc00000, v6, vcc_lo
	v_cmp_neq_f32_e64 vcc_lo, |v8|, 1.0
	v_cndmask_b32_e32 v7, 1.0, v7, vcc_lo
	v_cmp_gt_f32_e32 vcc_lo, 0, v8
	v_cndmask_b32_e32 v6, v6, v9, vcc_lo
	v_cndmask_b32_e64 v9, 0, v8, s1
	v_cmp_class_f32_e64 vcc_lo, v4, 0x204
	v_cmp_class_f32_e64 s1, v8, 0x204
	v_cndmask_b32_e32 v6, v6, v7, vcc_lo
	v_bfi_b32 v7, 0x7fffffff, v10, v9
	s_or_b32 vcc_lo, s3, s1
	v_cndmask_b32_e32 v6, v6, v7, vcc_lo
	v_cmp_o_f32_e32 vcc_lo, v8, v4
	v_cndmask_b32_e32 v4, 0x7fc00000, v6, vcc_lo
	s_cbranch_execnz .LBB260_6
	s_branch .LBB260_11
.LBB260_10:                             ;   in Loop: Header=BB260_7 Depth=1
                                        ; implicit-def: $vgpr4
.LBB260_11:                             ;   in Loop: Header=BB260_7 Depth=1
	v_mul_f32_e32 v4, v3, v3
	s_branch .LBB260_6
.LBB260_12:
	s_or_b32 exec_lo, exec_lo, s23
.LBB260_13:
	s_or_b32 exec_lo, exec_lo, s12
; %bb.14:
	v_mbcnt_lo_u32_b32 v6, -1, 0
	s_mov_b32 s1, exec_lo
	s_waitcnt lgkmcnt(0)
	s_barrier
	buffer_gl0_inv
	v_lshl_or_b32 v2, v6, 2, 64
	v_cmp_gt_u32_e32 vcc_lo, 24, v6
	ds_bpermute_b32 v4, v2, v5
	v_cndmask_b32_e64 v3, 0, 8, vcc_lo
	v_cmp_gt_u32_e32 vcc_lo, 28, v6
	v_add_lshl_u32 v3, v3, v6, 2
	s_waitcnt lgkmcnt(0)
	v_add_f32_e32 v5, v5, v4
	v_cndmask_b32_e64 v4, 0, 4, vcc_lo
	v_cmp_gt_u32_e32 vcc_lo, 30, v6
	ds_bpermute_b32 v7, v3, v5
	v_add_lshl_u32 v4, v4, v6, 2
	s_waitcnt lgkmcnt(0)
	v_add_f32_e32 v7, v5, v7
	v_cndmask_b32_e64 v5, 0, 2, vcc_lo
	v_cmp_ne_u32_e32 vcc_lo, 31, v6
	ds_bpermute_b32 v8, v4, v7
	v_add_lshl_u32 v5, v5, v6, 2
	v_add_co_ci_u32_e64 v6, null, 0, v6, vcc_lo
	v_lshlrev_b32_e32 v6, 2, v6
	s_waitcnt lgkmcnt(0)
	v_add_f32_e32 v7, v7, v8
	ds_bpermute_b32 v8, v5, v7
	s_waitcnt lgkmcnt(0)
	v_add_f32_e32 v7, v7, v8
	v_and_b32_e32 v8, 31, v0
	ds_bpermute_b32 v9, v6, v7
	v_cmpx_eq_u32_e32 0, v8
	s_cbranch_execz .LBB260_16
; %bb.15:
	v_lshrrev_b32_e32 v10, 3, v0
	s_waitcnt lgkmcnt(0)
	v_add_f32_e32 v7, v7, v9
	v_add_nc_u32_e32 v9, 0, v10
	ds_write_b32 v9, v7
.LBB260_16:
	s_or_b32 exec_lo, exec_lo, s1
	s_waitcnt lgkmcnt(0)
	s_barrier
	buffer_gl0_inv
	s_load_dword s4, s[4:5], 0x4c
	v_mov_b32_e32 v7, 0
	s_waitcnt lgkmcnt(0)
	s_bfe_u32 s1, s4, 0xb0005
	v_cmp_gt_u32_e32 vcc_lo, s1, v0
	s_and_saveexec_b32 s1, vcc_lo
; %bb.17:
	v_lshl_add_u32 v7, v8, 2, 0
	ds_read_b32 v7, v7
; %bb.18:
	s_or_b32 exec_lo, exec_lo, s1
	s_mov_b32 s1, exec_lo
	v_cmpx_gt_u32_e32 32, v0
	s_cbranch_execz .LBB260_20
; %bb.19:
	s_waitcnt lgkmcnt(0)
	ds_bpermute_b32 v2, v2, v7
	s_waitcnt lgkmcnt(0)
	v_add_f32_e32 v2, v7, v2
	ds_bpermute_b32 v3, v3, v2
	s_waitcnt lgkmcnt(0)
	v_add_f32_e32 v2, v2, v3
	ds_bpermute_b32 v3, v4, v2
	s_waitcnt lgkmcnt(0)
	v_add_f32_e32 v2, v2, v3
	ds_bpermute_b32 v3, v5, v2
	s_waitcnt lgkmcnt(0)
	v_add_f32_e32 v2, v2, v3
	ds_bpermute_b32 v3, v6, v2
	s_waitcnt lgkmcnt(0)
	v_add_f32_e32 v7, v2, v3
.LBB260_20:
	s_or_b32 exec_lo, exec_lo, s1
	s_mov_b32 s5, exec_lo
	v_cmpx_eq_u32_e32 0, v0
	s_cbranch_execz .LBB260_22
; %bb.21:
	v_div_scale_f32 v2, null, s11, s11, 1.0
	v_div_scale_f32 v5, vcc_lo, 1.0, s11, 1.0
	s_mov_b32 s1, 0x3e76c4e1
	v_rcp_f32_e32 v3, v2
	v_fma_f32 v4, -v2, v3, 1.0
	v_fmac_f32_e32 v3, v4, v3
	v_mul_f32_e32 v4, v5, v3
	v_fma_f32 v6, -v2, v4, v5
	v_fmac_f32_e32 v4, v6, v3
	v_fma_f32 v2, -v2, v4, v5
	v_div_fmas_f32 v2, v2, v3, v4
	s_waitcnt lgkmcnt(0)
	v_cmp_neq_f32_e32 vcc_lo, 1.0, v7
	v_div_fixup_f32 v2, v2, s11, 1.0
	v_cndmask_b32_e32 v4, 1.0, v2, vcc_lo
	v_cmp_neq_f32_e32 vcc_lo, 0, v4
	v_cmp_neq_f32_e64 s11, v4, |v4|
	v_cndmask_b32_e32 v5, 1.0, v7, vcc_lo
	v_frexp_mant_f32_e64 v2, |v5|
	v_cmp_lt_f32_e64 s12, |v5|, 1.0
	v_cmp_eq_f32_e64 s3, 0, v5
	v_cmp_gt_f32_e32 vcc_lo, 0x3f2aaaab, v2
	s_xor_b32 s11, s11, s12
	v_cndmask_b32_e64 v3, 1.0, 2.0, vcc_lo
	v_mul_f32_e32 v2, v2, v3
	v_add_f32_e32 v3, 1.0, v2
	v_add_f32_e32 v7, -1.0, v2
	v_rcp_f32_e32 v6, v3
	v_add_f32_e32 v9, -1.0, v3
	v_sub_f32_e32 v2, v2, v9
	v_mul_f32_e32 v8, v7, v6
	v_mul_f32_e32 v10, v3, v8
	v_fma_f32 v3, v8, v3, -v10
	v_fmac_f32_e32 v3, v8, v2
	v_add_f32_e32 v2, v10, v3
	v_sub_f32_e32 v9, v7, v2
	v_sub_f32_e32 v10, v2, v10
	;; [unrolled: 1-line block ×5, first 2 shown]
	v_add_f32_e32 v2, v3, v2
	v_add_f32_e32 v2, v9, v2
	v_mul_f32_e32 v2, v6, v2
	v_add_f32_e32 v6, v8, v2
	v_sub_f32_e32 v3, v6, v8
	v_mul_f32_e32 v7, v6, v6
	v_sub_f32_e32 v8, v2, v3
	v_fma_f32 v2, v6, v6, -v7
	v_add_f32_e32 v3, v8, v8
	v_fmac_f32_e32 v2, v6, v3
	v_add_f32_e32 v9, v7, v2
	v_fmaak_f32 v3, s1, v9, 0x3e91f4c4
	v_sub_f32_e32 v7, v9, v7
	v_mul_f32_e32 v14, v6, v9
	v_fmaak_f32 v3, v9, v3, 0x3ecccdef
	v_sub_f32_e32 v7, v2, v7
	v_fma_f32 v15, v9, v6, -v14
	v_mul_f32_e32 v10, v9, v3
	v_fmac_f32_e32 v15, v9, v8
	v_ldexp_f32 v8, v8, 1
	v_fma_f32 v11, v9, v3, -v10
	v_fmac_f32_e32 v15, v7, v6
	v_fmac_f32_e32 v11, v7, v3
	v_cvt_f64_f32_e64 v[2:3], |v5|
	v_add_f32_e32 v12, v10, v11
	v_sub_f32_e32 v10, v12, v10
	v_add_f32_e32 v13, 0x3f2aaaaa, v12
	v_sub_f32_e32 v10, v11, v10
	v_add_f32_e32 v11, 0xbf2aaaaa, v13
	v_add_f32_e32 v10, 0x31739010, v10
	v_sub_f32_e32 v11, v12, v11
	v_frexp_exp_i32_f64_e32 v2, v[2:3]
	v_add_f32_e32 v9, v10, v11
	v_add_f32_e32 v10, v14, v15
	;; [unrolled: 1-line block ×3, first 2 shown]
	v_sub_f32_e32 v12, v10, v14
	v_sub_f32_e32 v3, v13, v7
	v_mul_f32_e32 v11, v10, v7
	v_sub_f32_e32 v12, v15, v12
	v_add_f32_e32 v3, v9, v3
	v_fma_f32 v9, v10, v7, -v11
	v_subrev_co_ci_u32_e64 v2, null, 0, v2, vcc_lo
	v_fmac_f32_e32 v9, v10, v3
	v_ldexp_f32 v3, v6, 1
	v_cvt_f32_i32_e32 v2, v2
	v_fmac_f32_e32 v9, v12, v7
	v_add_f32_e32 v6, v11, v9
	v_add_f32_e32 v7, v3, v6
	v_sub_f32_e32 v10, v6, v11
	v_mul_f32_e32 v11, 0x3f317218, v2
	v_sub_f32_e32 v3, v7, v3
	v_sub_f32_e32 v9, v9, v10
	v_fma_f32 v10, 0x3f317218, v2, -v11
	v_sub_f32_e32 v3, v6, v3
	v_add_f32_e32 v6, v8, v9
	v_fmamk_f32 v2, v2, 0xb102e308, v10
	v_add_f32_e32 v3, v6, v3
	v_add_f32_e32 v6, v11, v2
	;; [unrolled: 1-line block ×3, first 2 shown]
	v_sub_f32_e32 v11, v6, v11
	v_add_f32_e32 v9, v6, v8
	v_sub_f32_e32 v7, v8, v7
	v_sub_f32_e32 v2, v2, v11
	;; [unrolled: 1-line block ×6, first 2 shown]
	v_add_f32_e32 v8, v2, v3
	v_sub_f32_e32 v6, v6, v12
	v_add_f32_e32 v6, v7, v6
	v_sub_f32_e32 v7, v8, v2
	;; [unrolled: 2-line block ×3, first 2 shown]
	v_sub_f32_e32 v3, v3, v7
	v_add_f32_e32 v10, v9, v6
	v_sub_f32_e32 v2, v2, v8
	v_sub_f32_e32 v7, v10, v9
	v_add_f32_e32 v2, v3, v2
	v_sub_f32_e32 v3, v6, v7
	v_add_f32_e32 v2, v2, v3
	v_add_f32_e32 v3, v10, v2
	v_sub_f32_e32 v6, v3, v10
	v_mul_f32_e32 v7, v4, v3
	v_sub_f32_e32 v2, v2, v6
	v_fma_f32 v3, v4, v3, -v7
	v_cmp_class_f32_e64 vcc_lo, v7, 0x204
	v_fmac_f32_e32 v3, v4, v2
	v_add_f32_e32 v2, v7, v3
	v_cndmask_b32_e32 v6, v2, v7, vcc_lo
	v_sub_f32_e32 v2, v2, v7
	v_cmp_eq_f32_e32 vcc_lo, 0x42b17218, v6
	v_sub_f32_e32 v2, v3, v2
	v_cndmask_b32_e64 v8, 0, 0x37000000, vcc_lo
	v_cmp_neq_f32_e64 vcc_lo, 0x7f800000, |v6|
	v_sub_f32_e32 v9, v6, v8
	v_cndmask_b32_e32 v2, 0, v2, vcc_lo
	v_trunc_f32_e32 v6, v4
	v_mul_f32_e32 v10, 0x3fb8aa3b, v9
	v_cmp_ngt_f32_e32 vcc_lo, 0xc2ce8ed0, v9
	v_add_f32_e32 v2, v8, v2
	v_fma_f32 v11, 0x3fb8aa3b, v9, -v10
	v_rndne_f32_e32 v12, v10
	v_fmamk_f32 v11, v9, 0x32a5705f, v11
	v_sub_f32_e32 v10, v10, v12
	v_cvt_i32_f32_e32 v7, v12
	v_add_f32_e32 v10, v10, v11
	v_exp_f32_e32 v10, v10
	v_ldexp_f32 v3, v10, v7
	v_mul_f32_e32 v7, 0.5, v4
	v_cndmask_b32_e32 v3, 0, v3, vcc_lo
	v_cmp_nlt_f32_e32 vcc_lo, 0x42b17218, v9
	v_trunc_f32_e32 v10, v7
	v_cndmask_b32_e32 v3, 0x7f800000, v3, vcc_lo
	v_cmp_eq_f32_e32 vcc_lo, v6, v4
	v_cmp_neq_f32_e64 s1, v10, v7
	v_fma_f32 v2, v3, v2, v3
	v_cmp_class_f32_e64 s2, v3, 0x204
	s_and_b32 s1, vcc_lo, s1
	v_cndmask_b32_e64 v6, 1.0, v5, s1
	v_cndmask_b32_e64 v8, 0, v5, s1
	v_cndmask_b32_e64 v2, v2, v3, s2
	;; [unrolled: 1-line block ×3, first 2 shown]
	v_cmp_gt_f32_e64 s2, 0, v4
	v_cmp_class_f32_e64 s1, v5, 0x204
	v_bfi_b32 v2, 0x7fffffff, v2, v6
	s_xor_b32 s2, s2, s3
	v_cndmask_b32_e64 v6, 0x7f800000, 0, s2
	v_cndmask_b32_e32 v7, 0x7fc00000, v2, vcc_lo
	v_cmp_neq_f32_e64 vcc_lo, |v5|, 1.0
	v_bfi_b32 v6, 0x7fffffff, v6, v8
	v_cndmask_b32_e32 v3, 1.0, v3, vcc_lo
	v_cmp_gt_f32_e32 vcc_lo, 0, v5
	v_cndmask_b32_e32 v2, v2, v7, vcc_lo
	v_cmp_class_f32_e64 vcc_lo, v4, 0x204
	v_cndmask_b32_e32 v2, v2, v3, vcc_lo
	s_or_b32 vcc_lo, s3, s1
	v_mov_b32_e32 v3, 0
	v_cndmask_b32_e32 v2, v2, v6, vcc_lo
	v_cmp_o_f32_e32 vcc_lo, v5, v4
	v_cndmask_b32_e32 v2, 0x7fc00000, v2, vcc_lo
	ds_write_b32 v3, v2
.LBB260_22:
	s_or_b32 exec_lo, exec_lo, s5
	v_mov_b32_e32 v2, 0
	s_waitcnt lgkmcnt(0)
	s_barrier
	buffer_gl0_inv
	ds_read_b32 v2, v2
	s_waitcnt lgkmcnt(0)
	v_cmp_nlt_f32_e32 vcc_lo, s10, v2
	s_cbranch_vccnz .LBB260_27
; %bb.23:
	s_and_saveexec_b32 s1, s0
	s_cbranch_execz .LBB260_26
; %bb.24:
	v_cvt_f64_f32_e32 v[2:3], v2
	s_mov_b32 s2, 0x9abcaf48
	s_mov_b32 s3, 0x3e7ad7f2
	v_cvt_f64_f32_e32 v[4:5], s10
	v_add_f64 v[2:3], v[2:3], s[2:3]
	v_div_scale_f64 v[6:7], null, v[2:3], v[2:3], v[4:5]
	v_div_scale_f64 v[12:13], vcc_lo, v[4:5], v[2:3], v[4:5]
	v_rcp_f64_e32 v[8:9], v[6:7]
	v_fma_f64 v[10:11], -v[6:7], v[8:9], 1.0
	v_fma_f64 v[8:9], v[8:9], v[10:11], v[8:9]
	v_fma_f64 v[10:11], -v[6:7], v[8:9], 1.0
	v_fma_f64 v[8:9], v[8:9], v[10:11], v[8:9]
	v_mul_f64 v[10:11], v[12:13], v[8:9]
	v_fma_f64 v[6:7], -v[6:7], v[10:11], v[12:13]
	v_div_fmas_f64 v[6:7], v[6:7], v[8:9], v[10:11]
	v_div_fixup_f64 v[2:3], v[6:7], v[2:3], v[4:5]
	v_readfirstlane_b32 s2, v3
	s_and_b32 s0, s2, 0x1ff
	s_lshr_b32 s5, s2, 8
	v_or_b32_e32 v2, s0, v2
	s_bfe_u32 s0, s2, 0xb0014
	s_and_b32 s5, s5, 0xffe
	s_sub_i32 s3, 0x3f1, s0
	v_med3_i32 v3, s3, 0, 13
	v_cmp_ne_u32_e32 vcc_lo, 0, v2
	v_readfirstlane_b32 s10, v3
	v_cndmask_b32_e64 v2, 0, 1, vcc_lo
	v_readfirstlane_b32 s3, v2
	s_or_b32 s3, s5, s3
	s_or_b32 s5, s3, 0x1000
	s_lshr_b32 s11, s5, s10
	s_lshl_b32 s10, s11, s10
	s_cmp_lg_u32 s10, s5
	s_cselect_b32 s5, 1, 0
	s_addk_i32 s0, 0xfc10
	s_or_b32 s5, s11, s5
	s_lshl_b32 s10, s0, 12
	s_or_b32 s10, s3, s10
	s_cmp_lt_i32 s0, 1
	s_cselect_b32 s5, s5, s10
	s_and_b32 s10, s5, 7
	s_cmp_gt_i32 s10, 5
	s_cselect_b32 s11, 1, 0
	s_cmp_eq_u32 s10, 3
	s_cselect_b32 s10, 1, 0
	s_lshr_b32 s5, s5, 2
	s_or_b32 s10, s10, s11
	s_add_i32 s5, s5, s10
	s_cmp_lt_i32 s0, 31
	s_movk_i32 s10, 0x7e00
	s_cselect_b32 s5, s5, 0x7c00
	s_cmp_lg_u32 s3, 0
	s_cselect_b32 s3, s10, 0x7c00
	s_cmpk_eq_i32 s0, 0x40f
	s_mov_b32 s0, 0
	s_cselect_b32 s3, s3, s5
	s_lshr_b32 s5, s2, 16
	s_and_b32 s2, 0xffff, s4
	s_and_b32 s10, s5, 0x8000
	s_lshl_b64 s[4:5], s[6:7], 1
	v_add_nc_u32_e32 v2, s2, v0
	s_or_b32 s3, s10, s3
	s_add_u32 s4, s16, s4
	s_addc_u32 s5, s17, s5
	.p2align	6
.LBB260_25:                             ; =>This Inner Loop Header: Depth=1
	v_mul_lo_u32 v3, v1, s14
	v_mul_lo_u32 v4, v0, s15
	v_mad_u64_u32 v[0:1], null, v0, s14, 0
	v_add3_u32 v1, v1, v4, v3
	v_ashrrev_i32_e32 v3, 31, v2
	v_lshlrev_b64 v[0:1], 1, v[0:1]
	v_add_co_u32 v4, vcc_lo, s4, v0
	v_add_co_ci_u32_e64 v5, null, s5, v1, vcc_lo
	v_cmp_le_i64_e32 vcc_lo, s[8:9], v[2:3]
	v_mov_b32_e32 v0, v2
	v_mov_b32_e32 v1, v3
	global_load_ushort v6, v[4:5], off
	v_add_nc_u32_e32 v2, s2, v2
	s_or_b32 s0, vcc_lo, s0
	s_waitcnt vmcnt(0)
	v_mul_f16_e32 v3, s3, v6
	global_store_short v[4:5], v3, off
	s_andn2_b32 exec_lo, exec_lo, s0
	s_cbranch_execnz .LBB260_25
.LBB260_26:
	s_or_b32 exec_lo, exec_lo, s1
.LBB260_27:
	s_and_b32 vcc_lo, exec_lo, s18
	s_cbranch_vccnz .LBB260_30
.LBB260_28:
	s_endpgm
.LBB260_29:
	s_cbranch_execz .LBB260_28
.LBB260_30:
	s_trap 2
	; divergent unreachable
	s_endpgm
	.section	.rodata,"a",@progbits
	.p2align	6, 0x0
	.amdhsa_kernel _ZN2at6native12_GLOBAL__N_113renorm_kernelIN3c104HalfEfKlEEvPT_PT1_T0_SA_llllPS5_
		.amdhsa_group_segment_fixed_size 0
		.amdhsa_private_segment_fixed_size 0
		.amdhsa_kernarg_size 320
		.amdhsa_user_sgpr_count 6
		.amdhsa_user_sgpr_private_segment_buffer 1
		.amdhsa_user_sgpr_dispatch_ptr 0
		.amdhsa_user_sgpr_queue_ptr 0
		.amdhsa_user_sgpr_kernarg_segment_ptr 1
		.amdhsa_user_sgpr_dispatch_id 0
		.amdhsa_user_sgpr_flat_scratch_init 0
		.amdhsa_user_sgpr_private_segment_size 0
		.amdhsa_wavefront_size32 1
		.amdhsa_uses_dynamic_stack 0
		.amdhsa_system_sgpr_private_segment_wavefront_offset 0
		.amdhsa_system_sgpr_workgroup_id_x 1
		.amdhsa_system_sgpr_workgroup_id_y 0
		.amdhsa_system_sgpr_workgroup_id_z 0
		.amdhsa_system_sgpr_workgroup_info 0
		.amdhsa_system_vgpr_workitem_id 0
		.amdhsa_next_free_vgpr 19
		.amdhsa_next_free_sgpr 27
		.amdhsa_reserve_vcc 1
		.amdhsa_reserve_flat_scratch 0
		.amdhsa_float_round_mode_32 0
		.amdhsa_float_round_mode_16_64 0
		.amdhsa_float_denorm_mode_32 3
		.amdhsa_float_denorm_mode_16_64 3
		.amdhsa_dx10_clamp 1
		.amdhsa_ieee_mode 1
		.amdhsa_fp16_overflow 0
		.amdhsa_workgroup_processor_mode 1
		.amdhsa_memory_ordered 1
		.amdhsa_forward_progress 1
		.amdhsa_shared_vgpr_count 0
		.amdhsa_exception_fp_ieee_invalid_op 0
		.amdhsa_exception_fp_denorm_src 0
		.amdhsa_exception_fp_ieee_div_zero 0
		.amdhsa_exception_fp_ieee_overflow 0
		.amdhsa_exception_fp_ieee_underflow 0
		.amdhsa_exception_fp_ieee_inexact 0
		.amdhsa_exception_int_div_zero 0
	.end_amdhsa_kernel
	.section	.text._ZN2at6native12_GLOBAL__N_113renorm_kernelIN3c104HalfEfKlEEvPT_PT1_T0_SA_llllPS5_,"axG",@progbits,_ZN2at6native12_GLOBAL__N_113renorm_kernelIN3c104HalfEfKlEEvPT_PT1_T0_SA_llllPS5_,comdat
.Lfunc_end260:
	.size	_ZN2at6native12_GLOBAL__N_113renorm_kernelIN3c104HalfEfKlEEvPT_PT1_T0_SA_llllPS5_, .Lfunc_end260-_ZN2at6native12_GLOBAL__N_113renorm_kernelIN3c104HalfEfKlEEvPT_PT1_T0_SA_llllPS5_
                                        ; -- End function
	.set _ZN2at6native12_GLOBAL__N_113renorm_kernelIN3c104HalfEfKlEEvPT_PT1_T0_SA_llllPS5_.num_vgpr, 19
	.set _ZN2at6native12_GLOBAL__N_113renorm_kernelIN3c104HalfEfKlEEvPT_PT1_T0_SA_llllPS5_.num_agpr, 0
	.set _ZN2at6native12_GLOBAL__N_113renorm_kernelIN3c104HalfEfKlEEvPT_PT1_T0_SA_llllPS5_.numbered_sgpr, 27
	.set _ZN2at6native12_GLOBAL__N_113renorm_kernelIN3c104HalfEfKlEEvPT_PT1_T0_SA_llllPS5_.num_named_barrier, 0
	.set _ZN2at6native12_GLOBAL__N_113renorm_kernelIN3c104HalfEfKlEEvPT_PT1_T0_SA_llllPS5_.private_seg_size, 0
	.set _ZN2at6native12_GLOBAL__N_113renorm_kernelIN3c104HalfEfKlEEvPT_PT1_T0_SA_llllPS5_.uses_vcc, 1
	.set _ZN2at6native12_GLOBAL__N_113renorm_kernelIN3c104HalfEfKlEEvPT_PT1_T0_SA_llllPS5_.uses_flat_scratch, 0
	.set _ZN2at6native12_GLOBAL__N_113renorm_kernelIN3c104HalfEfKlEEvPT_PT1_T0_SA_llllPS5_.has_dyn_sized_stack, 0
	.set _ZN2at6native12_GLOBAL__N_113renorm_kernelIN3c104HalfEfKlEEvPT_PT1_T0_SA_llllPS5_.has_recursion, 0
	.set _ZN2at6native12_GLOBAL__N_113renorm_kernelIN3c104HalfEfKlEEvPT_PT1_T0_SA_llllPS5_.has_indirect_call, 0
	.section	.AMDGPU.csdata,"",@progbits
; Kernel info:
; codeLenInByte = 3340
; TotalNumSgprs: 29
; NumVgprs: 19
; ScratchSize: 0
; MemoryBound: 0
; FloatMode: 240
; IeeeMode: 1
; LDSByteSize: 0 bytes/workgroup (compile time only)
; SGPRBlocks: 0
; VGPRBlocks: 2
; NumSGPRsForWavesPerEU: 29
; NumVGPRsForWavesPerEU: 19
; Occupancy: 16
; WaveLimiterHint : 1
; COMPUTE_PGM_RSRC2:SCRATCH_EN: 0
; COMPUTE_PGM_RSRC2:USER_SGPR: 6
; COMPUTE_PGM_RSRC2:TRAP_HANDLER: 0
; COMPUTE_PGM_RSRC2:TGID_X_EN: 1
; COMPUTE_PGM_RSRC2:TGID_Y_EN: 0
; COMPUTE_PGM_RSRC2:TGID_Z_EN: 0
; COMPUTE_PGM_RSRC2:TIDIG_COMP_CNT: 0
	.section	.text._ZN2at6native12_GLOBAL__N_113renorm_kernelIN3c108BFloat16EfKlEEvPT_PT1_T0_SA_llllPS5_,"axG",@progbits,_ZN2at6native12_GLOBAL__N_113renorm_kernelIN3c108BFloat16EfKlEEvPT_PT1_T0_SA_llllPS5_,comdat
	.globl	_ZN2at6native12_GLOBAL__N_113renorm_kernelIN3c108BFloat16EfKlEEvPT_PT1_T0_SA_llllPS5_ ; -- Begin function _ZN2at6native12_GLOBAL__N_113renorm_kernelIN3c108BFloat16EfKlEEvPT_PT1_T0_SA_llllPS5_
	.p2align	8
	.type	_ZN2at6native12_GLOBAL__N_113renorm_kernelIN3c108BFloat16EfKlEEvPT_PT1_T0_SA_llllPS5_,@function
_ZN2at6native12_GLOBAL__N_113renorm_kernelIN3c108BFloat16EfKlEEvPT_PT1_T0_SA_llllPS5_: ; @_ZN2at6native12_GLOBAL__N_113renorm_kernelIN3c108BFloat16EfKlEEvPT_PT1_T0_SA_llllPS5_
; %bb.0:
	s_load_dwordx2 s[0:1], s[4:5], 0x38
	s_mov_b32 s7, 0
	s_waitcnt lgkmcnt(0)
	s_load_dwordx2 s[0:1], s[0:1], 0x0
	s_waitcnt lgkmcnt(0)
	v_cmp_le_i64_e64 s0, s[0:1], s[6:7]
	s_and_b32 vcc_lo, exec_lo, s0
	s_cbranch_vccnz .LBB261_27
; %bb.1:
	s_load_dwordx4 s[16:19], s[4:5], 0x0
	s_lshl_b64 s[0:1], s[6:7], 3
	s_waitcnt lgkmcnt(0)
	s_add_u32 s0, s18, s0
	s_addc_u32 s1, s19, s1
	s_load_dwordx2 s[2:3], s[0:1], 0x0
	s_waitcnt lgkmcnt(0)
	v_cmp_lt_i64_e64 s0, s[2:3], 0
	s_and_b32 vcc_lo, exec_lo, s0
	s_cbranch_vccnz .LBB261_28
; %bb.2:
	s_load_dwordx8 s[8:15], s[4:5], 0x18
	s_getpc_b64 s[0:1]
	s_add_u32 s0, s0, .str.4@rel32@lo+4
	s_addc_u32 s1, s1, .str.4@rel32@hi+12
	s_cmp_eq_u64 s[0:1], 0
	s_cselect_b32 s0, -1, 0
	s_waitcnt lgkmcnt(0)
	v_cmp_ge_i64_e64 s6, s[2:3], s[10:11]
	s_or_b32 s18, s6, s0
	s_andn2_b32 vcc_lo, exec_lo, s18
	s_cbranch_vccz .LBB261_26
; %bb.3:
	s_load_dwordx2 s[10:11], s[4:5], 0x10
	v_mov_b32_e32 v1, 0
	s_mul_i32 s0, s2, s13
	s_mul_hi_u32 s1, s2, s12
	s_mul_i32 s3, s3, s12
	s_add_i32 s1, s1, s0
	v_cmp_le_i64_e64 s0, s[8:9], v[0:1]
	v_mov_b32_e32 v5, v1
	s_add_i32 s7, s1, s3
	s_mul_i32 s6, s2, s12
	s_mov_b32 s12, exec_lo
	v_cmpx_gt_i64_e64 s[8:9], v[0:1]
	s_cbranch_execz .LBB261_13
; %bb.4:
	s_load_dword s1, s[4:5], 0x4c
	s_lshl_b64 s[2:3], s[6:7], 1
	v_mov_b32_e32 v4, v1
	s_add_u32 s20, s16, s2
	s_addc_u32 s21, s17, s3
	s_waitcnt lgkmcnt(0)
	v_cmp_neq_f32_e64 s13, s11, 1.0
	v_cmp_neq_f32_e64 s19, s11, 2.0
	v_mov_b32_e32 v5, 0
	v_mov_b32_e32 v3, v0
	s_mov_b32 s23, 0
	s_mov_b32 s24, 0x3e76c4e1
	s_and_b32 s22, s1, 0xffff
	v_add_nc_u32_e32 v2, s22, v0
	s_branch .LBB261_7
.LBB261_5:                              ;   in Loop: Header=BB261_7 Depth=1
	v_and_b32_e32 v4, 0x7fffffff, v3
.LBB261_6:                              ;   in Loop: Header=BB261_7 Depth=1
	v_ashrrev_i32_e32 v3, 31, v2
	v_add_f32_e32 v5, v5, v4
	v_cmp_le_i64_e32 vcc_lo, s[8:9], v[2:3]
	v_mov_b32_e32 v4, v3
	v_mov_b32_e32 v3, v2
	v_add_nc_u32_e32 v2, s22, v2
	s_or_b32 s23, vcc_lo, s23
	s_andn2_b32 exec_lo, exec_lo, s23
	s_cbranch_execz .LBB261_12
.LBB261_7:                              ; =>This Inner Loop Header: Depth=1
	v_mul_lo_u32 v6, v4, s14
	v_mul_lo_u32 v7, v3, s15
	v_mad_u64_u32 v[3:4], null, v3, s14, 0
	v_add3_u32 v4, v4, v7, v6
	v_lshlrev_b64 v[3:4], 1, v[3:4]
	v_add_co_u32 v3, vcc_lo, s20, v3
	v_add_co_ci_u32_e64 v4, null, s21, v4, vcc_lo
	s_and_b32 vcc_lo, exec_lo, s13
	global_load_ushort v3, v[3:4], off
	s_waitcnt vmcnt(0)
	v_lshlrev_b32_e32 v3, 16, v3
	s_cbranch_vccz .LBB261_5
; %bb.8:                                ;   in Loop: Header=BB261_7 Depth=1
	s_and_b32 vcc_lo, exec_lo, s19
	s_cbranch_vccz .LBB261_10
; %bb.9:                                ;   in Loop: Header=BB261_7 Depth=1
	v_cmp_neq_f32_e32 vcc_lo, 1.0, v3
	v_cndmask_b32_e64 v4, 1.0, s11, vcc_lo
	v_cmp_neq_f32_e32 vcc_lo, 0, v4
	v_cmp_neq_f32_e64 s25, v4, |v4|
	v_cndmask_b32_e32 v8, 1.0, v3, vcc_lo
	v_frexp_mant_f32_e64 v6, |v8|
	v_cmp_lt_f32_e64 s26, |v8|, 1.0
	v_cmp_eq_f32_e64 s3, 0, v8
	v_cmp_gt_f32_e32 vcc_lo, 0x3f2aaaab, v6
	s_xor_b32 s25, s25, s26
	v_cndmask_b32_e64 v7, 1.0, 2.0, vcc_lo
	v_mul_f32_e32 v6, v6, v7
	v_add_f32_e32 v7, 1.0, v6
	v_add_f32_e32 v10, -1.0, v6
	v_rcp_f32_e32 v9, v7
	v_add_f32_e32 v12, -1.0, v7
	v_sub_f32_e32 v6, v6, v12
	v_mul_f32_e32 v11, v10, v9
	v_mul_f32_e32 v13, v7, v11
	v_fma_f32 v7, v11, v7, -v13
	v_fmac_f32_e32 v7, v11, v6
	v_add_f32_e32 v6, v13, v7
	v_sub_f32_e32 v12, v10, v6
	v_sub_f32_e32 v13, v6, v13
	v_sub_f32_e32 v10, v10, v12
	v_sub_f32_e32 v7, v13, v7
	v_sub_f32_e32 v6, v10, v6
	v_add_f32_e32 v6, v7, v6
	v_add_f32_e32 v6, v12, v6
	v_mul_f32_e32 v6, v9, v6
	v_add_f32_e32 v9, v11, v6
	v_sub_f32_e32 v7, v9, v11
	v_mul_f32_e32 v10, v9, v9
	v_sub_f32_e32 v11, v6, v7
	v_fma_f32 v6, v9, v9, -v10
	v_add_f32_e32 v7, v11, v11
	v_fmac_f32_e32 v6, v9, v7
	v_add_f32_e32 v12, v10, v6
	v_fmaak_f32 v7, s24, v12, 0x3e91f4c4
	v_sub_f32_e32 v10, v12, v10
	v_mul_f32_e32 v17, v9, v12
	v_fmaak_f32 v7, v12, v7, 0x3ecccdef
	v_sub_f32_e32 v10, v6, v10
	v_fma_f32 v18, v12, v9, -v17
	v_mul_f32_e32 v13, v12, v7
	v_fmac_f32_e32 v18, v12, v11
	v_ldexp_f32 v11, v11, 1
	v_fma_f32 v14, v12, v7, -v13
	v_fmac_f32_e32 v18, v10, v9
	v_fmac_f32_e32 v14, v10, v7
	v_cvt_f64_f32_e64 v[6:7], |v8|
	v_add_f32_e32 v15, v13, v14
	v_sub_f32_e32 v13, v15, v13
	v_add_f32_e32 v16, 0x3f2aaaaa, v15
	v_sub_f32_e32 v13, v14, v13
	v_add_f32_e32 v14, 0xbf2aaaaa, v16
	v_add_f32_e32 v13, 0x31739010, v13
	v_sub_f32_e32 v14, v15, v14
	v_frexp_exp_i32_f64_e32 v6, v[6:7]
	v_add_f32_e32 v12, v13, v14
	v_add_f32_e32 v13, v17, v18
	;; [unrolled: 1-line block ×3, first 2 shown]
	v_sub_f32_e32 v15, v13, v17
	v_sub_f32_e32 v7, v16, v10
	v_mul_f32_e32 v14, v13, v10
	v_sub_f32_e32 v15, v18, v15
	v_add_f32_e32 v7, v12, v7
	v_fma_f32 v12, v13, v10, -v14
	v_subrev_co_ci_u32_e64 v6, null, 0, v6, vcc_lo
	v_fmac_f32_e32 v12, v13, v7
	v_ldexp_f32 v7, v9, 1
	v_cvt_f32_i32_e32 v6, v6
	v_fmac_f32_e32 v12, v15, v10
	v_add_f32_e32 v9, v14, v12
	v_add_f32_e32 v10, v7, v9
	v_sub_f32_e32 v13, v9, v14
	v_mul_f32_e32 v14, 0x3f317218, v6
	v_sub_f32_e32 v7, v10, v7
	v_sub_f32_e32 v12, v12, v13
	v_fma_f32 v13, 0x3f317218, v6, -v14
	v_sub_f32_e32 v7, v9, v7
	v_add_f32_e32 v9, v11, v12
	v_fmac_f32_e32 v13, 0xb102e308, v6
	v_add_f32_e32 v6, v9, v7
	v_add_f32_e32 v7, v14, v13
	;; [unrolled: 1-line block ×3, first 2 shown]
	v_sub_f32_e32 v14, v7, v14
	v_add_f32_e32 v11, v7, v9
	v_sub_f32_e32 v10, v9, v10
	v_sub_f32_e32 v13, v13, v14
	;; [unrolled: 1-line block ×6, first 2 shown]
	v_add_f32_e32 v10, v13, v6
	v_sub_f32_e32 v7, v7, v15
	v_add_f32_e32 v7, v9, v7
	v_sub_f32_e32 v9, v10, v13
	;; [unrolled: 2-line block ×3, first 2 shown]
	v_sub_f32_e32 v6, v6, v9
	v_add_f32_e32 v12, v11, v7
	v_sub_f32_e32 v9, v13, v10
	v_sub_f32_e32 v10, v12, v11
	v_add_f32_e32 v6, v6, v9
	v_sub_f32_e32 v7, v7, v10
	v_add_f32_e32 v6, v6, v7
	v_add_f32_e32 v7, v12, v6
	v_sub_f32_e32 v9, v7, v12
	v_mul_f32_e32 v10, v4, v7
	v_sub_f32_e32 v6, v6, v9
	v_fma_f32 v7, v4, v7, -v10
	v_cmp_class_f32_e64 vcc_lo, v10, 0x204
	v_fmac_f32_e32 v7, v4, v6
	v_add_f32_e32 v6, v10, v7
	v_cndmask_b32_e32 v9, v6, v10, vcc_lo
	v_sub_f32_e32 v6, v6, v10
	v_cmp_eq_f32_e32 vcc_lo, 0x42b17218, v9
	v_sub_f32_e32 v6, v7, v6
	v_cndmask_b32_e64 v11, 0, 0x37000000, vcc_lo
	v_cmp_neq_f32_e64 vcc_lo, 0x7f800000, |v9|
	v_sub_f32_e32 v12, v9, v11
	v_cndmask_b32_e32 v6, 0, v6, vcc_lo
	v_trunc_f32_e32 v9, v4
	v_mul_f32_e32 v13, 0x3fb8aa3b, v12
	v_cmp_ngt_f32_e32 vcc_lo, 0xc2ce8ed0, v12
	v_add_f32_e32 v6, v11, v6
	v_fma_f32 v14, 0x3fb8aa3b, v12, -v13
	v_rndne_f32_e32 v15, v13
	v_fmac_f32_e32 v14, 0x32a5705f, v12
	v_sub_f32_e32 v13, v13, v15
	v_cvt_i32_f32_e32 v10, v15
	v_add_f32_e32 v13, v13, v14
	v_exp_f32_e32 v13, v13
	v_ldexp_f32 v7, v13, v10
	v_mul_f32_e32 v10, 0.5, v4
	v_cndmask_b32_e32 v7, 0, v7, vcc_lo
	v_cmp_nlt_f32_e32 vcc_lo, 0x42b17218, v12
	v_trunc_f32_e32 v13, v10
	v_cndmask_b32_e32 v7, 0x7f800000, v7, vcc_lo
	v_cmp_eq_f32_e32 vcc_lo, v9, v4
	v_cmp_neq_f32_e64 s1, v13, v10
	v_fma_f32 v6, v7, v6, v7
	v_cmp_class_f32_e64 s2, v7, 0x204
	s_and_b32 s1, vcc_lo, s1
	v_cndmask_b32_e64 v9, 1.0, v8, s1
	v_cndmask_b32_e64 v6, v6, v7, s2
	v_cndmask_b32_e64 v7, 0x7f800000, 0, s25
	v_cmp_gt_f32_e64 s2, 0, v4
	v_bfi_b32 v6, 0x7fffffff, v6, v9
	s_xor_b32 s2, s2, s3
	v_cndmask_b32_e64 v10, 0x7f800000, 0, s2
	v_cndmask_b32_e32 v9, 0x7fc00000, v6, vcc_lo
	v_cmp_neq_f32_e64 vcc_lo, |v8|, 1.0
	v_cndmask_b32_e32 v7, 1.0, v7, vcc_lo
	v_cmp_gt_f32_e32 vcc_lo, 0, v8
	v_cndmask_b32_e32 v6, v6, v9, vcc_lo
	v_cndmask_b32_e64 v9, 0, v8, s1
	v_cmp_class_f32_e64 vcc_lo, v4, 0x204
	v_cmp_class_f32_e64 s1, v8, 0x204
	v_cndmask_b32_e32 v6, v6, v7, vcc_lo
	v_bfi_b32 v7, 0x7fffffff, v10, v9
	s_or_b32 vcc_lo, s3, s1
	v_cndmask_b32_e32 v6, v6, v7, vcc_lo
	v_cmp_o_f32_e32 vcc_lo, v8, v4
	v_cndmask_b32_e32 v4, 0x7fc00000, v6, vcc_lo
	s_cbranch_execnz .LBB261_6
	s_branch .LBB261_11
.LBB261_10:                             ;   in Loop: Header=BB261_7 Depth=1
                                        ; implicit-def: $vgpr4
.LBB261_11:                             ;   in Loop: Header=BB261_7 Depth=1
	v_mul_f32_e32 v4, v3, v3
	s_branch .LBB261_6
.LBB261_12:
	s_or_b32 exec_lo, exec_lo, s23
.LBB261_13:
	s_or_b32 exec_lo, exec_lo, s12
; %bb.14:
	v_mbcnt_lo_u32_b32 v6, -1, 0
	s_mov_b32 s1, exec_lo
	s_waitcnt lgkmcnt(0)
	s_barrier
	buffer_gl0_inv
	v_lshl_or_b32 v2, v6, 2, 64
	v_cmp_gt_u32_e32 vcc_lo, 24, v6
	ds_bpermute_b32 v4, v2, v5
	v_cndmask_b32_e64 v3, 0, 8, vcc_lo
	v_cmp_gt_u32_e32 vcc_lo, 28, v6
	v_add_lshl_u32 v3, v3, v6, 2
	s_waitcnt lgkmcnt(0)
	v_add_f32_e32 v5, v5, v4
	v_cndmask_b32_e64 v4, 0, 4, vcc_lo
	v_cmp_gt_u32_e32 vcc_lo, 30, v6
	ds_bpermute_b32 v7, v3, v5
	v_add_lshl_u32 v4, v4, v6, 2
	s_waitcnt lgkmcnt(0)
	v_add_f32_e32 v7, v5, v7
	v_cndmask_b32_e64 v5, 0, 2, vcc_lo
	v_cmp_ne_u32_e32 vcc_lo, 31, v6
	ds_bpermute_b32 v8, v4, v7
	v_add_lshl_u32 v5, v5, v6, 2
	v_add_co_ci_u32_e64 v6, null, 0, v6, vcc_lo
	v_lshlrev_b32_e32 v6, 2, v6
	s_waitcnt lgkmcnt(0)
	v_add_f32_e32 v7, v7, v8
	ds_bpermute_b32 v8, v5, v7
	s_waitcnt lgkmcnt(0)
	v_add_f32_e32 v7, v7, v8
	v_and_b32_e32 v8, 31, v0
	ds_bpermute_b32 v9, v6, v7
	v_cmpx_eq_u32_e32 0, v8
	s_cbranch_execz .LBB261_16
; %bb.15:
	v_lshrrev_b32_e32 v10, 3, v0
	s_waitcnt lgkmcnt(0)
	v_add_f32_e32 v7, v7, v9
	v_add_nc_u32_e32 v9, 0, v10
	ds_write_b32 v9, v7
.LBB261_16:
	s_or_b32 exec_lo, exec_lo, s1
	s_waitcnt lgkmcnt(0)
	s_barrier
	buffer_gl0_inv
	s_load_dword s4, s[4:5], 0x4c
	v_mov_b32_e32 v7, 0
	s_waitcnt lgkmcnt(0)
	s_bfe_u32 s1, s4, 0xb0005
	v_cmp_gt_u32_e32 vcc_lo, s1, v0
	s_and_saveexec_b32 s1, vcc_lo
; %bb.17:
	v_lshl_add_u32 v7, v8, 2, 0
	ds_read_b32 v7, v7
; %bb.18:
	s_or_b32 exec_lo, exec_lo, s1
	s_mov_b32 s1, exec_lo
	v_cmpx_gt_u32_e32 32, v0
	s_cbranch_execz .LBB261_20
; %bb.19:
	s_waitcnt lgkmcnt(0)
	ds_bpermute_b32 v2, v2, v7
	s_waitcnt lgkmcnt(0)
	v_add_f32_e32 v2, v7, v2
	ds_bpermute_b32 v3, v3, v2
	s_waitcnt lgkmcnt(0)
	v_add_f32_e32 v2, v2, v3
	;; [unrolled: 3-line block ×5, first 2 shown]
.LBB261_20:
	s_or_b32 exec_lo, exec_lo, s1
	s_mov_b32 s5, exec_lo
	v_cmpx_eq_u32_e32 0, v0
	s_cbranch_execz .LBB261_22
; %bb.21:
	v_div_scale_f32 v2, null, s11, s11, 1.0
	v_div_scale_f32 v5, vcc_lo, 1.0, s11, 1.0
	s_mov_b32 s1, 0x3e76c4e1
	v_rcp_f32_e32 v3, v2
	v_fma_f32 v4, -v2, v3, 1.0
	v_fmac_f32_e32 v3, v4, v3
	v_mul_f32_e32 v4, v5, v3
	v_fma_f32 v6, -v2, v4, v5
	v_fmac_f32_e32 v4, v6, v3
	v_fma_f32 v2, -v2, v4, v5
	v_div_fmas_f32 v2, v2, v3, v4
	s_waitcnt lgkmcnt(0)
	v_cmp_neq_f32_e32 vcc_lo, 1.0, v7
	v_div_fixup_f32 v2, v2, s11, 1.0
	v_cndmask_b32_e32 v4, 1.0, v2, vcc_lo
	v_cmp_neq_f32_e32 vcc_lo, 0, v4
	v_cmp_neq_f32_e64 s11, v4, |v4|
	v_cndmask_b32_e32 v5, 1.0, v7, vcc_lo
	v_frexp_mant_f32_e64 v2, |v5|
	v_cmp_lt_f32_e64 s12, |v5|, 1.0
	v_cmp_eq_f32_e64 s3, 0, v5
	v_cmp_gt_f32_e32 vcc_lo, 0x3f2aaaab, v2
	s_xor_b32 s11, s11, s12
	v_cndmask_b32_e64 v3, 1.0, 2.0, vcc_lo
	v_mul_f32_e32 v2, v2, v3
	v_add_f32_e32 v3, 1.0, v2
	v_add_f32_e32 v7, -1.0, v2
	v_rcp_f32_e32 v6, v3
	v_add_f32_e32 v9, -1.0, v3
	v_sub_f32_e32 v2, v2, v9
	v_mul_f32_e32 v8, v7, v6
	v_mul_f32_e32 v10, v3, v8
	v_fma_f32 v3, v8, v3, -v10
	v_fmac_f32_e32 v3, v8, v2
	v_add_f32_e32 v2, v10, v3
	v_sub_f32_e32 v9, v7, v2
	v_sub_f32_e32 v10, v2, v10
	;; [unrolled: 1-line block ×5, first 2 shown]
	v_add_f32_e32 v2, v3, v2
	v_add_f32_e32 v2, v9, v2
	v_mul_f32_e32 v2, v6, v2
	v_add_f32_e32 v6, v8, v2
	v_sub_f32_e32 v3, v6, v8
	v_mul_f32_e32 v7, v6, v6
	v_sub_f32_e32 v8, v2, v3
	v_fma_f32 v2, v6, v6, -v7
	v_add_f32_e32 v3, v8, v8
	v_fmac_f32_e32 v2, v6, v3
	v_add_f32_e32 v9, v7, v2
	v_fmaak_f32 v3, s1, v9, 0x3e91f4c4
	v_sub_f32_e32 v7, v9, v7
	v_mul_f32_e32 v14, v6, v9
	v_fmaak_f32 v3, v9, v3, 0x3ecccdef
	v_sub_f32_e32 v7, v2, v7
	v_fma_f32 v15, v9, v6, -v14
	v_mul_f32_e32 v10, v9, v3
	v_fmac_f32_e32 v15, v9, v8
	v_ldexp_f32 v8, v8, 1
	v_fma_f32 v11, v9, v3, -v10
	v_fmac_f32_e32 v15, v7, v6
	v_fmac_f32_e32 v11, v7, v3
	v_cvt_f64_f32_e64 v[2:3], |v5|
	v_add_f32_e32 v12, v10, v11
	v_sub_f32_e32 v10, v12, v10
	v_add_f32_e32 v13, 0x3f2aaaaa, v12
	v_sub_f32_e32 v10, v11, v10
	v_add_f32_e32 v11, 0xbf2aaaaa, v13
	v_add_f32_e32 v10, 0x31739010, v10
	v_sub_f32_e32 v11, v12, v11
	v_frexp_exp_i32_f64_e32 v2, v[2:3]
	v_add_f32_e32 v9, v10, v11
	v_add_f32_e32 v10, v14, v15
	;; [unrolled: 1-line block ×3, first 2 shown]
	v_sub_f32_e32 v12, v10, v14
	v_sub_f32_e32 v3, v13, v7
	v_mul_f32_e32 v11, v10, v7
	v_sub_f32_e32 v12, v15, v12
	v_add_f32_e32 v3, v9, v3
	v_fma_f32 v9, v10, v7, -v11
	v_subrev_co_ci_u32_e64 v2, null, 0, v2, vcc_lo
	v_fmac_f32_e32 v9, v10, v3
	v_ldexp_f32 v3, v6, 1
	v_cvt_f32_i32_e32 v2, v2
	v_fmac_f32_e32 v9, v12, v7
	v_add_f32_e32 v6, v11, v9
	v_add_f32_e32 v7, v3, v6
	v_sub_f32_e32 v10, v6, v11
	v_mul_f32_e32 v11, 0x3f317218, v2
	v_sub_f32_e32 v3, v7, v3
	v_sub_f32_e32 v9, v9, v10
	v_fma_f32 v10, 0x3f317218, v2, -v11
	v_sub_f32_e32 v3, v6, v3
	v_add_f32_e32 v6, v8, v9
	v_fmamk_f32 v2, v2, 0xb102e308, v10
	v_add_f32_e32 v3, v6, v3
	v_add_f32_e32 v6, v11, v2
	;; [unrolled: 1-line block ×3, first 2 shown]
	v_sub_f32_e32 v11, v6, v11
	v_add_f32_e32 v9, v6, v8
	v_sub_f32_e32 v7, v8, v7
	v_sub_f32_e32 v2, v2, v11
	;; [unrolled: 1-line block ×6, first 2 shown]
	v_add_f32_e32 v8, v2, v3
	v_sub_f32_e32 v6, v6, v12
	v_add_f32_e32 v6, v7, v6
	v_sub_f32_e32 v7, v8, v2
	;; [unrolled: 2-line block ×3, first 2 shown]
	v_sub_f32_e32 v3, v3, v7
	v_add_f32_e32 v10, v9, v6
	v_sub_f32_e32 v2, v2, v8
	v_sub_f32_e32 v7, v10, v9
	v_add_f32_e32 v2, v3, v2
	v_sub_f32_e32 v3, v6, v7
	v_add_f32_e32 v2, v2, v3
	v_add_f32_e32 v3, v10, v2
	v_sub_f32_e32 v6, v3, v10
	v_mul_f32_e32 v7, v4, v3
	v_sub_f32_e32 v2, v2, v6
	v_fma_f32 v3, v4, v3, -v7
	v_cmp_class_f32_e64 vcc_lo, v7, 0x204
	v_fmac_f32_e32 v3, v4, v2
	v_add_f32_e32 v2, v7, v3
	v_cndmask_b32_e32 v6, v2, v7, vcc_lo
	v_sub_f32_e32 v2, v2, v7
	v_cmp_eq_f32_e32 vcc_lo, 0x42b17218, v6
	v_sub_f32_e32 v2, v3, v2
	v_cndmask_b32_e64 v8, 0, 0x37000000, vcc_lo
	v_cmp_neq_f32_e64 vcc_lo, 0x7f800000, |v6|
	v_sub_f32_e32 v9, v6, v8
	v_cndmask_b32_e32 v2, 0, v2, vcc_lo
	v_trunc_f32_e32 v6, v4
	v_mul_f32_e32 v10, 0x3fb8aa3b, v9
	v_cmp_ngt_f32_e32 vcc_lo, 0xc2ce8ed0, v9
	v_add_f32_e32 v2, v8, v2
	v_fma_f32 v11, 0x3fb8aa3b, v9, -v10
	v_rndne_f32_e32 v12, v10
	v_fmamk_f32 v11, v9, 0x32a5705f, v11
	v_sub_f32_e32 v10, v10, v12
	v_cvt_i32_f32_e32 v7, v12
	v_add_f32_e32 v10, v10, v11
	v_exp_f32_e32 v10, v10
	v_ldexp_f32 v3, v10, v7
	v_mul_f32_e32 v7, 0.5, v4
	v_cndmask_b32_e32 v3, 0, v3, vcc_lo
	v_cmp_nlt_f32_e32 vcc_lo, 0x42b17218, v9
	v_trunc_f32_e32 v10, v7
	v_cndmask_b32_e32 v3, 0x7f800000, v3, vcc_lo
	v_cmp_eq_f32_e32 vcc_lo, v6, v4
	v_cmp_neq_f32_e64 s1, v10, v7
	v_fma_f32 v2, v3, v2, v3
	v_cmp_class_f32_e64 s2, v3, 0x204
	s_and_b32 s1, vcc_lo, s1
	v_cndmask_b32_e64 v6, 1.0, v5, s1
	v_cndmask_b32_e64 v8, 0, v5, s1
	v_cndmask_b32_e64 v2, v2, v3, s2
	v_cndmask_b32_e64 v3, 0x7f800000, 0, s11
	v_cmp_gt_f32_e64 s2, 0, v4
	v_cmp_class_f32_e64 s1, v5, 0x204
	v_bfi_b32 v2, 0x7fffffff, v2, v6
	s_xor_b32 s2, s2, s3
	v_cndmask_b32_e64 v6, 0x7f800000, 0, s2
	v_cndmask_b32_e32 v7, 0x7fc00000, v2, vcc_lo
	v_cmp_neq_f32_e64 vcc_lo, |v5|, 1.0
	v_bfi_b32 v6, 0x7fffffff, v6, v8
	v_cndmask_b32_e32 v3, 1.0, v3, vcc_lo
	v_cmp_gt_f32_e32 vcc_lo, 0, v5
	v_cndmask_b32_e32 v2, v2, v7, vcc_lo
	v_cmp_class_f32_e64 vcc_lo, v4, 0x204
	v_cndmask_b32_e32 v2, v2, v3, vcc_lo
	s_or_b32 vcc_lo, s3, s1
	v_mov_b32_e32 v3, 0
	v_cndmask_b32_e32 v2, v2, v6, vcc_lo
	v_cmp_o_f32_e32 vcc_lo, v5, v4
	v_cndmask_b32_e32 v2, 0x7fc00000, v2, vcc_lo
	ds_write_b32 v3, v2
.LBB261_22:
	s_or_b32 exec_lo, exec_lo, s5
	v_mov_b32_e32 v2, 0
	s_waitcnt lgkmcnt(0)
	s_barrier
	buffer_gl0_inv
	s_xor_b32 s0, s0, -1
	ds_read_b32 v2, v2
	s_mov_b32 s1, 0
	s_waitcnt lgkmcnt(0)
	v_cmp_lt_f32_e32 vcc_lo, s10, v2
	s_and_b32 s0, vcc_lo, s0
	s_and_saveexec_b32 s2, s0
	s_cbranch_execz .LBB261_25
; %bb.23:
	v_cvt_f64_f32_e32 v[2:3], v2
	s_mov_b32 s12, 0x9abcaf48
	s_mov_b32 s13, 0x3e7ad7f2
	v_cvt_f64_f32_e32 v[4:5], s10
	s_and_b32 s3, 0xffff, s4
	s_lshl_b64 s[4:5], s[6:7], 1
	s_add_u32 s4, s16, s4
	s_addc_u32 s5, s17, s5
	v_add_f64 v[2:3], v[2:3], s[12:13]
	v_div_scale_f64 v[6:7], null, v[2:3], v[2:3], v[4:5]
	v_div_scale_f64 v[12:13], vcc_lo, v[4:5], v[2:3], v[4:5]
	v_rcp_f64_e32 v[8:9], v[6:7]
	v_fma_f64 v[10:11], -v[6:7], v[8:9], 1.0
	v_fma_f64 v[8:9], v[8:9], v[10:11], v[8:9]
	v_fma_f64 v[10:11], -v[6:7], v[8:9], 1.0
	v_fma_f64 v[8:9], v[8:9], v[10:11], v[8:9]
	v_mul_f64 v[10:11], v[12:13], v[8:9]
	v_fma_f64 v[6:7], -v[6:7], v[10:11], v[12:13]
	v_div_fmas_f64 v[6:7], v[6:7], v[8:9], v[10:11]
	v_div_fixup_f64 v[2:3], v[6:7], v[2:3], v[4:5]
	v_mov_b32_e32 v5, 0x7fc0
	v_cvt_f32_f64_e32 v3, v[2:3]
	v_bfe_u32 v2, v3, 16, 1
	v_cmp_o_f32_e32 vcc_lo, v3, v3
	v_add_nc_u32_e32 v2, v3, v2
	v_add_nc_u32_e32 v2, 0x7fff, v2
	v_and_b32_e32 v4, 0xffff0000, v2
	v_add_nc_u32_e32 v2, s3, v0
	v_cndmask_b32_e32 v4, 0x7fc00000, v4, vcc_lo
	s_inst_prefetch 0x1
	.p2align	6
.LBB261_24:                             ; =>This Inner Loop Header: Depth=1
	v_mul_lo_u32 v3, v1, s14
	v_mul_lo_u32 v6, v0, s15
	v_mad_u64_u32 v[0:1], null, v0, s14, 0
	v_add3_u32 v1, v1, v6, v3
	v_ashrrev_i32_e32 v3, 31, v2
	v_lshlrev_b64 v[0:1], 1, v[0:1]
	v_cmp_le_i64_e64 s0, s[8:9], v[2:3]
	v_add_co_u32 v6, vcc_lo, s4, v0
	v_add_co_ci_u32_e64 v7, null, s5, v1, vcc_lo
	s_or_b32 s1, s0, s1
	global_load_ushort v0, v[6:7], off
	s_waitcnt vmcnt(0)
	v_lshlrev_b32_e32 v0, 16, v0
	v_mul_f32_e32 v0, v4, v0
	v_bfe_u32 v1, v0, 16, 1
	v_cmp_o_f32_e32 vcc_lo, v0, v0
	v_add3_u32 v8, v0, v1, 0x7fff
	v_mov_b32_e32 v0, v2
	v_mov_b32_e32 v1, v3
	v_add_nc_u32_e32 v2, s3, v2
	v_cndmask_b32_sdwa v3, v5, v8, vcc_lo dst_sel:DWORD dst_unused:UNUSED_PAD src0_sel:DWORD src1_sel:WORD_1
	global_store_short v[6:7], v3, off
	s_andn2_b32 exec_lo, exec_lo, s1
	s_cbranch_execnz .LBB261_24
.LBB261_25:
	s_inst_prefetch 0x2
	s_or_b32 exec_lo, exec_lo, s2
.LBB261_26:
	s_and_b32 vcc_lo, exec_lo, s18
	s_cbranch_vccnz .LBB261_29
.LBB261_27:
	s_endpgm
.LBB261_28:
	s_cbranch_execz .LBB261_27
.LBB261_29:
	s_trap 2
	; divergent unreachable
	s_endpgm
	.section	.rodata,"a",@progbits
	.p2align	6, 0x0
	.amdhsa_kernel _ZN2at6native12_GLOBAL__N_113renorm_kernelIN3c108BFloat16EfKlEEvPT_PT1_T0_SA_llllPS5_
		.amdhsa_group_segment_fixed_size 0
		.amdhsa_private_segment_fixed_size 0
		.amdhsa_kernarg_size 320
		.amdhsa_user_sgpr_count 6
		.amdhsa_user_sgpr_private_segment_buffer 1
		.amdhsa_user_sgpr_dispatch_ptr 0
		.amdhsa_user_sgpr_queue_ptr 0
		.amdhsa_user_sgpr_kernarg_segment_ptr 1
		.amdhsa_user_sgpr_dispatch_id 0
		.amdhsa_user_sgpr_flat_scratch_init 0
		.amdhsa_user_sgpr_private_segment_size 0
		.amdhsa_wavefront_size32 1
		.amdhsa_uses_dynamic_stack 0
		.amdhsa_system_sgpr_private_segment_wavefront_offset 0
		.amdhsa_system_sgpr_workgroup_id_x 1
		.amdhsa_system_sgpr_workgroup_id_y 0
		.amdhsa_system_sgpr_workgroup_id_z 0
		.amdhsa_system_sgpr_workgroup_info 0
		.amdhsa_system_vgpr_workitem_id 0
		.amdhsa_next_free_vgpr 19
		.amdhsa_next_free_sgpr 27
		.amdhsa_reserve_vcc 1
		.amdhsa_reserve_flat_scratch 0
		.amdhsa_float_round_mode_32 0
		.amdhsa_float_round_mode_16_64 0
		.amdhsa_float_denorm_mode_32 3
		.amdhsa_float_denorm_mode_16_64 3
		.amdhsa_dx10_clamp 1
		.amdhsa_ieee_mode 1
		.amdhsa_fp16_overflow 0
		.amdhsa_workgroup_processor_mode 1
		.amdhsa_memory_ordered 1
		.amdhsa_forward_progress 1
		.amdhsa_shared_vgpr_count 0
		.amdhsa_exception_fp_ieee_invalid_op 0
		.amdhsa_exception_fp_denorm_src 0
		.amdhsa_exception_fp_ieee_div_zero 0
		.amdhsa_exception_fp_ieee_overflow 0
		.amdhsa_exception_fp_ieee_underflow 0
		.amdhsa_exception_fp_ieee_inexact 0
		.amdhsa_exception_int_div_zero 0
	.end_amdhsa_kernel
	.section	.text._ZN2at6native12_GLOBAL__N_113renorm_kernelIN3c108BFloat16EfKlEEvPT_PT1_T0_SA_llllPS5_,"axG",@progbits,_ZN2at6native12_GLOBAL__N_113renorm_kernelIN3c108BFloat16EfKlEEvPT_PT1_T0_SA_llllPS5_,comdat
.Lfunc_end261:
	.size	_ZN2at6native12_GLOBAL__N_113renorm_kernelIN3c108BFloat16EfKlEEvPT_PT1_T0_SA_llllPS5_, .Lfunc_end261-_ZN2at6native12_GLOBAL__N_113renorm_kernelIN3c108BFloat16EfKlEEvPT_PT1_T0_SA_llllPS5_
                                        ; -- End function
	.set _ZN2at6native12_GLOBAL__N_113renorm_kernelIN3c108BFloat16EfKlEEvPT_PT1_T0_SA_llllPS5_.num_vgpr, 19
	.set _ZN2at6native12_GLOBAL__N_113renorm_kernelIN3c108BFloat16EfKlEEvPT_PT1_T0_SA_llllPS5_.num_agpr, 0
	.set _ZN2at6native12_GLOBAL__N_113renorm_kernelIN3c108BFloat16EfKlEEvPT_PT1_T0_SA_llllPS5_.numbered_sgpr, 27
	.set _ZN2at6native12_GLOBAL__N_113renorm_kernelIN3c108BFloat16EfKlEEvPT_PT1_T0_SA_llllPS5_.num_named_barrier, 0
	.set _ZN2at6native12_GLOBAL__N_113renorm_kernelIN3c108BFloat16EfKlEEvPT_PT1_T0_SA_llllPS5_.private_seg_size, 0
	.set _ZN2at6native12_GLOBAL__N_113renorm_kernelIN3c108BFloat16EfKlEEvPT_PT1_T0_SA_llllPS5_.uses_vcc, 1
	.set _ZN2at6native12_GLOBAL__N_113renorm_kernelIN3c108BFloat16EfKlEEvPT_PT1_T0_SA_llllPS5_.uses_flat_scratch, 0
	.set _ZN2at6native12_GLOBAL__N_113renorm_kernelIN3c108BFloat16EfKlEEvPT_PT1_T0_SA_llllPS5_.has_dyn_sized_stack, 0
	.set _ZN2at6native12_GLOBAL__N_113renorm_kernelIN3c108BFloat16EfKlEEvPT_PT1_T0_SA_llllPS5_.has_recursion, 0
	.set _ZN2at6native12_GLOBAL__N_113renorm_kernelIN3c108BFloat16EfKlEEvPT_PT1_T0_SA_llllPS5_.has_indirect_call, 0
	.section	.AMDGPU.csdata,"",@progbits
; Kernel info:
; codeLenInByte = 3256
; TotalNumSgprs: 29
; NumVgprs: 19
; ScratchSize: 0
; MemoryBound: 0
; FloatMode: 240
; IeeeMode: 1
; LDSByteSize: 0 bytes/workgroup (compile time only)
; SGPRBlocks: 0
; VGPRBlocks: 2
; NumSGPRsForWavesPerEU: 29
; NumVGPRsForWavesPerEU: 19
; Occupancy: 16
; WaveLimiterHint : 1
; COMPUTE_PGM_RSRC2:SCRATCH_EN: 0
; COMPUTE_PGM_RSRC2:USER_SGPR: 6
; COMPUTE_PGM_RSRC2:TRAP_HANDLER: 0
; COMPUTE_PGM_RSRC2:TGID_X_EN: 1
; COMPUTE_PGM_RSRC2:TGID_Y_EN: 0
; COMPUTE_PGM_RSRC2:TGID_Z_EN: 0
; COMPUTE_PGM_RSRC2:TIDIG_COMP_CNT: 0
	.section	.AMDGPU.gpr_maximums,"",@progbits
	.set amdgpu.max_num_vgpr, 0
	.set amdgpu.max_num_agpr, 0
	.set amdgpu.max_num_sgpr, 0
	.section	.AMDGPU.csdata,"",@progbits
	.type	.str.4,@object                  ; @.str.4
	.section	.rodata.str1.1,"aMS",@progbits,1
.str.4:
	.asciz	"embedding_renorm_: index out of bounds"
	.size	.str.4, 39

	.type	__hip_cuid_bee672adbe98e207,@object ; @__hip_cuid_bee672adbe98e207
	.section	.bss,"aw",@nobits
	.globl	__hip_cuid_bee672adbe98e207
__hip_cuid_bee672adbe98e207:
	.byte	0                               ; 0x0
	.size	__hip_cuid_bee672adbe98e207, 1

	.ident	"AMD clang version 22.0.0git (https://github.com/RadeonOpenCompute/llvm-project roc-7.2.4 26084 f58b06dce1f9c15707c5f808fd002e18c2accf7e)"
	.section	".note.GNU-stack","",@progbits
	.addrsig
	.addrsig_sym __hip_cuid_bee672adbe98e207
	.amdgpu_metadata
---
amdhsa.kernels:
  - .args:
      - .address_space:  global
        .offset:         0
        .size:           8
        .value_kind:     global_buffer
      - .actual_access:  read_only
        .address_space:  global
        .offset:         8
        .size:           8
        .value_kind:     global_buffer
      - .address_space:  global
        .offset:         16
        .size:           8
        .value_kind:     global_buffer
      - .offset:         24
        .size:           4
        .value_kind:     by_value
      - .offset:         32
        .size:           8
        .value_kind:     by_value
      - .offset:         40
        .size:           4
        .value_kind:     by_value
      - .offset:         48
        .size:           4
        .value_kind:     hidden_block_count_x
      - .offset:         52
        .size:           4
        .value_kind:     hidden_block_count_y
      - .offset:         56
        .size:           4
        .value_kind:     hidden_block_count_z
      - .offset:         60
        .size:           2
        .value_kind:     hidden_group_size_x
      - .offset:         62
        .size:           2
        .value_kind:     hidden_group_size_y
      - .offset:         64
        .size:           2
        .value_kind:     hidden_group_size_z
      - .offset:         66
        .size:           2
        .value_kind:     hidden_remainder_x
      - .offset:         68
        .size:           2
        .value_kind:     hidden_remainder_y
      - .offset:         70
        .size:           2
        .value_kind:     hidden_remainder_z
      - .offset:         88
        .size:           8
        .value_kind:     hidden_global_offset_x
      - .offset:         96
        .size:           8
        .value_kind:     hidden_global_offset_y
      - .offset:         104
        .size:           8
        .value_kind:     hidden_global_offset_z
      - .offset:         112
        .size:           2
        .value_kind:     hidden_grid_dims
      - .offset:         168
        .size:           4
        .value_kind:     hidden_dynamic_lds_size
    .group_segment_fixed_size: 0
    .kernarg_segment_align: 8
    .kernarg_segment_size: 304
    .language:       OpenCL C
    .language_version:
      - 2
      - 0
    .max_flat_workgroup_size: 1024
    .name:           _ZN2at6native12_GLOBAL__N_133embedding_backward_feature_kernelIddiEEvPKT1_PKT_PS6_ili
    .private_segment_fixed_size: 0
    .sgpr_count:     21
    .sgpr_spill_count: 0
    .symbol:         _ZN2at6native12_GLOBAL__N_133embedding_backward_feature_kernelIddiEEvPKT1_PKT_PS6_ili.kd
    .uniform_work_group_size: 1
    .uses_dynamic_stack: false
    .vgpr_count:     22
    .vgpr_spill_count: 0
    .wavefront_size: 32
    .workgroup_processor_mode: 1
  - .args:
      - .address_space:  global
        .offset:         0
        .size:           8
        .value_kind:     global_buffer
      - .actual_access:  read_only
        .address_space:  global
        .offset:         8
        .size:           8
        .value_kind:     global_buffer
      - .address_space:  global
        .offset:         16
        .size:           8
        .value_kind:     global_buffer
      - .offset:         24
        .size:           4
        .value_kind:     by_value
      - .offset:         32
        .size:           8
        .value_kind:     by_value
      - .offset:         40
        .size:           4
        .value_kind:     by_value
      - .offset:         48
        .size:           4
        .value_kind:     hidden_block_count_x
      - .offset:         52
        .size:           4
        .value_kind:     hidden_block_count_y
      - .offset:         56
        .size:           4
        .value_kind:     hidden_block_count_z
      - .offset:         60
        .size:           2
        .value_kind:     hidden_group_size_x
      - .offset:         62
        .size:           2
        .value_kind:     hidden_group_size_y
      - .offset:         64
        .size:           2
        .value_kind:     hidden_group_size_z
      - .offset:         66
        .size:           2
        .value_kind:     hidden_remainder_x
      - .offset:         68
        .size:           2
        .value_kind:     hidden_remainder_y
      - .offset:         70
        .size:           2
        .value_kind:     hidden_remainder_z
      - .offset:         88
        .size:           8
        .value_kind:     hidden_global_offset_x
      - .offset:         96
        .size:           8
        .value_kind:     hidden_global_offset_y
      - .offset:         104
        .size:           8
        .value_kind:     hidden_global_offset_z
      - .offset:         112
        .size:           2
        .value_kind:     hidden_grid_dims
      - .offset:         168
        .size:           4
        .value_kind:     hidden_dynamic_lds_size
    .group_segment_fixed_size: 0
    .kernarg_segment_align: 8
    .kernarg_segment_size: 304
    .language:       OpenCL C
    .language_version:
      - 2
      - 0
    .max_flat_workgroup_size: 1024
    .name:           _ZN2at6native12_GLOBAL__N_133embedding_backward_feature_kernelIddlEEvPKT1_PKT_PS6_ili
    .private_segment_fixed_size: 0
    .sgpr_count:     21
    .sgpr_spill_count: 0
    .symbol:         _ZN2at6native12_GLOBAL__N_133embedding_backward_feature_kernelIddlEEvPKT1_PKT_PS6_ili.kd
    .uniform_work_group_size: 1
    .uses_dynamic_stack: false
    .vgpr_count:     22
    .vgpr_spill_count: 0
    .wavefront_size: 32
    .workgroup_processor_mode: 1
  - .args:
      - .address_space:  global
        .offset:         0
        .size:           8
        .value_kind:     global_buffer
      - .actual_access:  read_only
        .address_space:  global
        .offset:         8
        .size:           8
        .value_kind:     global_buffer
      - .address_space:  global
        .offset:         16
        .size:           8
        .value_kind:     global_buffer
      - .offset:         24
        .size:           4
        .value_kind:     by_value
      - .offset:         32
        .size:           8
        .value_kind:     by_value
      - .offset:         40
        .size:           4
        .value_kind:     by_value
      - .offset:         48
        .size:           4
        .value_kind:     hidden_block_count_x
      - .offset:         52
        .size:           4
        .value_kind:     hidden_block_count_y
      - .offset:         56
        .size:           4
        .value_kind:     hidden_block_count_z
      - .offset:         60
        .size:           2
        .value_kind:     hidden_group_size_x
      - .offset:         62
        .size:           2
        .value_kind:     hidden_group_size_y
      - .offset:         64
        .size:           2
        .value_kind:     hidden_group_size_z
      - .offset:         66
        .size:           2
        .value_kind:     hidden_remainder_x
      - .offset:         68
        .size:           2
        .value_kind:     hidden_remainder_y
      - .offset:         70
        .size:           2
        .value_kind:     hidden_remainder_z
      - .offset:         88
        .size:           8
        .value_kind:     hidden_global_offset_x
      - .offset:         96
        .size:           8
        .value_kind:     hidden_global_offset_y
      - .offset:         104
        .size:           8
        .value_kind:     hidden_global_offset_z
      - .offset:         112
        .size:           2
        .value_kind:     hidden_grid_dims
      - .offset:         168
        .size:           4
        .value_kind:     hidden_dynamic_lds_size
    .group_segment_fixed_size: 0
    .kernarg_segment_align: 8
    .kernarg_segment_size: 304
    .language:       OpenCL C
    .language_version:
      - 2
      - 0
    .max_flat_workgroup_size: 1024
    .name:           _ZN2at6native12_GLOBAL__N_133embedding_backward_feature_kernelIffiEEvPKT1_PKT_PS6_ili
    .private_segment_fixed_size: 0
    .sgpr_count:     21
    .sgpr_spill_count: 0
    .symbol:         _ZN2at6native12_GLOBAL__N_133embedding_backward_feature_kernelIffiEEvPKT1_PKT_PS6_ili.kd
    .uniform_work_group_size: 1
    .uses_dynamic_stack: false
    .vgpr_count:     22
    .vgpr_spill_count: 0
    .wavefront_size: 32
    .workgroup_processor_mode: 1
  - .args:
      - .address_space:  global
        .offset:         0
        .size:           8
        .value_kind:     global_buffer
      - .actual_access:  read_only
        .address_space:  global
        .offset:         8
        .size:           8
        .value_kind:     global_buffer
      - .address_space:  global
        .offset:         16
        .size:           8
        .value_kind:     global_buffer
      - .offset:         24
        .size:           4
        .value_kind:     by_value
      - .offset:         32
        .size:           8
        .value_kind:     by_value
      - .offset:         40
        .size:           4
        .value_kind:     by_value
      - .offset:         48
        .size:           4
        .value_kind:     hidden_block_count_x
      - .offset:         52
        .size:           4
        .value_kind:     hidden_block_count_y
      - .offset:         56
        .size:           4
        .value_kind:     hidden_block_count_z
      - .offset:         60
        .size:           2
        .value_kind:     hidden_group_size_x
      - .offset:         62
        .size:           2
        .value_kind:     hidden_group_size_y
      - .offset:         64
        .size:           2
        .value_kind:     hidden_group_size_z
      - .offset:         66
        .size:           2
        .value_kind:     hidden_remainder_x
      - .offset:         68
        .size:           2
        .value_kind:     hidden_remainder_y
      - .offset:         70
        .size:           2
        .value_kind:     hidden_remainder_z
      - .offset:         88
        .size:           8
        .value_kind:     hidden_global_offset_x
      - .offset:         96
        .size:           8
        .value_kind:     hidden_global_offset_y
      - .offset:         104
        .size:           8
        .value_kind:     hidden_global_offset_z
      - .offset:         112
        .size:           2
        .value_kind:     hidden_grid_dims
      - .offset:         168
        .size:           4
        .value_kind:     hidden_dynamic_lds_size
    .group_segment_fixed_size: 0
    .kernarg_segment_align: 8
    .kernarg_segment_size: 304
    .language:       OpenCL C
    .language_version:
      - 2
      - 0
    .max_flat_workgroup_size: 1024
    .name:           _ZN2at6native12_GLOBAL__N_133embedding_backward_feature_kernelIfflEEvPKT1_PKT_PS6_ili
    .private_segment_fixed_size: 0
    .sgpr_count:     21
    .sgpr_spill_count: 0
    .symbol:         _ZN2at6native12_GLOBAL__N_133embedding_backward_feature_kernelIfflEEvPKT1_PKT_PS6_ili.kd
    .uniform_work_group_size: 1
    .uses_dynamic_stack: false
    .vgpr_count:     22
    .vgpr_spill_count: 0
    .wavefront_size: 32
    .workgroup_processor_mode: 1
  - .args:
      - .address_space:  global
        .offset:         0
        .size:           8
        .value_kind:     global_buffer
      - .actual_access:  read_only
        .address_space:  global
        .offset:         8
        .size:           8
        .value_kind:     global_buffer
      - .address_space:  global
        .offset:         16
        .size:           8
        .value_kind:     global_buffer
      - .offset:         24
        .size:           4
        .value_kind:     by_value
      - .offset:         32
        .size:           8
        .value_kind:     by_value
      - .offset:         40
        .size:           4
        .value_kind:     by_value
      - .offset:         48
        .size:           4
        .value_kind:     hidden_block_count_x
      - .offset:         52
        .size:           4
        .value_kind:     hidden_block_count_y
      - .offset:         56
        .size:           4
        .value_kind:     hidden_block_count_z
      - .offset:         60
        .size:           2
        .value_kind:     hidden_group_size_x
      - .offset:         62
        .size:           2
        .value_kind:     hidden_group_size_y
      - .offset:         64
        .size:           2
        .value_kind:     hidden_group_size_z
      - .offset:         66
        .size:           2
        .value_kind:     hidden_remainder_x
      - .offset:         68
        .size:           2
        .value_kind:     hidden_remainder_y
      - .offset:         70
        .size:           2
        .value_kind:     hidden_remainder_z
      - .offset:         88
        .size:           8
        .value_kind:     hidden_global_offset_x
      - .offset:         96
        .size:           8
        .value_kind:     hidden_global_offset_y
      - .offset:         104
        .size:           8
        .value_kind:     hidden_global_offset_z
      - .offset:         112
        .size:           2
        .value_kind:     hidden_grid_dims
      - .offset:         168
        .size:           4
        .value_kind:     hidden_dynamic_lds_size
    .group_segment_fixed_size: 0
    .kernarg_segment_align: 8
    .kernarg_segment_size: 304
    .language:       OpenCL C
    .language_version:
      - 2
      - 0
    .max_flat_workgroup_size: 1024
    .name:           _ZN2at6native12_GLOBAL__N_133embedding_backward_feature_kernelIN3c104HalfEfiEEvPKT1_PKT_PS8_ili
    .private_segment_fixed_size: 0
    .sgpr_count:     21
    .sgpr_spill_count: 0
    .symbol:         _ZN2at6native12_GLOBAL__N_133embedding_backward_feature_kernelIN3c104HalfEfiEEvPKT1_PKT_PS8_ili.kd
    .uniform_work_group_size: 1
    .uses_dynamic_stack: false
    .vgpr_count:     22
    .vgpr_spill_count: 0
    .wavefront_size: 32
    .workgroup_processor_mode: 1
  - .args:
      - .address_space:  global
        .offset:         0
        .size:           8
        .value_kind:     global_buffer
      - .actual_access:  read_only
        .address_space:  global
        .offset:         8
        .size:           8
        .value_kind:     global_buffer
      - .address_space:  global
        .offset:         16
        .size:           8
        .value_kind:     global_buffer
      - .offset:         24
        .size:           4
        .value_kind:     by_value
      - .offset:         32
        .size:           8
        .value_kind:     by_value
      - .offset:         40
        .size:           4
        .value_kind:     by_value
      - .offset:         48
        .size:           4
        .value_kind:     hidden_block_count_x
      - .offset:         52
        .size:           4
        .value_kind:     hidden_block_count_y
      - .offset:         56
        .size:           4
        .value_kind:     hidden_block_count_z
      - .offset:         60
        .size:           2
        .value_kind:     hidden_group_size_x
      - .offset:         62
        .size:           2
        .value_kind:     hidden_group_size_y
      - .offset:         64
        .size:           2
        .value_kind:     hidden_group_size_z
      - .offset:         66
        .size:           2
        .value_kind:     hidden_remainder_x
      - .offset:         68
        .size:           2
        .value_kind:     hidden_remainder_y
      - .offset:         70
        .size:           2
        .value_kind:     hidden_remainder_z
      - .offset:         88
        .size:           8
        .value_kind:     hidden_global_offset_x
      - .offset:         96
        .size:           8
        .value_kind:     hidden_global_offset_y
      - .offset:         104
        .size:           8
        .value_kind:     hidden_global_offset_z
      - .offset:         112
        .size:           2
        .value_kind:     hidden_grid_dims
      - .offset:         168
        .size:           4
        .value_kind:     hidden_dynamic_lds_size
    .group_segment_fixed_size: 0
    .kernarg_segment_align: 8
    .kernarg_segment_size: 304
    .language:       OpenCL C
    .language_version:
      - 2
      - 0
    .max_flat_workgroup_size: 1024
    .name:           _ZN2at6native12_GLOBAL__N_133embedding_backward_feature_kernelIN3c104HalfEflEEvPKT1_PKT_PS8_ili
    .private_segment_fixed_size: 0
    .sgpr_count:     21
    .sgpr_spill_count: 0
    .symbol:         _ZN2at6native12_GLOBAL__N_133embedding_backward_feature_kernelIN3c104HalfEflEEvPKT1_PKT_PS8_ili.kd
    .uniform_work_group_size: 1
    .uses_dynamic_stack: false
    .vgpr_count:     22
    .vgpr_spill_count: 0
    .wavefront_size: 32
    .workgroup_processor_mode: 1
  - .args:
      - .address_space:  global
        .offset:         0
        .size:           8
        .value_kind:     global_buffer
      - .actual_access:  read_only
        .address_space:  global
        .offset:         8
        .size:           8
        .value_kind:     global_buffer
      - .address_space:  global
        .offset:         16
        .size:           8
        .value_kind:     global_buffer
      - .offset:         24
        .size:           4
        .value_kind:     by_value
      - .offset:         32
        .size:           8
        .value_kind:     by_value
      - .offset:         40
        .size:           4
        .value_kind:     by_value
      - .offset:         48
        .size:           4
        .value_kind:     hidden_block_count_x
      - .offset:         52
        .size:           4
        .value_kind:     hidden_block_count_y
      - .offset:         56
        .size:           4
        .value_kind:     hidden_block_count_z
      - .offset:         60
        .size:           2
        .value_kind:     hidden_group_size_x
      - .offset:         62
        .size:           2
        .value_kind:     hidden_group_size_y
      - .offset:         64
        .size:           2
        .value_kind:     hidden_group_size_z
      - .offset:         66
        .size:           2
        .value_kind:     hidden_remainder_x
      - .offset:         68
        .size:           2
        .value_kind:     hidden_remainder_y
      - .offset:         70
        .size:           2
        .value_kind:     hidden_remainder_z
      - .offset:         88
        .size:           8
        .value_kind:     hidden_global_offset_x
      - .offset:         96
        .size:           8
        .value_kind:     hidden_global_offset_y
      - .offset:         104
        .size:           8
        .value_kind:     hidden_global_offset_z
      - .offset:         112
        .size:           2
        .value_kind:     hidden_grid_dims
      - .offset:         168
        .size:           4
        .value_kind:     hidden_dynamic_lds_size
    .group_segment_fixed_size: 0
    .kernarg_segment_align: 8
    .kernarg_segment_size: 304
    .language:       OpenCL C
    .language_version:
      - 2
      - 0
    .max_flat_workgroup_size: 1024
    .name:           _ZN2at6native12_GLOBAL__N_133embedding_backward_feature_kernelIN3c108BFloat16EfiEEvPKT1_PKT_PS8_ili
    .private_segment_fixed_size: 0
    .sgpr_count:     21
    .sgpr_spill_count: 0
    .symbol:         _ZN2at6native12_GLOBAL__N_133embedding_backward_feature_kernelIN3c108BFloat16EfiEEvPKT1_PKT_PS8_ili.kd
    .uniform_work_group_size: 1
    .uses_dynamic_stack: false
    .vgpr_count:     23
    .vgpr_spill_count: 0
    .wavefront_size: 32
    .workgroup_processor_mode: 1
  - .args:
      - .address_space:  global
        .offset:         0
        .size:           8
        .value_kind:     global_buffer
      - .actual_access:  read_only
        .address_space:  global
        .offset:         8
        .size:           8
        .value_kind:     global_buffer
      - .address_space:  global
        .offset:         16
        .size:           8
        .value_kind:     global_buffer
      - .offset:         24
        .size:           4
        .value_kind:     by_value
      - .offset:         32
        .size:           8
        .value_kind:     by_value
      - .offset:         40
        .size:           4
        .value_kind:     by_value
      - .offset:         48
        .size:           4
        .value_kind:     hidden_block_count_x
      - .offset:         52
        .size:           4
        .value_kind:     hidden_block_count_y
      - .offset:         56
        .size:           4
        .value_kind:     hidden_block_count_z
      - .offset:         60
        .size:           2
        .value_kind:     hidden_group_size_x
      - .offset:         62
        .size:           2
        .value_kind:     hidden_group_size_y
      - .offset:         64
        .size:           2
        .value_kind:     hidden_group_size_z
      - .offset:         66
        .size:           2
        .value_kind:     hidden_remainder_x
      - .offset:         68
        .size:           2
        .value_kind:     hidden_remainder_y
      - .offset:         70
        .size:           2
        .value_kind:     hidden_remainder_z
      - .offset:         88
        .size:           8
        .value_kind:     hidden_global_offset_x
      - .offset:         96
        .size:           8
        .value_kind:     hidden_global_offset_y
      - .offset:         104
        .size:           8
        .value_kind:     hidden_global_offset_z
      - .offset:         112
        .size:           2
        .value_kind:     hidden_grid_dims
      - .offset:         168
        .size:           4
        .value_kind:     hidden_dynamic_lds_size
    .group_segment_fixed_size: 0
    .kernarg_segment_align: 8
    .kernarg_segment_size: 304
    .language:       OpenCL C
    .language_version:
      - 2
      - 0
    .max_flat_workgroup_size: 1024
    .name:           _ZN2at6native12_GLOBAL__N_133embedding_backward_feature_kernelIN3c108BFloat16EflEEvPKT1_PKT_PS8_ili
    .private_segment_fixed_size: 0
    .sgpr_count:     21
    .sgpr_spill_count: 0
    .symbol:         _ZN2at6native12_GLOBAL__N_133embedding_backward_feature_kernelIN3c108BFloat16EflEEvPKT1_PKT_PS8_ili.kd
    .uniform_work_group_size: 1
    .uses_dynamic_stack: false
    .vgpr_count:     23
    .vgpr_spill_count: 0
    .wavefront_size: 32
    .workgroup_processor_mode: 1
  - .args:
      - .address_space:  global
        .offset:         0
        .size:           8
        .value_kind:     global_buffer
      - .offset:         8
        .size:           4
        .value_kind:     by_value
      - .offset:         12
        .size:           4
        .value_kind:     by_value
      - .address_space:  global
        .offset:         16
        .size:           8
        .value_kind:     global_buffer
      - .address_space:  global
        .offset:         24
        .size:           8
        .value_kind:     global_buffer
      - .actual_access:  write_only
        .address_space:  global
        .offset:         32
        .size:           8
        .value_kind:     global_buffer
      - .offset:         40
        .size:           8
        .value_kind:     by_value
      - .offset:         48
        .size:           4
        .value_kind:     by_value
      - .offset:         52
        .size:           1
        .value_kind:     by_value
      - .offset:         56
        .size:           4
        .value_kind:     hidden_block_count_x
      - .offset:         60
        .size:           4
        .value_kind:     hidden_block_count_y
      - .offset:         64
        .size:           4
        .value_kind:     hidden_block_count_z
      - .offset:         68
        .size:           2
        .value_kind:     hidden_group_size_x
      - .offset:         70
        .size:           2
        .value_kind:     hidden_group_size_y
      - .offset:         72
        .size:           2
        .value_kind:     hidden_group_size_z
      - .offset:         74
        .size:           2
        .value_kind:     hidden_remainder_x
      - .offset:         76
        .size:           2
        .value_kind:     hidden_remainder_y
      - .offset:         78
        .size:           2
        .value_kind:     hidden_remainder_z
      - .offset:         96
        .size:           8
        .value_kind:     hidden_global_offset_x
      - .offset:         104
        .size:           8
        .value_kind:     hidden_global_offset_y
      - .offset:         112
        .size:           8
        .value_kind:     hidden_global_offset_z
      - .offset:         120
        .size:           2
        .value_kind:     hidden_grid_dims
    .group_segment_fixed_size: 0
    .kernarg_segment_align: 8
    .kernarg_segment_size: 312
    .language:       OpenCL C
    .language_version:
      - 2
      - 0
    .max_flat_workgroup_size: 256
    .name:           _ZN7rocprim17ROCPRIM_400000_NS6detail30init_device_scan_by_key_kernelINS1_19lookback_scan_stateINS0_5tupleIJibEEELb0ELb1EEEPKijNS1_16block_id_wrapperIjLb0EEEEEvT_jjPNSB_10value_typeET0_PNSt15iterator_traitsISE_E10value_typeEmT1_T2_
    .private_segment_fixed_size: 0
    .sgpr_count:     19
    .sgpr_spill_count: 0
    .symbol:         _ZN7rocprim17ROCPRIM_400000_NS6detail30init_device_scan_by_key_kernelINS1_19lookback_scan_stateINS0_5tupleIJibEEELb0ELb1EEEPKijNS1_16block_id_wrapperIjLb0EEEEEvT_jjPNSB_10value_typeET0_PNSt15iterator_traitsISE_E10value_typeEmT1_T2_.kd
    .uniform_work_group_size: 1
    .uses_dynamic_stack: false
    .vgpr_count:     9
    .vgpr_spill_count: 0
    .wavefront_size: 32
    .workgroup_processor_mode: 1
  - .args:
      - .address_space:  global
        .offset:         0
        .size:           8
        .value_kind:     global_buffer
      - .offset:         8
        .size:           4
        .value_kind:     by_value
      - .offset:         12
        .size:           4
        .value_kind:     by_value
      - .address_space:  global
        .offset:         16
        .size:           8
        .value_kind:     global_buffer
      - .offset:         24
        .size:           1
        .value_kind:     by_value
      - .offset:         32
        .size:           4
        .value_kind:     hidden_block_count_x
      - .offset:         36
        .size:           4
        .value_kind:     hidden_block_count_y
      - .offset:         40
        .size:           4
        .value_kind:     hidden_block_count_z
      - .offset:         44
        .size:           2
        .value_kind:     hidden_group_size_x
      - .offset:         46
        .size:           2
        .value_kind:     hidden_group_size_y
      - .offset:         48
        .size:           2
        .value_kind:     hidden_group_size_z
      - .offset:         50
        .size:           2
        .value_kind:     hidden_remainder_x
      - .offset:         52
        .size:           2
        .value_kind:     hidden_remainder_y
      - .offset:         54
        .size:           2
        .value_kind:     hidden_remainder_z
      - .offset:         72
        .size:           8
        .value_kind:     hidden_global_offset_x
      - .offset:         80
        .size:           8
        .value_kind:     hidden_global_offset_y
      - .offset:         88
        .size:           8
        .value_kind:     hidden_global_offset_z
      - .offset:         96
        .size:           2
        .value_kind:     hidden_grid_dims
    .group_segment_fixed_size: 0
    .kernarg_segment_align: 8
    .kernarg_segment_size: 288
    .language:       OpenCL C
    .language_version:
      - 2
      - 0
    .max_flat_workgroup_size: 256
    .name:           _ZN7rocprim17ROCPRIM_400000_NS6detail30init_device_scan_by_key_kernelINS1_19lookback_scan_stateINS0_5tupleIJibEEELb0ELb1EEENS1_16block_id_wrapperIjLb0EEEEEvT_jjPNS9_10value_typeET0_
    .private_segment_fixed_size: 0
    .sgpr_count:     12
    .sgpr_spill_count: 0
    .symbol:         _ZN7rocprim17ROCPRIM_400000_NS6detail30init_device_scan_by_key_kernelINS1_19lookback_scan_stateINS0_5tupleIJibEEELb0ELb1EEENS1_16block_id_wrapperIjLb0EEEEEvT_jjPNS9_10value_typeET0_.kd
    .uniform_work_group_size: 1
    .uses_dynamic_stack: false
    .vgpr_count:     8
    .vgpr_spill_count: 0
    .wavefront_size: 32
    .workgroup_processor_mode: 1
  - .args:
      - .offset:         0
        .size:           120
        .value_kind:     by_value
    .group_segment_fixed_size: 0
    .kernarg_segment_align: 8
    .kernarg_segment_size: 120
    .language:       OpenCL C
    .language_version:
      - 2
      - 0
    .max_flat_workgroup_size: 256
    .name:           _ZN7rocprim17ROCPRIM_400000_NS6detail17trampoline_kernelINS0_14default_configENS1_27scan_by_key_config_selectorIiiEEZZNS1_16scan_by_key_implILNS1_25lookback_scan_determinismE0ELb0ES3_PKiN6hipcub16HIPCUB_304000_NS21ConstantInputIteratorIilEEPiiNSB_3SumENSB_8EqualityEiEE10hipError_tPvRmT2_T3_T4_T5_mT6_T7_P12ihipStream_tbENKUlT_T0_E_clISt17integral_constantIbLb0EESX_EEDaSS_ST_EUlSS_E_NS1_11comp_targetILNS1_3genE0ELNS1_11target_archE4294967295ELNS1_3gpuE0ELNS1_3repE0EEENS1_30default_config_static_selectorELNS0_4arch9wavefront6targetE0EEEvT1_
    .private_segment_fixed_size: 0
    .sgpr_count:     0
    .sgpr_spill_count: 0
    .symbol:         _ZN7rocprim17ROCPRIM_400000_NS6detail17trampoline_kernelINS0_14default_configENS1_27scan_by_key_config_selectorIiiEEZZNS1_16scan_by_key_implILNS1_25lookback_scan_determinismE0ELb0ES3_PKiN6hipcub16HIPCUB_304000_NS21ConstantInputIteratorIilEEPiiNSB_3SumENSB_8EqualityEiEE10hipError_tPvRmT2_T3_T4_T5_mT6_T7_P12ihipStream_tbENKUlT_T0_E_clISt17integral_constantIbLb0EESX_EEDaSS_ST_EUlSS_E_NS1_11comp_targetILNS1_3genE0ELNS1_11target_archE4294967295ELNS1_3gpuE0ELNS1_3repE0EEENS1_30default_config_static_selectorELNS0_4arch9wavefront6targetE0EEEvT1_.kd
    .uniform_work_group_size: 1
    .uses_dynamic_stack: false
    .vgpr_count:     0
    .vgpr_spill_count: 0
    .wavefront_size: 32
    .workgroup_processor_mode: 1
  - .args:
      - .offset:         0
        .size:           120
        .value_kind:     by_value
    .group_segment_fixed_size: 0
    .kernarg_segment_align: 8
    .kernarg_segment_size: 120
    .language:       OpenCL C
    .language_version:
      - 2
      - 0
    .max_flat_workgroup_size: 256
    .name:           _ZN7rocprim17ROCPRIM_400000_NS6detail17trampoline_kernelINS0_14default_configENS1_27scan_by_key_config_selectorIiiEEZZNS1_16scan_by_key_implILNS1_25lookback_scan_determinismE0ELb0ES3_PKiN6hipcub16HIPCUB_304000_NS21ConstantInputIteratorIilEEPiiNSB_3SumENSB_8EqualityEiEE10hipError_tPvRmT2_T3_T4_T5_mT6_T7_P12ihipStream_tbENKUlT_T0_E_clISt17integral_constantIbLb0EESX_EEDaSS_ST_EUlSS_E_NS1_11comp_targetILNS1_3genE10ELNS1_11target_archE1201ELNS1_3gpuE5ELNS1_3repE0EEENS1_30default_config_static_selectorELNS0_4arch9wavefront6targetE0EEEvT1_
    .private_segment_fixed_size: 0
    .sgpr_count:     0
    .sgpr_spill_count: 0
    .symbol:         _ZN7rocprim17ROCPRIM_400000_NS6detail17trampoline_kernelINS0_14default_configENS1_27scan_by_key_config_selectorIiiEEZZNS1_16scan_by_key_implILNS1_25lookback_scan_determinismE0ELb0ES3_PKiN6hipcub16HIPCUB_304000_NS21ConstantInputIteratorIilEEPiiNSB_3SumENSB_8EqualityEiEE10hipError_tPvRmT2_T3_T4_T5_mT6_T7_P12ihipStream_tbENKUlT_T0_E_clISt17integral_constantIbLb0EESX_EEDaSS_ST_EUlSS_E_NS1_11comp_targetILNS1_3genE10ELNS1_11target_archE1201ELNS1_3gpuE5ELNS1_3repE0EEENS1_30default_config_static_selectorELNS0_4arch9wavefront6targetE0EEEvT1_.kd
    .uniform_work_group_size: 1
    .uses_dynamic_stack: false
    .vgpr_count:     0
    .vgpr_spill_count: 0
    .wavefront_size: 32
    .workgroup_processor_mode: 1
  - .args:
      - .offset:         0
        .size:           120
        .value_kind:     by_value
    .group_segment_fixed_size: 0
    .kernarg_segment_align: 8
    .kernarg_segment_size: 120
    .language:       OpenCL C
    .language_version:
      - 2
      - 0
    .max_flat_workgroup_size: 256
    .name:           _ZN7rocprim17ROCPRIM_400000_NS6detail17trampoline_kernelINS0_14default_configENS1_27scan_by_key_config_selectorIiiEEZZNS1_16scan_by_key_implILNS1_25lookback_scan_determinismE0ELb0ES3_PKiN6hipcub16HIPCUB_304000_NS21ConstantInputIteratorIilEEPiiNSB_3SumENSB_8EqualityEiEE10hipError_tPvRmT2_T3_T4_T5_mT6_T7_P12ihipStream_tbENKUlT_T0_E_clISt17integral_constantIbLb0EESX_EEDaSS_ST_EUlSS_E_NS1_11comp_targetILNS1_3genE5ELNS1_11target_archE942ELNS1_3gpuE9ELNS1_3repE0EEENS1_30default_config_static_selectorELNS0_4arch9wavefront6targetE0EEEvT1_
    .private_segment_fixed_size: 0
    .sgpr_count:     0
    .sgpr_spill_count: 0
    .symbol:         _ZN7rocprim17ROCPRIM_400000_NS6detail17trampoline_kernelINS0_14default_configENS1_27scan_by_key_config_selectorIiiEEZZNS1_16scan_by_key_implILNS1_25lookback_scan_determinismE0ELb0ES3_PKiN6hipcub16HIPCUB_304000_NS21ConstantInputIteratorIilEEPiiNSB_3SumENSB_8EqualityEiEE10hipError_tPvRmT2_T3_T4_T5_mT6_T7_P12ihipStream_tbENKUlT_T0_E_clISt17integral_constantIbLb0EESX_EEDaSS_ST_EUlSS_E_NS1_11comp_targetILNS1_3genE5ELNS1_11target_archE942ELNS1_3gpuE9ELNS1_3repE0EEENS1_30default_config_static_selectorELNS0_4arch9wavefront6targetE0EEEvT1_.kd
    .uniform_work_group_size: 1
    .uses_dynamic_stack: false
    .vgpr_count:     0
    .vgpr_spill_count: 0
    .wavefront_size: 32
    .workgroup_processor_mode: 1
  - .args:
      - .offset:         0
        .size:           120
        .value_kind:     by_value
    .group_segment_fixed_size: 0
    .kernarg_segment_align: 8
    .kernarg_segment_size: 120
    .language:       OpenCL C
    .language_version:
      - 2
      - 0
    .max_flat_workgroup_size: 256
    .name:           _ZN7rocprim17ROCPRIM_400000_NS6detail17trampoline_kernelINS0_14default_configENS1_27scan_by_key_config_selectorIiiEEZZNS1_16scan_by_key_implILNS1_25lookback_scan_determinismE0ELb0ES3_PKiN6hipcub16HIPCUB_304000_NS21ConstantInputIteratorIilEEPiiNSB_3SumENSB_8EqualityEiEE10hipError_tPvRmT2_T3_T4_T5_mT6_T7_P12ihipStream_tbENKUlT_T0_E_clISt17integral_constantIbLb0EESX_EEDaSS_ST_EUlSS_E_NS1_11comp_targetILNS1_3genE4ELNS1_11target_archE910ELNS1_3gpuE8ELNS1_3repE0EEENS1_30default_config_static_selectorELNS0_4arch9wavefront6targetE0EEEvT1_
    .private_segment_fixed_size: 0
    .sgpr_count:     0
    .sgpr_spill_count: 0
    .symbol:         _ZN7rocprim17ROCPRIM_400000_NS6detail17trampoline_kernelINS0_14default_configENS1_27scan_by_key_config_selectorIiiEEZZNS1_16scan_by_key_implILNS1_25lookback_scan_determinismE0ELb0ES3_PKiN6hipcub16HIPCUB_304000_NS21ConstantInputIteratorIilEEPiiNSB_3SumENSB_8EqualityEiEE10hipError_tPvRmT2_T3_T4_T5_mT6_T7_P12ihipStream_tbENKUlT_T0_E_clISt17integral_constantIbLb0EESX_EEDaSS_ST_EUlSS_E_NS1_11comp_targetILNS1_3genE4ELNS1_11target_archE910ELNS1_3gpuE8ELNS1_3repE0EEENS1_30default_config_static_selectorELNS0_4arch9wavefront6targetE0EEEvT1_.kd
    .uniform_work_group_size: 1
    .uses_dynamic_stack: false
    .vgpr_count:     0
    .vgpr_spill_count: 0
    .wavefront_size: 32
    .workgroup_processor_mode: 1
  - .args:
      - .offset:         0
        .size:           120
        .value_kind:     by_value
    .group_segment_fixed_size: 0
    .kernarg_segment_align: 8
    .kernarg_segment_size: 120
    .language:       OpenCL C
    .language_version:
      - 2
      - 0
    .max_flat_workgroup_size: 256
    .name:           _ZN7rocprim17ROCPRIM_400000_NS6detail17trampoline_kernelINS0_14default_configENS1_27scan_by_key_config_selectorIiiEEZZNS1_16scan_by_key_implILNS1_25lookback_scan_determinismE0ELb0ES3_PKiN6hipcub16HIPCUB_304000_NS21ConstantInputIteratorIilEEPiiNSB_3SumENSB_8EqualityEiEE10hipError_tPvRmT2_T3_T4_T5_mT6_T7_P12ihipStream_tbENKUlT_T0_E_clISt17integral_constantIbLb0EESX_EEDaSS_ST_EUlSS_E_NS1_11comp_targetILNS1_3genE3ELNS1_11target_archE908ELNS1_3gpuE7ELNS1_3repE0EEENS1_30default_config_static_selectorELNS0_4arch9wavefront6targetE0EEEvT1_
    .private_segment_fixed_size: 0
    .sgpr_count:     0
    .sgpr_spill_count: 0
    .symbol:         _ZN7rocprim17ROCPRIM_400000_NS6detail17trampoline_kernelINS0_14default_configENS1_27scan_by_key_config_selectorIiiEEZZNS1_16scan_by_key_implILNS1_25lookback_scan_determinismE0ELb0ES3_PKiN6hipcub16HIPCUB_304000_NS21ConstantInputIteratorIilEEPiiNSB_3SumENSB_8EqualityEiEE10hipError_tPvRmT2_T3_T4_T5_mT6_T7_P12ihipStream_tbENKUlT_T0_E_clISt17integral_constantIbLb0EESX_EEDaSS_ST_EUlSS_E_NS1_11comp_targetILNS1_3genE3ELNS1_11target_archE908ELNS1_3gpuE7ELNS1_3repE0EEENS1_30default_config_static_selectorELNS0_4arch9wavefront6targetE0EEEvT1_.kd
    .uniform_work_group_size: 1
    .uses_dynamic_stack: false
    .vgpr_count:     0
    .vgpr_spill_count: 0
    .wavefront_size: 32
    .workgroup_processor_mode: 1
  - .args:
      - .offset:         0
        .size:           120
        .value_kind:     by_value
    .group_segment_fixed_size: 0
    .kernarg_segment_align: 8
    .kernarg_segment_size: 120
    .language:       OpenCL C
    .language_version:
      - 2
      - 0
    .max_flat_workgroup_size: 256
    .name:           _ZN7rocprim17ROCPRIM_400000_NS6detail17trampoline_kernelINS0_14default_configENS1_27scan_by_key_config_selectorIiiEEZZNS1_16scan_by_key_implILNS1_25lookback_scan_determinismE0ELb0ES3_PKiN6hipcub16HIPCUB_304000_NS21ConstantInputIteratorIilEEPiiNSB_3SumENSB_8EqualityEiEE10hipError_tPvRmT2_T3_T4_T5_mT6_T7_P12ihipStream_tbENKUlT_T0_E_clISt17integral_constantIbLb0EESX_EEDaSS_ST_EUlSS_E_NS1_11comp_targetILNS1_3genE2ELNS1_11target_archE906ELNS1_3gpuE6ELNS1_3repE0EEENS1_30default_config_static_selectorELNS0_4arch9wavefront6targetE0EEEvT1_
    .private_segment_fixed_size: 0
    .sgpr_count:     0
    .sgpr_spill_count: 0
    .symbol:         _ZN7rocprim17ROCPRIM_400000_NS6detail17trampoline_kernelINS0_14default_configENS1_27scan_by_key_config_selectorIiiEEZZNS1_16scan_by_key_implILNS1_25lookback_scan_determinismE0ELb0ES3_PKiN6hipcub16HIPCUB_304000_NS21ConstantInputIteratorIilEEPiiNSB_3SumENSB_8EqualityEiEE10hipError_tPvRmT2_T3_T4_T5_mT6_T7_P12ihipStream_tbENKUlT_T0_E_clISt17integral_constantIbLb0EESX_EEDaSS_ST_EUlSS_E_NS1_11comp_targetILNS1_3genE2ELNS1_11target_archE906ELNS1_3gpuE6ELNS1_3repE0EEENS1_30default_config_static_selectorELNS0_4arch9wavefront6targetE0EEEvT1_.kd
    .uniform_work_group_size: 1
    .uses_dynamic_stack: false
    .vgpr_count:     0
    .vgpr_spill_count: 0
    .wavefront_size: 32
    .workgroup_processor_mode: 1
  - .args:
      - .offset:         0
        .size:           120
        .value_kind:     by_value
    .group_segment_fixed_size: 0
    .kernarg_segment_align: 8
    .kernarg_segment_size: 120
    .language:       OpenCL C
    .language_version:
      - 2
      - 0
    .max_flat_workgroup_size: 256
    .name:           _ZN7rocprim17ROCPRIM_400000_NS6detail17trampoline_kernelINS0_14default_configENS1_27scan_by_key_config_selectorIiiEEZZNS1_16scan_by_key_implILNS1_25lookback_scan_determinismE0ELb0ES3_PKiN6hipcub16HIPCUB_304000_NS21ConstantInputIteratorIilEEPiiNSB_3SumENSB_8EqualityEiEE10hipError_tPvRmT2_T3_T4_T5_mT6_T7_P12ihipStream_tbENKUlT_T0_E_clISt17integral_constantIbLb0EESX_EEDaSS_ST_EUlSS_E_NS1_11comp_targetILNS1_3genE10ELNS1_11target_archE1200ELNS1_3gpuE4ELNS1_3repE0EEENS1_30default_config_static_selectorELNS0_4arch9wavefront6targetE0EEEvT1_
    .private_segment_fixed_size: 0
    .sgpr_count:     0
    .sgpr_spill_count: 0
    .symbol:         _ZN7rocprim17ROCPRIM_400000_NS6detail17trampoline_kernelINS0_14default_configENS1_27scan_by_key_config_selectorIiiEEZZNS1_16scan_by_key_implILNS1_25lookback_scan_determinismE0ELb0ES3_PKiN6hipcub16HIPCUB_304000_NS21ConstantInputIteratorIilEEPiiNSB_3SumENSB_8EqualityEiEE10hipError_tPvRmT2_T3_T4_T5_mT6_T7_P12ihipStream_tbENKUlT_T0_E_clISt17integral_constantIbLb0EESX_EEDaSS_ST_EUlSS_E_NS1_11comp_targetILNS1_3genE10ELNS1_11target_archE1200ELNS1_3gpuE4ELNS1_3repE0EEENS1_30default_config_static_selectorELNS0_4arch9wavefront6targetE0EEEvT1_.kd
    .uniform_work_group_size: 1
    .uses_dynamic_stack: false
    .vgpr_count:     0
    .vgpr_spill_count: 0
    .wavefront_size: 32
    .workgroup_processor_mode: 1
  - .args:
      - .offset:         0
        .size:           120
        .value_kind:     by_value
    .group_segment_fixed_size: 0
    .kernarg_segment_align: 8
    .kernarg_segment_size: 120
    .language:       OpenCL C
    .language_version:
      - 2
      - 0
    .max_flat_workgroup_size: 256
    .name:           _ZN7rocprim17ROCPRIM_400000_NS6detail17trampoline_kernelINS0_14default_configENS1_27scan_by_key_config_selectorIiiEEZZNS1_16scan_by_key_implILNS1_25lookback_scan_determinismE0ELb0ES3_PKiN6hipcub16HIPCUB_304000_NS21ConstantInputIteratorIilEEPiiNSB_3SumENSB_8EqualityEiEE10hipError_tPvRmT2_T3_T4_T5_mT6_T7_P12ihipStream_tbENKUlT_T0_E_clISt17integral_constantIbLb0EESX_EEDaSS_ST_EUlSS_E_NS1_11comp_targetILNS1_3genE9ELNS1_11target_archE1100ELNS1_3gpuE3ELNS1_3repE0EEENS1_30default_config_static_selectorELNS0_4arch9wavefront6targetE0EEEvT1_
    .private_segment_fixed_size: 0
    .sgpr_count:     0
    .sgpr_spill_count: 0
    .symbol:         _ZN7rocprim17ROCPRIM_400000_NS6detail17trampoline_kernelINS0_14default_configENS1_27scan_by_key_config_selectorIiiEEZZNS1_16scan_by_key_implILNS1_25lookback_scan_determinismE0ELb0ES3_PKiN6hipcub16HIPCUB_304000_NS21ConstantInputIteratorIilEEPiiNSB_3SumENSB_8EqualityEiEE10hipError_tPvRmT2_T3_T4_T5_mT6_T7_P12ihipStream_tbENKUlT_T0_E_clISt17integral_constantIbLb0EESX_EEDaSS_ST_EUlSS_E_NS1_11comp_targetILNS1_3genE9ELNS1_11target_archE1100ELNS1_3gpuE3ELNS1_3repE0EEENS1_30default_config_static_selectorELNS0_4arch9wavefront6targetE0EEEvT1_.kd
    .uniform_work_group_size: 1
    .uses_dynamic_stack: false
    .vgpr_count:     0
    .vgpr_spill_count: 0
    .wavefront_size: 32
    .workgroup_processor_mode: 1
  - .args:
      - .offset:         0
        .size:           120
        .value_kind:     by_value
    .group_segment_fixed_size: 5120
    .kernarg_segment_align: 8
    .kernarg_segment_size: 120
    .language:       OpenCL C
    .language_version:
      - 2
      - 0
    .max_flat_workgroup_size: 256
    .name:           _ZN7rocprim17ROCPRIM_400000_NS6detail17trampoline_kernelINS0_14default_configENS1_27scan_by_key_config_selectorIiiEEZZNS1_16scan_by_key_implILNS1_25lookback_scan_determinismE0ELb0ES3_PKiN6hipcub16HIPCUB_304000_NS21ConstantInputIteratorIilEEPiiNSB_3SumENSB_8EqualityEiEE10hipError_tPvRmT2_T3_T4_T5_mT6_T7_P12ihipStream_tbENKUlT_T0_E_clISt17integral_constantIbLb0EESX_EEDaSS_ST_EUlSS_E_NS1_11comp_targetILNS1_3genE8ELNS1_11target_archE1030ELNS1_3gpuE2ELNS1_3repE0EEENS1_30default_config_static_selectorELNS0_4arch9wavefront6targetE0EEEvT1_
    .private_segment_fixed_size: 0
    .sgpr_count:     33
    .sgpr_spill_count: 0
    .symbol:         _ZN7rocprim17ROCPRIM_400000_NS6detail17trampoline_kernelINS0_14default_configENS1_27scan_by_key_config_selectorIiiEEZZNS1_16scan_by_key_implILNS1_25lookback_scan_determinismE0ELb0ES3_PKiN6hipcub16HIPCUB_304000_NS21ConstantInputIteratorIilEEPiiNSB_3SumENSB_8EqualityEiEE10hipError_tPvRmT2_T3_T4_T5_mT6_T7_P12ihipStream_tbENKUlT_T0_E_clISt17integral_constantIbLb0EESX_EEDaSS_ST_EUlSS_E_NS1_11comp_targetILNS1_3genE8ELNS1_11target_archE1030ELNS1_3gpuE2ELNS1_3repE0EEENS1_30default_config_static_selectorELNS0_4arch9wavefront6targetE0EEEvT1_.kd
    .uniform_work_group_size: 1
    .uses_dynamic_stack: false
    .vgpr_count:     42
    .vgpr_spill_count: 0
    .wavefront_size: 32
    .workgroup_processor_mode: 1
  - .args:
      - .address_space:  global
        .offset:         0
        .size:           8
        .value_kind:     global_buffer
      - .offset:         8
        .size:           4
        .value_kind:     by_value
      - .offset:         12
        .size:           4
        .value_kind:     by_value
      - .address_space:  global
        .offset:         16
        .size:           8
        .value_kind:     global_buffer
      - .address_space:  global
        .offset:         24
        .size:           8
        .value_kind:     global_buffer
      - .actual_access:  write_only
        .address_space:  global
        .offset:         32
        .size:           8
        .value_kind:     global_buffer
      - .offset:         40
        .size:           8
        .value_kind:     by_value
      - .offset:         48
        .size:           4
        .value_kind:     by_value
      - .address_space:  global
        .offset:         56
        .size:           8
        .value_kind:     global_buffer
      - .offset:         64
        .size:           4
        .value_kind:     hidden_block_count_x
      - .offset:         68
        .size:           4
        .value_kind:     hidden_block_count_y
      - .offset:         72
        .size:           4
        .value_kind:     hidden_block_count_z
      - .offset:         76
        .size:           2
        .value_kind:     hidden_group_size_x
      - .offset:         78
        .size:           2
        .value_kind:     hidden_group_size_y
      - .offset:         80
        .size:           2
        .value_kind:     hidden_group_size_z
      - .offset:         82
        .size:           2
        .value_kind:     hidden_remainder_x
      - .offset:         84
        .size:           2
        .value_kind:     hidden_remainder_y
      - .offset:         86
        .size:           2
        .value_kind:     hidden_remainder_z
      - .offset:         104
        .size:           8
        .value_kind:     hidden_global_offset_x
      - .offset:         112
        .size:           8
        .value_kind:     hidden_global_offset_y
      - .offset:         120
        .size:           8
        .value_kind:     hidden_global_offset_z
      - .offset:         128
        .size:           2
        .value_kind:     hidden_grid_dims
    .group_segment_fixed_size: 0
    .kernarg_segment_align: 8
    .kernarg_segment_size: 320
    .language:       OpenCL C
    .language_version:
      - 2
      - 0
    .max_flat_workgroup_size: 256
    .name:           _ZN7rocprim17ROCPRIM_400000_NS6detail30init_device_scan_by_key_kernelINS1_19lookback_scan_stateINS0_5tupleIJibEEELb1ELb1EEEPKijNS1_16block_id_wrapperIjLb1EEEEEvT_jjPNSB_10value_typeET0_PNSt15iterator_traitsISE_E10value_typeEmT1_T2_
    .private_segment_fixed_size: 0
    .sgpr_count:     19
    .sgpr_spill_count: 0
    .symbol:         _ZN7rocprim17ROCPRIM_400000_NS6detail30init_device_scan_by_key_kernelINS1_19lookback_scan_stateINS0_5tupleIJibEEELb1ELb1EEEPKijNS1_16block_id_wrapperIjLb1EEEEEvT_jjPNSB_10value_typeET0_PNSt15iterator_traitsISE_E10value_typeEmT1_T2_.kd
    .uniform_work_group_size: 1
    .uses_dynamic_stack: false
    .vgpr_count:     9
    .vgpr_spill_count: 0
    .wavefront_size: 32
    .workgroup_processor_mode: 1
  - .args:
      - .address_space:  global
        .offset:         0
        .size:           8
        .value_kind:     global_buffer
      - .offset:         8
        .size:           4
        .value_kind:     by_value
      - .offset:         12
        .size:           4
        .value_kind:     by_value
      - .address_space:  global
        .offset:         16
        .size:           8
        .value_kind:     global_buffer
      - .address_space:  global
        .offset:         24
        .size:           8
        .value_kind:     global_buffer
      - .offset:         32
        .size:           4
        .value_kind:     hidden_block_count_x
      - .offset:         36
        .size:           4
        .value_kind:     hidden_block_count_y
      - .offset:         40
        .size:           4
        .value_kind:     hidden_block_count_z
      - .offset:         44
        .size:           2
        .value_kind:     hidden_group_size_x
      - .offset:         46
        .size:           2
        .value_kind:     hidden_group_size_y
      - .offset:         48
        .size:           2
        .value_kind:     hidden_group_size_z
      - .offset:         50
        .size:           2
        .value_kind:     hidden_remainder_x
      - .offset:         52
        .size:           2
        .value_kind:     hidden_remainder_y
      - .offset:         54
        .size:           2
        .value_kind:     hidden_remainder_z
      - .offset:         72
        .size:           8
        .value_kind:     hidden_global_offset_x
      - .offset:         80
        .size:           8
        .value_kind:     hidden_global_offset_y
      - .offset:         88
        .size:           8
        .value_kind:     hidden_global_offset_z
      - .offset:         96
        .size:           2
        .value_kind:     hidden_grid_dims
    .group_segment_fixed_size: 0
    .kernarg_segment_align: 8
    .kernarg_segment_size: 288
    .language:       OpenCL C
    .language_version:
      - 2
      - 0
    .max_flat_workgroup_size: 256
    .name:           _ZN7rocprim17ROCPRIM_400000_NS6detail30init_device_scan_by_key_kernelINS1_19lookback_scan_stateINS0_5tupleIJibEEELb1ELb1EEENS1_16block_id_wrapperIjLb1EEEEEvT_jjPNS9_10value_typeET0_
    .private_segment_fixed_size: 0
    .sgpr_count:     18
    .sgpr_spill_count: 0
    .symbol:         _ZN7rocprim17ROCPRIM_400000_NS6detail30init_device_scan_by_key_kernelINS1_19lookback_scan_stateINS0_5tupleIJibEEELb1ELb1EEENS1_16block_id_wrapperIjLb1EEEEEvT_jjPNS9_10value_typeET0_.kd
    .uniform_work_group_size: 1
    .uses_dynamic_stack: false
    .vgpr_count:     8
    .vgpr_spill_count: 0
    .wavefront_size: 32
    .workgroup_processor_mode: 1
  - .args:
      - .offset:         0
        .size:           120
        .value_kind:     by_value
    .group_segment_fixed_size: 0
    .kernarg_segment_align: 8
    .kernarg_segment_size: 120
    .language:       OpenCL C
    .language_version:
      - 2
      - 0
    .max_flat_workgroup_size: 256
    .name:           _ZN7rocprim17ROCPRIM_400000_NS6detail17trampoline_kernelINS0_14default_configENS1_27scan_by_key_config_selectorIiiEEZZNS1_16scan_by_key_implILNS1_25lookback_scan_determinismE0ELb0ES3_PKiN6hipcub16HIPCUB_304000_NS21ConstantInputIteratorIilEEPiiNSB_3SumENSB_8EqualityEiEE10hipError_tPvRmT2_T3_T4_T5_mT6_T7_P12ihipStream_tbENKUlT_T0_E_clISt17integral_constantIbLb1EESX_EEDaSS_ST_EUlSS_E_NS1_11comp_targetILNS1_3genE0ELNS1_11target_archE4294967295ELNS1_3gpuE0ELNS1_3repE0EEENS1_30default_config_static_selectorELNS0_4arch9wavefront6targetE0EEEvT1_
    .private_segment_fixed_size: 0
    .sgpr_count:     0
    .sgpr_spill_count: 0
    .symbol:         _ZN7rocprim17ROCPRIM_400000_NS6detail17trampoline_kernelINS0_14default_configENS1_27scan_by_key_config_selectorIiiEEZZNS1_16scan_by_key_implILNS1_25lookback_scan_determinismE0ELb0ES3_PKiN6hipcub16HIPCUB_304000_NS21ConstantInputIteratorIilEEPiiNSB_3SumENSB_8EqualityEiEE10hipError_tPvRmT2_T3_T4_T5_mT6_T7_P12ihipStream_tbENKUlT_T0_E_clISt17integral_constantIbLb1EESX_EEDaSS_ST_EUlSS_E_NS1_11comp_targetILNS1_3genE0ELNS1_11target_archE4294967295ELNS1_3gpuE0ELNS1_3repE0EEENS1_30default_config_static_selectorELNS0_4arch9wavefront6targetE0EEEvT1_.kd
    .uniform_work_group_size: 1
    .uses_dynamic_stack: false
    .vgpr_count:     0
    .vgpr_spill_count: 0
    .wavefront_size: 32
    .workgroup_processor_mode: 1
  - .args:
      - .offset:         0
        .size:           120
        .value_kind:     by_value
    .group_segment_fixed_size: 0
    .kernarg_segment_align: 8
    .kernarg_segment_size: 120
    .language:       OpenCL C
    .language_version:
      - 2
      - 0
    .max_flat_workgroup_size: 256
    .name:           _ZN7rocprim17ROCPRIM_400000_NS6detail17trampoline_kernelINS0_14default_configENS1_27scan_by_key_config_selectorIiiEEZZNS1_16scan_by_key_implILNS1_25lookback_scan_determinismE0ELb0ES3_PKiN6hipcub16HIPCUB_304000_NS21ConstantInputIteratorIilEEPiiNSB_3SumENSB_8EqualityEiEE10hipError_tPvRmT2_T3_T4_T5_mT6_T7_P12ihipStream_tbENKUlT_T0_E_clISt17integral_constantIbLb1EESX_EEDaSS_ST_EUlSS_E_NS1_11comp_targetILNS1_3genE10ELNS1_11target_archE1201ELNS1_3gpuE5ELNS1_3repE0EEENS1_30default_config_static_selectorELNS0_4arch9wavefront6targetE0EEEvT1_
    .private_segment_fixed_size: 0
    .sgpr_count:     0
    .sgpr_spill_count: 0
    .symbol:         _ZN7rocprim17ROCPRIM_400000_NS6detail17trampoline_kernelINS0_14default_configENS1_27scan_by_key_config_selectorIiiEEZZNS1_16scan_by_key_implILNS1_25lookback_scan_determinismE0ELb0ES3_PKiN6hipcub16HIPCUB_304000_NS21ConstantInputIteratorIilEEPiiNSB_3SumENSB_8EqualityEiEE10hipError_tPvRmT2_T3_T4_T5_mT6_T7_P12ihipStream_tbENKUlT_T0_E_clISt17integral_constantIbLb1EESX_EEDaSS_ST_EUlSS_E_NS1_11comp_targetILNS1_3genE10ELNS1_11target_archE1201ELNS1_3gpuE5ELNS1_3repE0EEENS1_30default_config_static_selectorELNS0_4arch9wavefront6targetE0EEEvT1_.kd
    .uniform_work_group_size: 1
    .uses_dynamic_stack: false
    .vgpr_count:     0
    .vgpr_spill_count: 0
    .wavefront_size: 32
    .workgroup_processor_mode: 1
  - .args:
      - .offset:         0
        .size:           120
        .value_kind:     by_value
    .group_segment_fixed_size: 0
    .kernarg_segment_align: 8
    .kernarg_segment_size: 120
    .language:       OpenCL C
    .language_version:
      - 2
      - 0
    .max_flat_workgroup_size: 256
    .name:           _ZN7rocprim17ROCPRIM_400000_NS6detail17trampoline_kernelINS0_14default_configENS1_27scan_by_key_config_selectorIiiEEZZNS1_16scan_by_key_implILNS1_25lookback_scan_determinismE0ELb0ES3_PKiN6hipcub16HIPCUB_304000_NS21ConstantInputIteratorIilEEPiiNSB_3SumENSB_8EqualityEiEE10hipError_tPvRmT2_T3_T4_T5_mT6_T7_P12ihipStream_tbENKUlT_T0_E_clISt17integral_constantIbLb1EESX_EEDaSS_ST_EUlSS_E_NS1_11comp_targetILNS1_3genE5ELNS1_11target_archE942ELNS1_3gpuE9ELNS1_3repE0EEENS1_30default_config_static_selectorELNS0_4arch9wavefront6targetE0EEEvT1_
    .private_segment_fixed_size: 0
    .sgpr_count:     0
    .sgpr_spill_count: 0
    .symbol:         _ZN7rocprim17ROCPRIM_400000_NS6detail17trampoline_kernelINS0_14default_configENS1_27scan_by_key_config_selectorIiiEEZZNS1_16scan_by_key_implILNS1_25lookback_scan_determinismE0ELb0ES3_PKiN6hipcub16HIPCUB_304000_NS21ConstantInputIteratorIilEEPiiNSB_3SumENSB_8EqualityEiEE10hipError_tPvRmT2_T3_T4_T5_mT6_T7_P12ihipStream_tbENKUlT_T0_E_clISt17integral_constantIbLb1EESX_EEDaSS_ST_EUlSS_E_NS1_11comp_targetILNS1_3genE5ELNS1_11target_archE942ELNS1_3gpuE9ELNS1_3repE0EEENS1_30default_config_static_selectorELNS0_4arch9wavefront6targetE0EEEvT1_.kd
    .uniform_work_group_size: 1
    .uses_dynamic_stack: false
    .vgpr_count:     0
    .vgpr_spill_count: 0
    .wavefront_size: 32
    .workgroup_processor_mode: 1
  - .args:
      - .offset:         0
        .size:           120
        .value_kind:     by_value
    .group_segment_fixed_size: 0
    .kernarg_segment_align: 8
    .kernarg_segment_size: 120
    .language:       OpenCL C
    .language_version:
      - 2
      - 0
    .max_flat_workgroup_size: 256
    .name:           _ZN7rocprim17ROCPRIM_400000_NS6detail17trampoline_kernelINS0_14default_configENS1_27scan_by_key_config_selectorIiiEEZZNS1_16scan_by_key_implILNS1_25lookback_scan_determinismE0ELb0ES3_PKiN6hipcub16HIPCUB_304000_NS21ConstantInputIteratorIilEEPiiNSB_3SumENSB_8EqualityEiEE10hipError_tPvRmT2_T3_T4_T5_mT6_T7_P12ihipStream_tbENKUlT_T0_E_clISt17integral_constantIbLb1EESX_EEDaSS_ST_EUlSS_E_NS1_11comp_targetILNS1_3genE4ELNS1_11target_archE910ELNS1_3gpuE8ELNS1_3repE0EEENS1_30default_config_static_selectorELNS0_4arch9wavefront6targetE0EEEvT1_
    .private_segment_fixed_size: 0
    .sgpr_count:     0
    .sgpr_spill_count: 0
    .symbol:         _ZN7rocprim17ROCPRIM_400000_NS6detail17trampoline_kernelINS0_14default_configENS1_27scan_by_key_config_selectorIiiEEZZNS1_16scan_by_key_implILNS1_25lookback_scan_determinismE0ELb0ES3_PKiN6hipcub16HIPCUB_304000_NS21ConstantInputIteratorIilEEPiiNSB_3SumENSB_8EqualityEiEE10hipError_tPvRmT2_T3_T4_T5_mT6_T7_P12ihipStream_tbENKUlT_T0_E_clISt17integral_constantIbLb1EESX_EEDaSS_ST_EUlSS_E_NS1_11comp_targetILNS1_3genE4ELNS1_11target_archE910ELNS1_3gpuE8ELNS1_3repE0EEENS1_30default_config_static_selectorELNS0_4arch9wavefront6targetE0EEEvT1_.kd
    .uniform_work_group_size: 1
    .uses_dynamic_stack: false
    .vgpr_count:     0
    .vgpr_spill_count: 0
    .wavefront_size: 32
    .workgroup_processor_mode: 1
  - .args:
      - .offset:         0
        .size:           120
        .value_kind:     by_value
    .group_segment_fixed_size: 0
    .kernarg_segment_align: 8
    .kernarg_segment_size: 120
    .language:       OpenCL C
    .language_version:
      - 2
      - 0
    .max_flat_workgroup_size: 256
    .name:           _ZN7rocprim17ROCPRIM_400000_NS6detail17trampoline_kernelINS0_14default_configENS1_27scan_by_key_config_selectorIiiEEZZNS1_16scan_by_key_implILNS1_25lookback_scan_determinismE0ELb0ES3_PKiN6hipcub16HIPCUB_304000_NS21ConstantInputIteratorIilEEPiiNSB_3SumENSB_8EqualityEiEE10hipError_tPvRmT2_T3_T4_T5_mT6_T7_P12ihipStream_tbENKUlT_T0_E_clISt17integral_constantIbLb1EESX_EEDaSS_ST_EUlSS_E_NS1_11comp_targetILNS1_3genE3ELNS1_11target_archE908ELNS1_3gpuE7ELNS1_3repE0EEENS1_30default_config_static_selectorELNS0_4arch9wavefront6targetE0EEEvT1_
    .private_segment_fixed_size: 0
    .sgpr_count:     0
    .sgpr_spill_count: 0
    .symbol:         _ZN7rocprim17ROCPRIM_400000_NS6detail17trampoline_kernelINS0_14default_configENS1_27scan_by_key_config_selectorIiiEEZZNS1_16scan_by_key_implILNS1_25lookback_scan_determinismE0ELb0ES3_PKiN6hipcub16HIPCUB_304000_NS21ConstantInputIteratorIilEEPiiNSB_3SumENSB_8EqualityEiEE10hipError_tPvRmT2_T3_T4_T5_mT6_T7_P12ihipStream_tbENKUlT_T0_E_clISt17integral_constantIbLb1EESX_EEDaSS_ST_EUlSS_E_NS1_11comp_targetILNS1_3genE3ELNS1_11target_archE908ELNS1_3gpuE7ELNS1_3repE0EEENS1_30default_config_static_selectorELNS0_4arch9wavefront6targetE0EEEvT1_.kd
    .uniform_work_group_size: 1
    .uses_dynamic_stack: false
    .vgpr_count:     0
    .vgpr_spill_count: 0
    .wavefront_size: 32
    .workgroup_processor_mode: 1
  - .args:
      - .offset:         0
        .size:           120
        .value_kind:     by_value
    .group_segment_fixed_size: 0
    .kernarg_segment_align: 8
    .kernarg_segment_size: 120
    .language:       OpenCL C
    .language_version:
      - 2
      - 0
    .max_flat_workgroup_size: 256
    .name:           _ZN7rocprim17ROCPRIM_400000_NS6detail17trampoline_kernelINS0_14default_configENS1_27scan_by_key_config_selectorIiiEEZZNS1_16scan_by_key_implILNS1_25lookback_scan_determinismE0ELb0ES3_PKiN6hipcub16HIPCUB_304000_NS21ConstantInputIteratorIilEEPiiNSB_3SumENSB_8EqualityEiEE10hipError_tPvRmT2_T3_T4_T5_mT6_T7_P12ihipStream_tbENKUlT_T0_E_clISt17integral_constantIbLb1EESX_EEDaSS_ST_EUlSS_E_NS1_11comp_targetILNS1_3genE2ELNS1_11target_archE906ELNS1_3gpuE6ELNS1_3repE0EEENS1_30default_config_static_selectorELNS0_4arch9wavefront6targetE0EEEvT1_
    .private_segment_fixed_size: 0
    .sgpr_count:     0
    .sgpr_spill_count: 0
    .symbol:         _ZN7rocprim17ROCPRIM_400000_NS6detail17trampoline_kernelINS0_14default_configENS1_27scan_by_key_config_selectorIiiEEZZNS1_16scan_by_key_implILNS1_25lookback_scan_determinismE0ELb0ES3_PKiN6hipcub16HIPCUB_304000_NS21ConstantInputIteratorIilEEPiiNSB_3SumENSB_8EqualityEiEE10hipError_tPvRmT2_T3_T4_T5_mT6_T7_P12ihipStream_tbENKUlT_T0_E_clISt17integral_constantIbLb1EESX_EEDaSS_ST_EUlSS_E_NS1_11comp_targetILNS1_3genE2ELNS1_11target_archE906ELNS1_3gpuE6ELNS1_3repE0EEENS1_30default_config_static_selectorELNS0_4arch9wavefront6targetE0EEEvT1_.kd
    .uniform_work_group_size: 1
    .uses_dynamic_stack: false
    .vgpr_count:     0
    .vgpr_spill_count: 0
    .wavefront_size: 32
    .workgroup_processor_mode: 1
  - .args:
      - .offset:         0
        .size:           120
        .value_kind:     by_value
    .group_segment_fixed_size: 0
    .kernarg_segment_align: 8
    .kernarg_segment_size: 120
    .language:       OpenCL C
    .language_version:
      - 2
      - 0
    .max_flat_workgroup_size: 256
    .name:           _ZN7rocprim17ROCPRIM_400000_NS6detail17trampoline_kernelINS0_14default_configENS1_27scan_by_key_config_selectorIiiEEZZNS1_16scan_by_key_implILNS1_25lookback_scan_determinismE0ELb0ES3_PKiN6hipcub16HIPCUB_304000_NS21ConstantInputIteratorIilEEPiiNSB_3SumENSB_8EqualityEiEE10hipError_tPvRmT2_T3_T4_T5_mT6_T7_P12ihipStream_tbENKUlT_T0_E_clISt17integral_constantIbLb1EESX_EEDaSS_ST_EUlSS_E_NS1_11comp_targetILNS1_3genE10ELNS1_11target_archE1200ELNS1_3gpuE4ELNS1_3repE0EEENS1_30default_config_static_selectorELNS0_4arch9wavefront6targetE0EEEvT1_
    .private_segment_fixed_size: 0
    .sgpr_count:     0
    .sgpr_spill_count: 0
    .symbol:         _ZN7rocprim17ROCPRIM_400000_NS6detail17trampoline_kernelINS0_14default_configENS1_27scan_by_key_config_selectorIiiEEZZNS1_16scan_by_key_implILNS1_25lookback_scan_determinismE0ELb0ES3_PKiN6hipcub16HIPCUB_304000_NS21ConstantInputIteratorIilEEPiiNSB_3SumENSB_8EqualityEiEE10hipError_tPvRmT2_T3_T4_T5_mT6_T7_P12ihipStream_tbENKUlT_T0_E_clISt17integral_constantIbLb1EESX_EEDaSS_ST_EUlSS_E_NS1_11comp_targetILNS1_3genE10ELNS1_11target_archE1200ELNS1_3gpuE4ELNS1_3repE0EEENS1_30default_config_static_selectorELNS0_4arch9wavefront6targetE0EEEvT1_.kd
    .uniform_work_group_size: 1
    .uses_dynamic_stack: false
    .vgpr_count:     0
    .vgpr_spill_count: 0
    .wavefront_size: 32
    .workgroup_processor_mode: 1
  - .args:
      - .offset:         0
        .size:           120
        .value_kind:     by_value
    .group_segment_fixed_size: 0
    .kernarg_segment_align: 8
    .kernarg_segment_size: 120
    .language:       OpenCL C
    .language_version:
      - 2
      - 0
    .max_flat_workgroup_size: 256
    .name:           _ZN7rocprim17ROCPRIM_400000_NS6detail17trampoline_kernelINS0_14default_configENS1_27scan_by_key_config_selectorIiiEEZZNS1_16scan_by_key_implILNS1_25lookback_scan_determinismE0ELb0ES3_PKiN6hipcub16HIPCUB_304000_NS21ConstantInputIteratorIilEEPiiNSB_3SumENSB_8EqualityEiEE10hipError_tPvRmT2_T3_T4_T5_mT6_T7_P12ihipStream_tbENKUlT_T0_E_clISt17integral_constantIbLb1EESX_EEDaSS_ST_EUlSS_E_NS1_11comp_targetILNS1_3genE9ELNS1_11target_archE1100ELNS1_3gpuE3ELNS1_3repE0EEENS1_30default_config_static_selectorELNS0_4arch9wavefront6targetE0EEEvT1_
    .private_segment_fixed_size: 0
    .sgpr_count:     0
    .sgpr_spill_count: 0
    .symbol:         _ZN7rocprim17ROCPRIM_400000_NS6detail17trampoline_kernelINS0_14default_configENS1_27scan_by_key_config_selectorIiiEEZZNS1_16scan_by_key_implILNS1_25lookback_scan_determinismE0ELb0ES3_PKiN6hipcub16HIPCUB_304000_NS21ConstantInputIteratorIilEEPiiNSB_3SumENSB_8EqualityEiEE10hipError_tPvRmT2_T3_T4_T5_mT6_T7_P12ihipStream_tbENKUlT_T0_E_clISt17integral_constantIbLb1EESX_EEDaSS_ST_EUlSS_E_NS1_11comp_targetILNS1_3genE9ELNS1_11target_archE1100ELNS1_3gpuE3ELNS1_3repE0EEENS1_30default_config_static_selectorELNS0_4arch9wavefront6targetE0EEEvT1_.kd
    .uniform_work_group_size: 1
    .uses_dynamic_stack: false
    .vgpr_count:     0
    .vgpr_spill_count: 0
    .wavefront_size: 32
    .workgroup_processor_mode: 1
  - .args:
      - .offset:         0
        .size:           120
        .value_kind:     by_value
    .group_segment_fixed_size: 0
    .kernarg_segment_align: 8
    .kernarg_segment_size: 120
    .language:       OpenCL C
    .language_version:
      - 2
      - 0
    .max_flat_workgroup_size: 256
    .name:           _ZN7rocprim17ROCPRIM_400000_NS6detail17trampoline_kernelINS0_14default_configENS1_27scan_by_key_config_selectorIiiEEZZNS1_16scan_by_key_implILNS1_25lookback_scan_determinismE0ELb0ES3_PKiN6hipcub16HIPCUB_304000_NS21ConstantInputIteratorIilEEPiiNSB_3SumENSB_8EqualityEiEE10hipError_tPvRmT2_T3_T4_T5_mT6_T7_P12ihipStream_tbENKUlT_T0_E_clISt17integral_constantIbLb1EESX_EEDaSS_ST_EUlSS_E_NS1_11comp_targetILNS1_3genE8ELNS1_11target_archE1030ELNS1_3gpuE2ELNS1_3repE0EEENS1_30default_config_static_selectorELNS0_4arch9wavefront6targetE0EEEvT1_
    .private_segment_fixed_size: 0
    .sgpr_count:     0
    .sgpr_spill_count: 0
    .symbol:         _ZN7rocprim17ROCPRIM_400000_NS6detail17trampoline_kernelINS0_14default_configENS1_27scan_by_key_config_selectorIiiEEZZNS1_16scan_by_key_implILNS1_25lookback_scan_determinismE0ELb0ES3_PKiN6hipcub16HIPCUB_304000_NS21ConstantInputIteratorIilEEPiiNSB_3SumENSB_8EqualityEiEE10hipError_tPvRmT2_T3_T4_T5_mT6_T7_P12ihipStream_tbENKUlT_T0_E_clISt17integral_constantIbLb1EESX_EEDaSS_ST_EUlSS_E_NS1_11comp_targetILNS1_3genE8ELNS1_11target_archE1030ELNS1_3gpuE2ELNS1_3repE0EEENS1_30default_config_static_selectorELNS0_4arch9wavefront6targetE0EEEvT1_.kd
    .uniform_work_group_size: 1
    .uses_dynamic_stack: false
    .vgpr_count:     0
    .vgpr_spill_count: 0
    .wavefront_size: 32
    .workgroup_processor_mode: 1
  - .args:
      - .address_space:  global
        .offset:         0
        .size:           8
        .value_kind:     global_buffer
      - .offset:         8
        .size:           4
        .value_kind:     by_value
      - .offset:         12
        .size:           4
        .value_kind:     by_value
      - .address_space:  global
        .offset:         16
        .size:           8
        .value_kind:     global_buffer
      - .address_space:  global
        .offset:         24
        .size:           8
        .value_kind:     global_buffer
      - .actual_access:  write_only
        .address_space:  global
        .offset:         32
        .size:           8
        .value_kind:     global_buffer
      - .offset:         40
        .size:           8
        .value_kind:     by_value
      - .offset:         48
        .size:           4
        .value_kind:     by_value
      - .offset:         52
        .size:           1
        .value_kind:     by_value
      - .offset:         56
        .size:           4
        .value_kind:     hidden_block_count_x
      - .offset:         60
        .size:           4
        .value_kind:     hidden_block_count_y
      - .offset:         64
        .size:           4
        .value_kind:     hidden_block_count_z
      - .offset:         68
        .size:           2
        .value_kind:     hidden_group_size_x
      - .offset:         70
        .size:           2
        .value_kind:     hidden_group_size_y
      - .offset:         72
        .size:           2
        .value_kind:     hidden_group_size_z
      - .offset:         74
        .size:           2
        .value_kind:     hidden_remainder_x
      - .offset:         76
        .size:           2
        .value_kind:     hidden_remainder_y
      - .offset:         78
        .size:           2
        .value_kind:     hidden_remainder_z
      - .offset:         96
        .size:           8
        .value_kind:     hidden_global_offset_x
      - .offset:         104
        .size:           8
        .value_kind:     hidden_global_offset_y
      - .offset:         112
        .size:           8
        .value_kind:     hidden_global_offset_z
      - .offset:         120
        .size:           2
        .value_kind:     hidden_grid_dims
    .group_segment_fixed_size: 0
    .kernarg_segment_align: 8
    .kernarg_segment_size: 312
    .language:       OpenCL C
    .language_version:
      - 2
      - 0
    .max_flat_workgroup_size: 256
    .name:           _ZN7rocprim17ROCPRIM_400000_NS6detail30init_device_scan_by_key_kernelINS1_19lookback_scan_stateINS0_5tupleIJibEEELb1ELb1EEEPKijNS1_16block_id_wrapperIjLb0EEEEEvT_jjPNSB_10value_typeET0_PNSt15iterator_traitsISE_E10value_typeEmT1_T2_
    .private_segment_fixed_size: 0
    .sgpr_count:     19
    .sgpr_spill_count: 0
    .symbol:         _ZN7rocprim17ROCPRIM_400000_NS6detail30init_device_scan_by_key_kernelINS1_19lookback_scan_stateINS0_5tupleIJibEEELb1ELb1EEEPKijNS1_16block_id_wrapperIjLb0EEEEEvT_jjPNSB_10value_typeET0_PNSt15iterator_traitsISE_E10value_typeEmT1_T2_.kd
    .uniform_work_group_size: 1
    .uses_dynamic_stack: false
    .vgpr_count:     9
    .vgpr_spill_count: 0
    .wavefront_size: 32
    .workgroup_processor_mode: 1
  - .args:
      - .address_space:  global
        .offset:         0
        .size:           8
        .value_kind:     global_buffer
      - .offset:         8
        .size:           4
        .value_kind:     by_value
      - .offset:         12
        .size:           4
        .value_kind:     by_value
      - .address_space:  global
        .offset:         16
        .size:           8
        .value_kind:     global_buffer
      - .offset:         24
        .size:           1
        .value_kind:     by_value
      - .offset:         32
        .size:           4
        .value_kind:     hidden_block_count_x
      - .offset:         36
        .size:           4
        .value_kind:     hidden_block_count_y
      - .offset:         40
        .size:           4
        .value_kind:     hidden_block_count_z
      - .offset:         44
        .size:           2
        .value_kind:     hidden_group_size_x
      - .offset:         46
        .size:           2
        .value_kind:     hidden_group_size_y
      - .offset:         48
        .size:           2
        .value_kind:     hidden_group_size_z
      - .offset:         50
        .size:           2
        .value_kind:     hidden_remainder_x
      - .offset:         52
        .size:           2
        .value_kind:     hidden_remainder_y
      - .offset:         54
        .size:           2
        .value_kind:     hidden_remainder_z
      - .offset:         72
        .size:           8
        .value_kind:     hidden_global_offset_x
      - .offset:         80
        .size:           8
        .value_kind:     hidden_global_offset_y
      - .offset:         88
        .size:           8
        .value_kind:     hidden_global_offset_z
      - .offset:         96
        .size:           2
        .value_kind:     hidden_grid_dims
    .group_segment_fixed_size: 0
    .kernarg_segment_align: 8
    .kernarg_segment_size: 288
    .language:       OpenCL C
    .language_version:
      - 2
      - 0
    .max_flat_workgroup_size: 256
    .name:           _ZN7rocprim17ROCPRIM_400000_NS6detail30init_device_scan_by_key_kernelINS1_19lookback_scan_stateINS0_5tupleIJibEEELb1ELb1EEENS1_16block_id_wrapperIjLb0EEEEEvT_jjPNS9_10value_typeET0_
    .private_segment_fixed_size: 0
    .sgpr_count:     12
    .sgpr_spill_count: 0
    .symbol:         _ZN7rocprim17ROCPRIM_400000_NS6detail30init_device_scan_by_key_kernelINS1_19lookback_scan_stateINS0_5tupleIJibEEELb1ELb1EEENS1_16block_id_wrapperIjLb0EEEEEvT_jjPNS9_10value_typeET0_.kd
    .uniform_work_group_size: 1
    .uses_dynamic_stack: false
    .vgpr_count:     8
    .vgpr_spill_count: 0
    .wavefront_size: 32
    .workgroup_processor_mode: 1
  - .args:
      - .offset:         0
        .size:           120
        .value_kind:     by_value
    .group_segment_fixed_size: 0
    .kernarg_segment_align: 8
    .kernarg_segment_size: 120
    .language:       OpenCL C
    .language_version:
      - 2
      - 0
    .max_flat_workgroup_size: 256
    .name:           _ZN7rocprim17ROCPRIM_400000_NS6detail17trampoline_kernelINS0_14default_configENS1_27scan_by_key_config_selectorIiiEEZZNS1_16scan_by_key_implILNS1_25lookback_scan_determinismE0ELb0ES3_PKiN6hipcub16HIPCUB_304000_NS21ConstantInputIteratorIilEEPiiNSB_3SumENSB_8EqualityEiEE10hipError_tPvRmT2_T3_T4_T5_mT6_T7_P12ihipStream_tbENKUlT_T0_E_clISt17integral_constantIbLb1EESW_IbLb0EEEEDaSS_ST_EUlSS_E_NS1_11comp_targetILNS1_3genE0ELNS1_11target_archE4294967295ELNS1_3gpuE0ELNS1_3repE0EEENS1_30default_config_static_selectorELNS0_4arch9wavefront6targetE0EEEvT1_
    .private_segment_fixed_size: 0
    .sgpr_count:     0
    .sgpr_spill_count: 0
    .symbol:         _ZN7rocprim17ROCPRIM_400000_NS6detail17trampoline_kernelINS0_14default_configENS1_27scan_by_key_config_selectorIiiEEZZNS1_16scan_by_key_implILNS1_25lookback_scan_determinismE0ELb0ES3_PKiN6hipcub16HIPCUB_304000_NS21ConstantInputIteratorIilEEPiiNSB_3SumENSB_8EqualityEiEE10hipError_tPvRmT2_T3_T4_T5_mT6_T7_P12ihipStream_tbENKUlT_T0_E_clISt17integral_constantIbLb1EESW_IbLb0EEEEDaSS_ST_EUlSS_E_NS1_11comp_targetILNS1_3genE0ELNS1_11target_archE4294967295ELNS1_3gpuE0ELNS1_3repE0EEENS1_30default_config_static_selectorELNS0_4arch9wavefront6targetE0EEEvT1_.kd
    .uniform_work_group_size: 1
    .uses_dynamic_stack: false
    .vgpr_count:     0
    .vgpr_spill_count: 0
    .wavefront_size: 32
    .workgroup_processor_mode: 1
  - .args:
      - .offset:         0
        .size:           120
        .value_kind:     by_value
    .group_segment_fixed_size: 0
    .kernarg_segment_align: 8
    .kernarg_segment_size: 120
    .language:       OpenCL C
    .language_version:
      - 2
      - 0
    .max_flat_workgroup_size: 256
    .name:           _ZN7rocprim17ROCPRIM_400000_NS6detail17trampoline_kernelINS0_14default_configENS1_27scan_by_key_config_selectorIiiEEZZNS1_16scan_by_key_implILNS1_25lookback_scan_determinismE0ELb0ES3_PKiN6hipcub16HIPCUB_304000_NS21ConstantInputIteratorIilEEPiiNSB_3SumENSB_8EqualityEiEE10hipError_tPvRmT2_T3_T4_T5_mT6_T7_P12ihipStream_tbENKUlT_T0_E_clISt17integral_constantIbLb1EESW_IbLb0EEEEDaSS_ST_EUlSS_E_NS1_11comp_targetILNS1_3genE10ELNS1_11target_archE1201ELNS1_3gpuE5ELNS1_3repE0EEENS1_30default_config_static_selectorELNS0_4arch9wavefront6targetE0EEEvT1_
    .private_segment_fixed_size: 0
    .sgpr_count:     0
    .sgpr_spill_count: 0
    .symbol:         _ZN7rocprim17ROCPRIM_400000_NS6detail17trampoline_kernelINS0_14default_configENS1_27scan_by_key_config_selectorIiiEEZZNS1_16scan_by_key_implILNS1_25lookback_scan_determinismE0ELb0ES3_PKiN6hipcub16HIPCUB_304000_NS21ConstantInputIteratorIilEEPiiNSB_3SumENSB_8EqualityEiEE10hipError_tPvRmT2_T3_T4_T5_mT6_T7_P12ihipStream_tbENKUlT_T0_E_clISt17integral_constantIbLb1EESW_IbLb0EEEEDaSS_ST_EUlSS_E_NS1_11comp_targetILNS1_3genE10ELNS1_11target_archE1201ELNS1_3gpuE5ELNS1_3repE0EEENS1_30default_config_static_selectorELNS0_4arch9wavefront6targetE0EEEvT1_.kd
    .uniform_work_group_size: 1
    .uses_dynamic_stack: false
    .vgpr_count:     0
    .vgpr_spill_count: 0
    .wavefront_size: 32
    .workgroup_processor_mode: 1
  - .args:
      - .offset:         0
        .size:           120
        .value_kind:     by_value
    .group_segment_fixed_size: 0
    .kernarg_segment_align: 8
    .kernarg_segment_size: 120
    .language:       OpenCL C
    .language_version:
      - 2
      - 0
    .max_flat_workgroup_size: 256
    .name:           _ZN7rocprim17ROCPRIM_400000_NS6detail17trampoline_kernelINS0_14default_configENS1_27scan_by_key_config_selectorIiiEEZZNS1_16scan_by_key_implILNS1_25lookback_scan_determinismE0ELb0ES3_PKiN6hipcub16HIPCUB_304000_NS21ConstantInputIteratorIilEEPiiNSB_3SumENSB_8EqualityEiEE10hipError_tPvRmT2_T3_T4_T5_mT6_T7_P12ihipStream_tbENKUlT_T0_E_clISt17integral_constantIbLb1EESW_IbLb0EEEEDaSS_ST_EUlSS_E_NS1_11comp_targetILNS1_3genE5ELNS1_11target_archE942ELNS1_3gpuE9ELNS1_3repE0EEENS1_30default_config_static_selectorELNS0_4arch9wavefront6targetE0EEEvT1_
    .private_segment_fixed_size: 0
    .sgpr_count:     0
    .sgpr_spill_count: 0
    .symbol:         _ZN7rocprim17ROCPRIM_400000_NS6detail17trampoline_kernelINS0_14default_configENS1_27scan_by_key_config_selectorIiiEEZZNS1_16scan_by_key_implILNS1_25lookback_scan_determinismE0ELb0ES3_PKiN6hipcub16HIPCUB_304000_NS21ConstantInputIteratorIilEEPiiNSB_3SumENSB_8EqualityEiEE10hipError_tPvRmT2_T3_T4_T5_mT6_T7_P12ihipStream_tbENKUlT_T0_E_clISt17integral_constantIbLb1EESW_IbLb0EEEEDaSS_ST_EUlSS_E_NS1_11comp_targetILNS1_3genE5ELNS1_11target_archE942ELNS1_3gpuE9ELNS1_3repE0EEENS1_30default_config_static_selectorELNS0_4arch9wavefront6targetE0EEEvT1_.kd
    .uniform_work_group_size: 1
    .uses_dynamic_stack: false
    .vgpr_count:     0
    .vgpr_spill_count: 0
    .wavefront_size: 32
    .workgroup_processor_mode: 1
  - .args:
      - .offset:         0
        .size:           120
        .value_kind:     by_value
    .group_segment_fixed_size: 0
    .kernarg_segment_align: 8
    .kernarg_segment_size: 120
    .language:       OpenCL C
    .language_version:
      - 2
      - 0
    .max_flat_workgroup_size: 256
    .name:           _ZN7rocprim17ROCPRIM_400000_NS6detail17trampoline_kernelINS0_14default_configENS1_27scan_by_key_config_selectorIiiEEZZNS1_16scan_by_key_implILNS1_25lookback_scan_determinismE0ELb0ES3_PKiN6hipcub16HIPCUB_304000_NS21ConstantInputIteratorIilEEPiiNSB_3SumENSB_8EqualityEiEE10hipError_tPvRmT2_T3_T4_T5_mT6_T7_P12ihipStream_tbENKUlT_T0_E_clISt17integral_constantIbLb1EESW_IbLb0EEEEDaSS_ST_EUlSS_E_NS1_11comp_targetILNS1_3genE4ELNS1_11target_archE910ELNS1_3gpuE8ELNS1_3repE0EEENS1_30default_config_static_selectorELNS0_4arch9wavefront6targetE0EEEvT1_
    .private_segment_fixed_size: 0
    .sgpr_count:     0
    .sgpr_spill_count: 0
    .symbol:         _ZN7rocprim17ROCPRIM_400000_NS6detail17trampoline_kernelINS0_14default_configENS1_27scan_by_key_config_selectorIiiEEZZNS1_16scan_by_key_implILNS1_25lookback_scan_determinismE0ELb0ES3_PKiN6hipcub16HIPCUB_304000_NS21ConstantInputIteratorIilEEPiiNSB_3SumENSB_8EqualityEiEE10hipError_tPvRmT2_T3_T4_T5_mT6_T7_P12ihipStream_tbENKUlT_T0_E_clISt17integral_constantIbLb1EESW_IbLb0EEEEDaSS_ST_EUlSS_E_NS1_11comp_targetILNS1_3genE4ELNS1_11target_archE910ELNS1_3gpuE8ELNS1_3repE0EEENS1_30default_config_static_selectorELNS0_4arch9wavefront6targetE0EEEvT1_.kd
    .uniform_work_group_size: 1
    .uses_dynamic_stack: false
    .vgpr_count:     0
    .vgpr_spill_count: 0
    .wavefront_size: 32
    .workgroup_processor_mode: 1
  - .args:
      - .offset:         0
        .size:           120
        .value_kind:     by_value
    .group_segment_fixed_size: 0
    .kernarg_segment_align: 8
    .kernarg_segment_size: 120
    .language:       OpenCL C
    .language_version:
      - 2
      - 0
    .max_flat_workgroup_size: 256
    .name:           _ZN7rocprim17ROCPRIM_400000_NS6detail17trampoline_kernelINS0_14default_configENS1_27scan_by_key_config_selectorIiiEEZZNS1_16scan_by_key_implILNS1_25lookback_scan_determinismE0ELb0ES3_PKiN6hipcub16HIPCUB_304000_NS21ConstantInputIteratorIilEEPiiNSB_3SumENSB_8EqualityEiEE10hipError_tPvRmT2_T3_T4_T5_mT6_T7_P12ihipStream_tbENKUlT_T0_E_clISt17integral_constantIbLb1EESW_IbLb0EEEEDaSS_ST_EUlSS_E_NS1_11comp_targetILNS1_3genE3ELNS1_11target_archE908ELNS1_3gpuE7ELNS1_3repE0EEENS1_30default_config_static_selectorELNS0_4arch9wavefront6targetE0EEEvT1_
    .private_segment_fixed_size: 0
    .sgpr_count:     0
    .sgpr_spill_count: 0
    .symbol:         _ZN7rocprim17ROCPRIM_400000_NS6detail17trampoline_kernelINS0_14default_configENS1_27scan_by_key_config_selectorIiiEEZZNS1_16scan_by_key_implILNS1_25lookback_scan_determinismE0ELb0ES3_PKiN6hipcub16HIPCUB_304000_NS21ConstantInputIteratorIilEEPiiNSB_3SumENSB_8EqualityEiEE10hipError_tPvRmT2_T3_T4_T5_mT6_T7_P12ihipStream_tbENKUlT_T0_E_clISt17integral_constantIbLb1EESW_IbLb0EEEEDaSS_ST_EUlSS_E_NS1_11comp_targetILNS1_3genE3ELNS1_11target_archE908ELNS1_3gpuE7ELNS1_3repE0EEENS1_30default_config_static_selectorELNS0_4arch9wavefront6targetE0EEEvT1_.kd
    .uniform_work_group_size: 1
    .uses_dynamic_stack: false
    .vgpr_count:     0
    .vgpr_spill_count: 0
    .wavefront_size: 32
    .workgroup_processor_mode: 1
  - .args:
      - .offset:         0
        .size:           120
        .value_kind:     by_value
    .group_segment_fixed_size: 0
    .kernarg_segment_align: 8
    .kernarg_segment_size: 120
    .language:       OpenCL C
    .language_version:
      - 2
      - 0
    .max_flat_workgroup_size: 256
    .name:           _ZN7rocprim17ROCPRIM_400000_NS6detail17trampoline_kernelINS0_14default_configENS1_27scan_by_key_config_selectorIiiEEZZNS1_16scan_by_key_implILNS1_25lookback_scan_determinismE0ELb0ES3_PKiN6hipcub16HIPCUB_304000_NS21ConstantInputIteratorIilEEPiiNSB_3SumENSB_8EqualityEiEE10hipError_tPvRmT2_T3_T4_T5_mT6_T7_P12ihipStream_tbENKUlT_T0_E_clISt17integral_constantIbLb1EESW_IbLb0EEEEDaSS_ST_EUlSS_E_NS1_11comp_targetILNS1_3genE2ELNS1_11target_archE906ELNS1_3gpuE6ELNS1_3repE0EEENS1_30default_config_static_selectorELNS0_4arch9wavefront6targetE0EEEvT1_
    .private_segment_fixed_size: 0
    .sgpr_count:     0
    .sgpr_spill_count: 0
    .symbol:         _ZN7rocprim17ROCPRIM_400000_NS6detail17trampoline_kernelINS0_14default_configENS1_27scan_by_key_config_selectorIiiEEZZNS1_16scan_by_key_implILNS1_25lookback_scan_determinismE0ELb0ES3_PKiN6hipcub16HIPCUB_304000_NS21ConstantInputIteratorIilEEPiiNSB_3SumENSB_8EqualityEiEE10hipError_tPvRmT2_T3_T4_T5_mT6_T7_P12ihipStream_tbENKUlT_T0_E_clISt17integral_constantIbLb1EESW_IbLb0EEEEDaSS_ST_EUlSS_E_NS1_11comp_targetILNS1_3genE2ELNS1_11target_archE906ELNS1_3gpuE6ELNS1_3repE0EEENS1_30default_config_static_selectorELNS0_4arch9wavefront6targetE0EEEvT1_.kd
    .uniform_work_group_size: 1
    .uses_dynamic_stack: false
    .vgpr_count:     0
    .vgpr_spill_count: 0
    .wavefront_size: 32
    .workgroup_processor_mode: 1
  - .args:
      - .offset:         0
        .size:           120
        .value_kind:     by_value
    .group_segment_fixed_size: 0
    .kernarg_segment_align: 8
    .kernarg_segment_size: 120
    .language:       OpenCL C
    .language_version:
      - 2
      - 0
    .max_flat_workgroup_size: 256
    .name:           _ZN7rocprim17ROCPRIM_400000_NS6detail17trampoline_kernelINS0_14default_configENS1_27scan_by_key_config_selectorIiiEEZZNS1_16scan_by_key_implILNS1_25lookback_scan_determinismE0ELb0ES3_PKiN6hipcub16HIPCUB_304000_NS21ConstantInputIteratorIilEEPiiNSB_3SumENSB_8EqualityEiEE10hipError_tPvRmT2_T3_T4_T5_mT6_T7_P12ihipStream_tbENKUlT_T0_E_clISt17integral_constantIbLb1EESW_IbLb0EEEEDaSS_ST_EUlSS_E_NS1_11comp_targetILNS1_3genE10ELNS1_11target_archE1200ELNS1_3gpuE4ELNS1_3repE0EEENS1_30default_config_static_selectorELNS0_4arch9wavefront6targetE0EEEvT1_
    .private_segment_fixed_size: 0
    .sgpr_count:     0
    .sgpr_spill_count: 0
    .symbol:         _ZN7rocprim17ROCPRIM_400000_NS6detail17trampoline_kernelINS0_14default_configENS1_27scan_by_key_config_selectorIiiEEZZNS1_16scan_by_key_implILNS1_25lookback_scan_determinismE0ELb0ES3_PKiN6hipcub16HIPCUB_304000_NS21ConstantInputIteratorIilEEPiiNSB_3SumENSB_8EqualityEiEE10hipError_tPvRmT2_T3_T4_T5_mT6_T7_P12ihipStream_tbENKUlT_T0_E_clISt17integral_constantIbLb1EESW_IbLb0EEEEDaSS_ST_EUlSS_E_NS1_11comp_targetILNS1_3genE10ELNS1_11target_archE1200ELNS1_3gpuE4ELNS1_3repE0EEENS1_30default_config_static_selectorELNS0_4arch9wavefront6targetE0EEEvT1_.kd
    .uniform_work_group_size: 1
    .uses_dynamic_stack: false
    .vgpr_count:     0
    .vgpr_spill_count: 0
    .wavefront_size: 32
    .workgroup_processor_mode: 1
  - .args:
      - .offset:         0
        .size:           120
        .value_kind:     by_value
    .group_segment_fixed_size: 0
    .kernarg_segment_align: 8
    .kernarg_segment_size: 120
    .language:       OpenCL C
    .language_version:
      - 2
      - 0
    .max_flat_workgroup_size: 256
    .name:           _ZN7rocprim17ROCPRIM_400000_NS6detail17trampoline_kernelINS0_14default_configENS1_27scan_by_key_config_selectorIiiEEZZNS1_16scan_by_key_implILNS1_25lookback_scan_determinismE0ELb0ES3_PKiN6hipcub16HIPCUB_304000_NS21ConstantInputIteratorIilEEPiiNSB_3SumENSB_8EqualityEiEE10hipError_tPvRmT2_T3_T4_T5_mT6_T7_P12ihipStream_tbENKUlT_T0_E_clISt17integral_constantIbLb1EESW_IbLb0EEEEDaSS_ST_EUlSS_E_NS1_11comp_targetILNS1_3genE9ELNS1_11target_archE1100ELNS1_3gpuE3ELNS1_3repE0EEENS1_30default_config_static_selectorELNS0_4arch9wavefront6targetE0EEEvT1_
    .private_segment_fixed_size: 0
    .sgpr_count:     0
    .sgpr_spill_count: 0
    .symbol:         _ZN7rocprim17ROCPRIM_400000_NS6detail17trampoline_kernelINS0_14default_configENS1_27scan_by_key_config_selectorIiiEEZZNS1_16scan_by_key_implILNS1_25lookback_scan_determinismE0ELb0ES3_PKiN6hipcub16HIPCUB_304000_NS21ConstantInputIteratorIilEEPiiNSB_3SumENSB_8EqualityEiEE10hipError_tPvRmT2_T3_T4_T5_mT6_T7_P12ihipStream_tbENKUlT_T0_E_clISt17integral_constantIbLb1EESW_IbLb0EEEEDaSS_ST_EUlSS_E_NS1_11comp_targetILNS1_3genE9ELNS1_11target_archE1100ELNS1_3gpuE3ELNS1_3repE0EEENS1_30default_config_static_selectorELNS0_4arch9wavefront6targetE0EEEvT1_.kd
    .uniform_work_group_size: 1
    .uses_dynamic_stack: false
    .vgpr_count:     0
    .vgpr_spill_count: 0
    .wavefront_size: 32
    .workgroup_processor_mode: 1
  - .args:
      - .offset:         0
        .size:           120
        .value_kind:     by_value
    .group_segment_fixed_size: 0
    .kernarg_segment_align: 8
    .kernarg_segment_size: 120
    .language:       OpenCL C
    .language_version:
      - 2
      - 0
    .max_flat_workgroup_size: 256
    .name:           _ZN7rocprim17ROCPRIM_400000_NS6detail17trampoline_kernelINS0_14default_configENS1_27scan_by_key_config_selectorIiiEEZZNS1_16scan_by_key_implILNS1_25lookback_scan_determinismE0ELb0ES3_PKiN6hipcub16HIPCUB_304000_NS21ConstantInputIteratorIilEEPiiNSB_3SumENSB_8EqualityEiEE10hipError_tPvRmT2_T3_T4_T5_mT6_T7_P12ihipStream_tbENKUlT_T0_E_clISt17integral_constantIbLb1EESW_IbLb0EEEEDaSS_ST_EUlSS_E_NS1_11comp_targetILNS1_3genE8ELNS1_11target_archE1030ELNS1_3gpuE2ELNS1_3repE0EEENS1_30default_config_static_selectorELNS0_4arch9wavefront6targetE0EEEvT1_
    .private_segment_fixed_size: 0
    .sgpr_count:     0
    .sgpr_spill_count: 0
    .symbol:         _ZN7rocprim17ROCPRIM_400000_NS6detail17trampoline_kernelINS0_14default_configENS1_27scan_by_key_config_selectorIiiEEZZNS1_16scan_by_key_implILNS1_25lookback_scan_determinismE0ELb0ES3_PKiN6hipcub16HIPCUB_304000_NS21ConstantInputIteratorIilEEPiiNSB_3SumENSB_8EqualityEiEE10hipError_tPvRmT2_T3_T4_T5_mT6_T7_P12ihipStream_tbENKUlT_T0_E_clISt17integral_constantIbLb1EESW_IbLb0EEEEDaSS_ST_EUlSS_E_NS1_11comp_targetILNS1_3genE8ELNS1_11target_archE1030ELNS1_3gpuE2ELNS1_3repE0EEENS1_30default_config_static_selectorELNS0_4arch9wavefront6targetE0EEEvT1_.kd
    .uniform_work_group_size: 1
    .uses_dynamic_stack: false
    .vgpr_count:     0
    .vgpr_spill_count: 0
    .wavefront_size: 32
    .workgroup_processor_mode: 1
  - .args:
      - .address_space:  global
        .offset:         0
        .size:           8
        .value_kind:     global_buffer
      - .offset:         8
        .size:           4
        .value_kind:     by_value
      - .offset:         12
        .size:           4
        .value_kind:     by_value
      - .address_space:  global
        .offset:         16
        .size:           8
        .value_kind:     global_buffer
      - .address_space:  global
        .offset:         24
        .size:           8
        .value_kind:     global_buffer
      - .actual_access:  write_only
        .address_space:  global
        .offset:         32
        .size:           8
        .value_kind:     global_buffer
      - .offset:         40
        .size:           8
        .value_kind:     by_value
      - .offset:         48
        .size:           4
        .value_kind:     by_value
      - .address_space:  global
        .offset:         56
        .size:           8
        .value_kind:     global_buffer
      - .offset:         64
        .size:           4
        .value_kind:     hidden_block_count_x
      - .offset:         68
        .size:           4
        .value_kind:     hidden_block_count_y
      - .offset:         72
        .size:           4
        .value_kind:     hidden_block_count_z
      - .offset:         76
        .size:           2
        .value_kind:     hidden_group_size_x
      - .offset:         78
        .size:           2
        .value_kind:     hidden_group_size_y
      - .offset:         80
        .size:           2
        .value_kind:     hidden_group_size_z
      - .offset:         82
        .size:           2
        .value_kind:     hidden_remainder_x
      - .offset:         84
        .size:           2
        .value_kind:     hidden_remainder_y
      - .offset:         86
        .size:           2
        .value_kind:     hidden_remainder_z
      - .offset:         104
        .size:           8
        .value_kind:     hidden_global_offset_x
      - .offset:         112
        .size:           8
        .value_kind:     hidden_global_offset_y
      - .offset:         120
        .size:           8
        .value_kind:     hidden_global_offset_z
      - .offset:         128
        .size:           2
        .value_kind:     hidden_grid_dims
    .group_segment_fixed_size: 0
    .kernarg_segment_align: 8
    .kernarg_segment_size: 320
    .language:       OpenCL C
    .language_version:
      - 2
      - 0
    .max_flat_workgroup_size: 256
    .name:           _ZN7rocprim17ROCPRIM_400000_NS6detail30init_device_scan_by_key_kernelINS1_19lookback_scan_stateINS0_5tupleIJibEEELb0ELb1EEEPKijNS1_16block_id_wrapperIjLb1EEEEEvT_jjPNSB_10value_typeET0_PNSt15iterator_traitsISE_E10value_typeEmT1_T2_
    .private_segment_fixed_size: 0
    .sgpr_count:     19
    .sgpr_spill_count: 0
    .symbol:         _ZN7rocprim17ROCPRIM_400000_NS6detail30init_device_scan_by_key_kernelINS1_19lookback_scan_stateINS0_5tupleIJibEEELb0ELb1EEEPKijNS1_16block_id_wrapperIjLb1EEEEEvT_jjPNSB_10value_typeET0_PNSt15iterator_traitsISE_E10value_typeEmT1_T2_.kd
    .uniform_work_group_size: 1
    .uses_dynamic_stack: false
    .vgpr_count:     9
    .vgpr_spill_count: 0
    .wavefront_size: 32
    .workgroup_processor_mode: 1
  - .args:
      - .address_space:  global
        .offset:         0
        .size:           8
        .value_kind:     global_buffer
      - .offset:         8
        .size:           4
        .value_kind:     by_value
      - .offset:         12
        .size:           4
        .value_kind:     by_value
      - .address_space:  global
        .offset:         16
        .size:           8
        .value_kind:     global_buffer
      - .address_space:  global
        .offset:         24
        .size:           8
        .value_kind:     global_buffer
      - .offset:         32
        .size:           4
        .value_kind:     hidden_block_count_x
      - .offset:         36
        .size:           4
        .value_kind:     hidden_block_count_y
      - .offset:         40
        .size:           4
        .value_kind:     hidden_block_count_z
      - .offset:         44
        .size:           2
        .value_kind:     hidden_group_size_x
      - .offset:         46
        .size:           2
        .value_kind:     hidden_group_size_y
      - .offset:         48
        .size:           2
        .value_kind:     hidden_group_size_z
      - .offset:         50
        .size:           2
        .value_kind:     hidden_remainder_x
      - .offset:         52
        .size:           2
        .value_kind:     hidden_remainder_y
      - .offset:         54
        .size:           2
        .value_kind:     hidden_remainder_z
      - .offset:         72
        .size:           8
        .value_kind:     hidden_global_offset_x
      - .offset:         80
        .size:           8
        .value_kind:     hidden_global_offset_y
      - .offset:         88
        .size:           8
        .value_kind:     hidden_global_offset_z
      - .offset:         96
        .size:           2
        .value_kind:     hidden_grid_dims
    .group_segment_fixed_size: 0
    .kernarg_segment_align: 8
    .kernarg_segment_size: 288
    .language:       OpenCL C
    .language_version:
      - 2
      - 0
    .max_flat_workgroup_size: 256
    .name:           _ZN7rocprim17ROCPRIM_400000_NS6detail30init_device_scan_by_key_kernelINS1_19lookback_scan_stateINS0_5tupleIJibEEELb0ELb1EEENS1_16block_id_wrapperIjLb1EEEEEvT_jjPNS9_10value_typeET0_
    .private_segment_fixed_size: 0
    .sgpr_count:     18
    .sgpr_spill_count: 0
    .symbol:         _ZN7rocprim17ROCPRIM_400000_NS6detail30init_device_scan_by_key_kernelINS1_19lookback_scan_stateINS0_5tupleIJibEEELb0ELb1EEENS1_16block_id_wrapperIjLb1EEEEEvT_jjPNS9_10value_typeET0_.kd
    .uniform_work_group_size: 1
    .uses_dynamic_stack: false
    .vgpr_count:     8
    .vgpr_spill_count: 0
    .wavefront_size: 32
    .workgroup_processor_mode: 1
  - .args:
      - .offset:         0
        .size:           120
        .value_kind:     by_value
    .group_segment_fixed_size: 0
    .kernarg_segment_align: 8
    .kernarg_segment_size: 120
    .language:       OpenCL C
    .language_version:
      - 2
      - 0
    .max_flat_workgroup_size: 256
    .name:           _ZN7rocprim17ROCPRIM_400000_NS6detail17trampoline_kernelINS0_14default_configENS1_27scan_by_key_config_selectorIiiEEZZNS1_16scan_by_key_implILNS1_25lookback_scan_determinismE0ELb0ES3_PKiN6hipcub16HIPCUB_304000_NS21ConstantInputIteratorIilEEPiiNSB_3SumENSB_8EqualityEiEE10hipError_tPvRmT2_T3_T4_T5_mT6_T7_P12ihipStream_tbENKUlT_T0_E_clISt17integral_constantIbLb0EESW_IbLb1EEEEDaSS_ST_EUlSS_E_NS1_11comp_targetILNS1_3genE0ELNS1_11target_archE4294967295ELNS1_3gpuE0ELNS1_3repE0EEENS1_30default_config_static_selectorELNS0_4arch9wavefront6targetE0EEEvT1_
    .private_segment_fixed_size: 0
    .sgpr_count:     0
    .sgpr_spill_count: 0
    .symbol:         _ZN7rocprim17ROCPRIM_400000_NS6detail17trampoline_kernelINS0_14default_configENS1_27scan_by_key_config_selectorIiiEEZZNS1_16scan_by_key_implILNS1_25lookback_scan_determinismE0ELb0ES3_PKiN6hipcub16HIPCUB_304000_NS21ConstantInputIteratorIilEEPiiNSB_3SumENSB_8EqualityEiEE10hipError_tPvRmT2_T3_T4_T5_mT6_T7_P12ihipStream_tbENKUlT_T0_E_clISt17integral_constantIbLb0EESW_IbLb1EEEEDaSS_ST_EUlSS_E_NS1_11comp_targetILNS1_3genE0ELNS1_11target_archE4294967295ELNS1_3gpuE0ELNS1_3repE0EEENS1_30default_config_static_selectorELNS0_4arch9wavefront6targetE0EEEvT1_.kd
    .uniform_work_group_size: 1
    .uses_dynamic_stack: false
    .vgpr_count:     0
    .vgpr_spill_count: 0
    .wavefront_size: 32
    .workgroup_processor_mode: 1
  - .args:
      - .offset:         0
        .size:           120
        .value_kind:     by_value
    .group_segment_fixed_size: 0
    .kernarg_segment_align: 8
    .kernarg_segment_size: 120
    .language:       OpenCL C
    .language_version:
      - 2
      - 0
    .max_flat_workgroup_size: 256
    .name:           _ZN7rocprim17ROCPRIM_400000_NS6detail17trampoline_kernelINS0_14default_configENS1_27scan_by_key_config_selectorIiiEEZZNS1_16scan_by_key_implILNS1_25lookback_scan_determinismE0ELb0ES3_PKiN6hipcub16HIPCUB_304000_NS21ConstantInputIteratorIilEEPiiNSB_3SumENSB_8EqualityEiEE10hipError_tPvRmT2_T3_T4_T5_mT6_T7_P12ihipStream_tbENKUlT_T0_E_clISt17integral_constantIbLb0EESW_IbLb1EEEEDaSS_ST_EUlSS_E_NS1_11comp_targetILNS1_3genE10ELNS1_11target_archE1201ELNS1_3gpuE5ELNS1_3repE0EEENS1_30default_config_static_selectorELNS0_4arch9wavefront6targetE0EEEvT1_
    .private_segment_fixed_size: 0
    .sgpr_count:     0
    .sgpr_spill_count: 0
    .symbol:         _ZN7rocprim17ROCPRIM_400000_NS6detail17trampoline_kernelINS0_14default_configENS1_27scan_by_key_config_selectorIiiEEZZNS1_16scan_by_key_implILNS1_25lookback_scan_determinismE0ELb0ES3_PKiN6hipcub16HIPCUB_304000_NS21ConstantInputIteratorIilEEPiiNSB_3SumENSB_8EqualityEiEE10hipError_tPvRmT2_T3_T4_T5_mT6_T7_P12ihipStream_tbENKUlT_T0_E_clISt17integral_constantIbLb0EESW_IbLb1EEEEDaSS_ST_EUlSS_E_NS1_11comp_targetILNS1_3genE10ELNS1_11target_archE1201ELNS1_3gpuE5ELNS1_3repE0EEENS1_30default_config_static_selectorELNS0_4arch9wavefront6targetE0EEEvT1_.kd
    .uniform_work_group_size: 1
    .uses_dynamic_stack: false
    .vgpr_count:     0
    .vgpr_spill_count: 0
    .wavefront_size: 32
    .workgroup_processor_mode: 1
  - .args:
      - .offset:         0
        .size:           120
        .value_kind:     by_value
    .group_segment_fixed_size: 0
    .kernarg_segment_align: 8
    .kernarg_segment_size: 120
    .language:       OpenCL C
    .language_version:
      - 2
      - 0
    .max_flat_workgroup_size: 256
    .name:           _ZN7rocprim17ROCPRIM_400000_NS6detail17trampoline_kernelINS0_14default_configENS1_27scan_by_key_config_selectorIiiEEZZNS1_16scan_by_key_implILNS1_25lookback_scan_determinismE0ELb0ES3_PKiN6hipcub16HIPCUB_304000_NS21ConstantInputIteratorIilEEPiiNSB_3SumENSB_8EqualityEiEE10hipError_tPvRmT2_T3_T4_T5_mT6_T7_P12ihipStream_tbENKUlT_T0_E_clISt17integral_constantIbLb0EESW_IbLb1EEEEDaSS_ST_EUlSS_E_NS1_11comp_targetILNS1_3genE5ELNS1_11target_archE942ELNS1_3gpuE9ELNS1_3repE0EEENS1_30default_config_static_selectorELNS0_4arch9wavefront6targetE0EEEvT1_
    .private_segment_fixed_size: 0
    .sgpr_count:     0
    .sgpr_spill_count: 0
    .symbol:         _ZN7rocprim17ROCPRIM_400000_NS6detail17trampoline_kernelINS0_14default_configENS1_27scan_by_key_config_selectorIiiEEZZNS1_16scan_by_key_implILNS1_25lookback_scan_determinismE0ELb0ES3_PKiN6hipcub16HIPCUB_304000_NS21ConstantInputIteratorIilEEPiiNSB_3SumENSB_8EqualityEiEE10hipError_tPvRmT2_T3_T4_T5_mT6_T7_P12ihipStream_tbENKUlT_T0_E_clISt17integral_constantIbLb0EESW_IbLb1EEEEDaSS_ST_EUlSS_E_NS1_11comp_targetILNS1_3genE5ELNS1_11target_archE942ELNS1_3gpuE9ELNS1_3repE0EEENS1_30default_config_static_selectorELNS0_4arch9wavefront6targetE0EEEvT1_.kd
    .uniform_work_group_size: 1
    .uses_dynamic_stack: false
    .vgpr_count:     0
    .vgpr_spill_count: 0
    .wavefront_size: 32
    .workgroup_processor_mode: 1
  - .args:
      - .offset:         0
        .size:           120
        .value_kind:     by_value
    .group_segment_fixed_size: 0
    .kernarg_segment_align: 8
    .kernarg_segment_size: 120
    .language:       OpenCL C
    .language_version:
      - 2
      - 0
    .max_flat_workgroup_size: 256
    .name:           _ZN7rocprim17ROCPRIM_400000_NS6detail17trampoline_kernelINS0_14default_configENS1_27scan_by_key_config_selectorIiiEEZZNS1_16scan_by_key_implILNS1_25lookback_scan_determinismE0ELb0ES3_PKiN6hipcub16HIPCUB_304000_NS21ConstantInputIteratorIilEEPiiNSB_3SumENSB_8EqualityEiEE10hipError_tPvRmT2_T3_T4_T5_mT6_T7_P12ihipStream_tbENKUlT_T0_E_clISt17integral_constantIbLb0EESW_IbLb1EEEEDaSS_ST_EUlSS_E_NS1_11comp_targetILNS1_3genE4ELNS1_11target_archE910ELNS1_3gpuE8ELNS1_3repE0EEENS1_30default_config_static_selectorELNS0_4arch9wavefront6targetE0EEEvT1_
    .private_segment_fixed_size: 0
    .sgpr_count:     0
    .sgpr_spill_count: 0
    .symbol:         _ZN7rocprim17ROCPRIM_400000_NS6detail17trampoline_kernelINS0_14default_configENS1_27scan_by_key_config_selectorIiiEEZZNS1_16scan_by_key_implILNS1_25lookback_scan_determinismE0ELb0ES3_PKiN6hipcub16HIPCUB_304000_NS21ConstantInputIteratorIilEEPiiNSB_3SumENSB_8EqualityEiEE10hipError_tPvRmT2_T3_T4_T5_mT6_T7_P12ihipStream_tbENKUlT_T0_E_clISt17integral_constantIbLb0EESW_IbLb1EEEEDaSS_ST_EUlSS_E_NS1_11comp_targetILNS1_3genE4ELNS1_11target_archE910ELNS1_3gpuE8ELNS1_3repE0EEENS1_30default_config_static_selectorELNS0_4arch9wavefront6targetE0EEEvT1_.kd
    .uniform_work_group_size: 1
    .uses_dynamic_stack: false
    .vgpr_count:     0
    .vgpr_spill_count: 0
    .wavefront_size: 32
    .workgroup_processor_mode: 1
  - .args:
      - .offset:         0
        .size:           120
        .value_kind:     by_value
    .group_segment_fixed_size: 0
    .kernarg_segment_align: 8
    .kernarg_segment_size: 120
    .language:       OpenCL C
    .language_version:
      - 2
      - 0
    .max_flat_workgroup_size: 256
    .name:           _ZN7rocprim17ROCPRIM_400000_NS6detail17trampoline_kernelINS0_14default_configENS1_27scan_by_key_config_selectorIiiEEZZNS1_16scan_by_key_implILNS1_25lookback_scan_determinismE0ELb0ES3_PKiN6hipcub16HIPCUB_304000_NS21ConstantInputIteratorIilEEPiiNSB_3SumENSB_8EqualityEiEE10hipError_tPvRmT2_T3_T4_T5_mT6_T7_P12ihipStream_tbENKUlT_T0_E_clISt17integral_constantIbLb0EESW_IbLb1EEEEDaSS_ST_EUlSS_E_NS1_11comp_targetILNS1_3genE3ELNS1_11target_archE908ELNS1_3gpuE7ELNS1_3repE0EEENS1_30default_config_static_selectorELNS0_4arch9wavefront6targetE0EEEvT1_
    .private_segment_fixed_size: 0
    .sgpr_count:     0
    .sgpr_spill_count: 0
    .symbol:         _ZN7rocprim17ROCPRIM_400000_NS6detail17trampoline_kernelINS0_14default_configENS1_27scan_by_key_config_selectorIiiEEZZNS1_16scan_by_key_implILNS1_25lookback_scan_determinismE0ELb0ES3_PKiN6hipcub16HIPCUB_304000_NS21ConstantInputIteratorIilEEPiiNSB_3SumENSB_8EqualityEiEE10hipError_tPvRmT2_T3_T4_T5_mT6_T7_P12ihipStream_tbENKUlT_T0_E_clISt17integral_constantIbLb0EESW_IbLb1EEEEDaSS_ST_EUlSS_E_NS1_11comp_targetILNS1_3genE3ELNS1_11target_archE908ELNS1_3gpuE7ELNS1_3repE0EEENS1_30default_config_static_selectorELNS0_4arch9wavefront6targetE0EEEvT1_.kd
    .uniform_work_group_size: 1
    .uses_dynamic_stack: false
    .vgpr_count:     0
    .vgpr_spill_count: 0
    .wavefront_size: 32
    .workgroup_processor_mode: 1
  - .args:
      - .offset:         0
        .size:           120
        .value_kind:     by_value
    .group_segment_fixed_size: 0
    .kernarg_segment_align: 8
    .kernarg_segment_size: 120
    .language:       OpenCL C
    .language_version:
      - 2
      - 0
    .max_flat_workgroup_size: 256
    .name:           _ZN7rocprim17ROCPRIM_400000_NS6detail17trampoline_kernelINS0_14default_configENS1_27scan_by_key_config_selectorIiiEEZZNS1_16scan_by_key_implILNS1_25lookback_scan_determinismE0ELb0ES3_PKiN6hipcub16HIPCUB_304000_NS21ConstantInputIteratorIilEEPiiNSB_3SumENSB_8EqualityEiEE10hipError_tPvRmT2_T3_T4_T5_mT6_T7_P12ihipStream_tbENKUlT_T0_E_clISt17integral_constantIbLb0EESW_IbLb1EEEEDaSS_ST_EUlSS_E_NS1_11comp_targetILNS1_3genE2ELNS1_11target_archE906ELNS1_3gpuE6ELNS1_3repE0EEENS1_30default_config_static_selectorELNS0_4arch9wavefront6targetE0EEEvT1_
    .private_segment_fixed_size: 0
    .sgpr_count:     0
    .sgpr_spill_count: 0
    .symbol:         _ZN7rocprim17ROCPRIM_400000_NS6detail17trampoline_kernelINS0_14default_configENS1_27scan_by_key_config_selectorIiiEEZZNS1_16scan_by_key_implILNS1_25lookback_scan_determinismE0ELb0ES3_PKiN6hipcub16HIPCUB_304000_NS21ConstantInputIteratorIilEEPiiNSB_3SumENSB_8EqualityEiEE10hipError_tPvRmT2_T3_T4_T5_mT6_T7_P12ihipStream_tbENKUlT_T0_E_clISt17integral_constantIbLb0EESW_IbLb1EEEEDaSS_ST_EUlSS_E_NS1_11comp_targetILNS1_3genE2ELNS1_11target_archE906ELNS1_3gpuE6ELNS1_3repE0EEENS1_30default_config_static_selectorELNS0_4arch9wavefront6targetE0EEEvT1_.kd
    .uniform_work_group_size: 1
    .uses_dynamic_stack: false
    .vgpr_count:     0
    .vgpr_spill_count: 0
    .wavefront_size: 32
    .workgroup_processor_mode: 1
  - .args:
      - .offset:         0
        .size:           120
        .value_kind:     by_value
    .group_segment_fixed_size: 0
    .kernarg_segment_align: 8
    .kernarg_segment_size: 120
    .language:       OpenCL C
    .language_version:
      - 2
      - 0
    .max_flat_workgroup_size: 256
    .name:           _ZN7rocprim17ROCPRIM_400000_NS6detail17trampoline_kernelINS0_14default_configENS1_27scan_by_key_config_selectorIiiEEZZNS1_16scan_by_key_implILNS1_25lookback_scan_determinismE0ELb0ES3_PKiN6hipcub16HIPCUB_304000_NS21ConstantInputIteratorIilEEPiiNSB_3SumENSB_8EqualityEiEE10hipError_tPvRmT2_T3_T4_T5_mT6_T7_P12ihipStream_tbENKUlT_T0_E_clISt17integral_constantIbLb0EESW_IbLb1EEEEDaSS_ST_EUlSS_E_NS1_11comp_targetILNS1_3genE10ELNS1_11target_archE1200ELNS1_3gpuE4ELNS1_3repE0EEENS1_30default_config_static_selectorELNS0_4arch9wavefront6targetE0EEEvT1_
    .private_segment_fixed_size: 0
    .sgpr_count:     0
    .sgpr_spill_count: 0
    .symbol:         _ZN7rocprim17ROCPRIM_400000_NS6detail17trampoline_kernelINS0_14default_configENS1_27scan_by_key_config_selectorIiiEEZZNS1_16scan_by_key_implILNS1_25lookback_scan_determinismE0ELb0ES3_PKiN6hipcub16HIPCUB_304000_NS21ConstantInputIteratorIilEEPiiNSB_3SumENSB_8EqualityEiEE10hipError_tPvRmT2_T3_T4_T5_mT6_T7_P12ihipStream_tbENKUlT_T0_E_clISt17integral_constantIbLb0EESW_IbLb1EEEEDaSS_ST_EUlSS_E_NS1_11comp_targetILNS1_3genE10ELNS1_11target_archE1200ELNS1_3gpuE4ELNS1_3repE0EEENS1_30default_config_static_selectorELNS0_4arch9wavefront6targetE0EEEvT1_.kd
    .uniform_work_group_size: 1
    .uses_dynamic_stack: false
    .vgpr_count:     0
    .vgpr_spill_count: 0
    .wavefront_size: 32
    .workgroup_processor_mode: 1
  - .args:
      - .offset:         0
        .size:           120
        .value_kind:     by_value
    .group_segment_fixed_size: 0
    .kernarg_segment_align: 8
    .kernarg_segment_size: 120
    .language:       OpenCL C
    .language_version:
      - 2
      - 0
    .max_flat_workgroup_size: 256
    .name:           _ZN7rocprim17ROCPRIM_400000_NS6detail17trampoline_kernelINS0_14default_configENS1_27scan_by_key_config_selectorIiiEEZZNS1_16scan_by_key_implILNS1_25lookback_scan_determinismE0ELb0ES3_PKiN6hipcub16HIPCUB_304000_NS21ConstantInputIteratorIilEEPiiNSB_3SumENSB_8EqualityEiEE10hipError_tPvRmT2_T3_T4_T5_mT6_T7_P12ihipStream_tbENKUlT_T0_E_clISt17integral_constantIbLb0EESW_IbLb1EEEEDaSS_ST_EUlSS_E_NS1_11comp_targetILNS1_3genE9ELNS1_11target_archE1100ELNS1_3gpuE3ELNS1_3repE0EEENS1_30default_config_static_selectorELNS0_4arch9wavefront6targetE0EEEvT1_
    .private_segment_fixed_size: 0
    .sgpr_count:     0
    .sgpr_spill_count: 0
    .symbol:         _ZN7rocprim17ROCPRIM_400000_NS6detail17trampoline_kernelINS0_14default_configENS1_27scan_by_key_config_selectorIiiEEZZNS1_16scan_by_key_implILNS1_25lookback_scan_determinismE0ELb0ES3_PKiN6hipcub16HIPCUB_304000_NS21ConstantInputIteratorIilEEPiiNSB_3SumENSB_8EqualityEiEE10hipError_tPvRmT2_T3_T4_T5_mT6_T7_P12ihipStream_tbENKUlT_T0_E_clISt17integral_constantIbLb0EESW_IbLb1EEEEDaSS_ST_EUlSS_E_NS1_11comp_targetILNS1_3genE9ELNS1_11target_archE1100ELNS1_3gpuE3ELNS1_3repE0EEENS1_30default_config_static_selectorELNS0_4arch9wavefront6targetE0EEEvT1_.kd
    .uniform_work_group_size: 1
    .uses_dynamic_stack: false
    .vgpr_count:     0
    .vgpr_spill_count: 0
    .wavefront_size: 32
    .workgroup_processor_mode: 1
  - .args:
      - .offset:         0
        .size:           120
        .value_kind:     by_value
    .group_segment_fixed_size: 5120
    .kernarg_segment_align: 8
    .kernarg_segment_size: 120
    .language:       OpenCL C
    .language_version:
      - 2
      - 0
    .max_flat_workgroup_size: 256
    .name:           _ZN7rocprim17ROCPRIM_400000_NS6detail17trampoline_kernelINS0_14default_configENS1_27scan_by_key_config_selectorIiiEEZZNS1_16scan_by_key_implILNS1_25lookback_scan_determinismE0ELb0ES3_PKiN6hipcub16HIPCUB_304000_NS21ConstantInputIteratorIilEEPiiNSB_3SumENSB_8EqualityEiEE10hipError_tPvRmT2_T3_T4_T5_mT6_T7_P12ihipStream_tbENKUlT_T0_E_clISt17integral_constantIbLb0EESW_IbLb1EEEEDaSS_ST_EUlSS_E_NS1_11comp_targetILNS1_3genE8ELNS1_11target_archE1030ELNS1_3gpuE2ELNS1_3repE0EEENS1_30default_config_static_selectorELNS0_4arch9wavefront6targetE0EEEvT1_
    .private_segment_fixed_size: 0
    .sgpr_count:     36
    .sgpr_spill_count: 0
    .symbol:         _ZN7rocprim17ROCPRIM_400000_NS6detail17trampoline_kernelINS0_14default_configENS1_27scan_by_key_config_selectorIiiEEZZNS1_16scan_by_key_implILNS1_25lookback_scan_determinismE0ELb0ES3_PKiN6hipcub16HIPCUB_304000_NS21ConstantInputIteratorIilEEPiiNSB_3SumENSB_8EqualityEiEE10hipError_tPvRmT2_T3_T4_T5_mT6_T7_P12ihipStream_tbENKUlT_T0_E_clISt17integral_constantIbLb0EESW_IbLb1EEEEDaSS_ST_EUlSS_E_NS1_11comp_targetILNS1_3genE8ELNS1_11target_archE1030ELNS1_3gpuE2ELNS1_3repE0EEENS1_30default_config_static_selectorELNS0_4arch9wavefront6targetE0EEEvT1_.kd
    .uniform_work_group_size: 1
    .uses_dynamic_stack: false
    .vgpr_count:     42
    .vgpr_spill_count: 0
    .wavefront_size: 32
    .workgroup_processor_mode: 1
  - .args:
      - .address_space:  global
        .offset:         0
        .size:           8
        .value_kind:     global_buffer
      - .offset:         8
        .size:           4
        .value_kind:     by_value
      - .offset:         12
        .size:           4
        .value_kind:     by_value
      - .address_space:  global
        .offset:         16
        .size:           8
        .value_kind:     global_buffer
      - .address_space:  global
        .offset:         24
        .size:           8
        .value_kind:     global_buffer
      - .actual_access:  write_only
        .address_space:  global
        .offset:         32
        .size:           8
        .value_kind:     global_buffer
      - .offset:         40
        .size:           8
        .value_kind:     by_value
      - .offset:         48
        .size:           4
        .value_kind:     by_value
      - .offset:         52
        .size:           1
        .value_kind:     by_value
      - .offset:         56
        .size:           4
        .value_kind:     hidden_block_count_x
      - .offset:         60
        .size:           4
        .value_kind:     hidden_block_count_y
      - .offset:         64
        .size:           4
        .value_kind:     hidden_block_count_z
      - .offset:         68
        .size:           2
        .value_kind:     hidden_group_size_x
      - .offset:         70
        .size:           2
        .value_kind:     hidden_group_size_y
      - .offset:         72
        .size:           2
        .value_kind:     hidden_group_size_z
      - .offset:         74
        .size:           2
        .value_kind:     hidden_remainder_x
      - .offset:         76
        .size:           2
        .value_kind:     hidden_remainder_y
      - .offset:         78
        .size:           2
        .value_kind:     hidden_remainder_z
      - .offset:         96
        .size:           8
        .value_kind:     hidden_global_offset_x
      - .offset:         104
        .size:           8
        .value_kind:     hidden_global_offset_y
      - .offset:         112
        .size:           8
        .value_kind:     hidden_global_offset_z
      - .offset:         120
        .size:           2
        .value_kind:     hidden_grid_dims
    .group_segment_fixed_size: 0
    .kernarg_segment_align: 8
    .kernarg_segment_size: 312
    .language:       OpenCL C
    .language_version:
      - 2
      - 0
    .max_flat_workgroup_size: 256
    .name:           _ZN7rocprim17ROCPRIM_400000_NS6detail30init_device_scan_by_key_kernelINS1_19lookback_scan_stateINS0_5tupleIJibEEELb0ELb1EEEN6thrust23THRUST_200600_302600_NS16reverse_iteratorIPKiEEjNS1_16block_id_wrapperIjLb0EEEEEvT_jjPNSF_10value_typeET0_PNSt15iterator_traitsISI_E10value_typeEmT1_T2_
    .private_segment_fixed_size: 0
    .sgpr_count:     19
    .sgpr_spill_count: 0
    .symbol:         _ZN7rocprim17ROCPRIM_400000_NS6detail30init_device_scan_by_key_kernelINS1_19lookback_scan_stateINS0_5tupleIJibEEELb0ELb1EEEN6thrust23THRUST_200600_302600_NS16reverse_iteratorIPKiEEjNS1_16block_id_wrapperIjLb0EEEEEvT_jjPNSF_10value_typeET0_PNSt15iterator_traitsISI_E10value_typeEmT1_T2_.kd
    .uniform_work_group_size: 1
    .uses_dynamic_stack: false
    .vgpr_count:     9
    .vgpr_spill_count: 0
    .wavefront_size: 32
    .workgroup_processor_mode: 1
  - .args:
      - .offset:         0
        .size:           112
        .value_kind:     by_value
    .group_segment_fixed_size: 0
    .kernarg_segment_align: 8
    .kernarg_segment_size: 112
    .language:       OpenCL C
    .language_version:
      - 2
      - 0
    .max_flat_workgroup_size: 256
    .name:           _ZN7rocprim17ROCPRIM_400000_NS6detail17trampoline_kernelINS0_14default_configENS1_27scan_by_key_config_selectorIiiEEZZNS1_16scan_by_key_implILNS1_25lookback_scan_determinismE0ELb0ES3_N6thrust23THRUST_200600_302600_NS16reverse_iteratorIPKiEESD_NSA_IPiEEiN6hipcub16HIPCUB_304000_NS3MaxENSH_8EqualityEiEE10hipError_tPvRmT2_T3_T4_T5_mT6_T7_P12ihipStream_tbENKUlT_T0_E_clISt17integral_constantIbLb0EES10_EEDaSV_SW_EUlSV_E_NS1_11comp_targetILNS1_3genE0ELNS1_11target_archE4294967295ELNS1_3gpuE0ELNS1_3repE0EEENS1_30default_config_static_selectorELNS0_4arch9wavefront6targetE0EEEvT1_
    .private_segment_fixed_size: 0
    .sgpr_count:     0
    .sgpr_spill_count: 0
    .symbol:         _ZN7rocprim17ROCPRIM_400000_NS6detail17trampoline_kernelINS0_14default_configENS1_27scan_by_key_config_selectorIiiEEZZNS1_16scan_by_key_implILNS1_25lookback_scan_determinismE0ELb0ES3_N6thrust23THRUST_200600_302600_NS16reverse_iteratorIPKiEESD_NSA_IPiEEiN6hipcub16HIPCUB_304000_NS3MaxENSH_8EqualityEiEE10hipError_tPvRmT2_T3_T4_T5_mT6_T7_P12ihipStream_tbENKUlT_T0_E_clISt17integral_constantIbLb0EES10_EEDaSV_SW_EUlSV_E_NS1_11comp_targetILNS1_3genE0ELNS1_11target_archE4294967295ELNS1_3gpuE0ELNS1_3repE0EEENS1_30default_config_static_selectorELNS0_4arch9wavefront6targetE0EEEvT1_.kd
    .uniform_work_group_size: 1
    .uses_dynamic_stack: false
    .vgpr_count:     0
    .vgpr_spill_count: 0
    .wavefront_size: 32
    .workgroup_processor_mode: 1
  - .args:
      - .offset:         0
        .size:           112
        .value_kind:     by_value
    .group_segment_fixed_size: 0
    .kernarg_segment_align: 8
    .kernarg_segment_size: 112
    .language:       OpenCL C
    .language_version:
      - 2
      - 0
    .max_flat_workgroup_size: 256
    .name:           _ZN7rocprim17ROCPRIM_400000_NS6detail17trampoline_kernelINS0_14default_configENS1_27scan_by_key_config_selectorIiiEEZZNS1_16scan_by_key_implILNS1_25lookback_scan_determinismE0ELb0ES3_N6thrust23THRUST_200600_302600_NS16reverse_iteratorIPKiEESD_NSA_IPiEEiN6hipcub16HIPCUB_304000_NS3MaxENSH_8EqualityEiEE10hipError_tPvRmT2_T3_T4_T5_mT6_T7_P12ihipStream_tbENKUlT_T0_E_clISt17integral_constantIbLb0EES10_EEDaSV_SW_EUlSV_E_NS1_11comp_targetILNS1_3genE10ELNS1_11target_archE1201ELNS1_3gpuE5ELNS1_3repE0EEENS1_30default_config_static_selectorELNS0_4arch9wavefront6targetE0EEEvT1_
    .private_segment_fixed_size: 0
    .sgpr_count:     0
    .sgpr_spill_count: 0
    .symbol:         _ZN7rocprim17ROCPRIM_400000_NS6detail17trampoline_kernelINS0_14default_configENS1_27scan_by_key_config_selectorIiiEEZZNS1_16scan_by_key_implILNS1_25lookback_scan_determinismE0ELb0ES3_N6thrust23THRUST_200600_302600_NS16reverse_iteratorIPKiEESD_NSA_IPiEEiN6hipcub16HIPCUB_304000_NS3MaxENSH_8EqualityEiEE10hipError_tPvRmT2_T3_T4_T5_mT6_T7_P12ihipStream_tbENKUlT_T0_E_clISt17integral_constantIbLb0EES10_EEDaSV_SW_EUlSV_E_NS1_11comp_targetILNS1_3genE10ELNS1_11target_archE1201ELNS1_3gpuE5ELNS1_3repE0EEENS1_30default_config_static_selectorELNS0_4arch9wavefront6targetE0EEEvT1_.kd
    .uniform_work_group_size: 1
    .uses_dynamic_stack: false
    .vgpr_count:     0
    .vgpr_spill_count: 0
    .wavefront_size: 32
    .workgroup_processor_mode: 1
  - .args:
      - .offset:         0
        .size:           112
        .value_kind:     by_value
    .group_segment_fixed_size: 0
    .kernarg_segment_align: 8
    .kernarg_segment_size: 112
    .language:       OpenCL C
    .language_version:
      - 2
      - 0
    .max_flat_workgroup_size: 256
    .name:           _ZN7rocprim17ROCPRIM_400000_NS6detail17trampoline_kernelINS0_14default_configENS1_27scan_by_key_config_selectorIiiEEZZNS1_16scan_by_key_implILNS1_25lookback_scan_determinismE0ELb0ES3_N6thrust23THRUST_200600_302600_NS16reverse_iteratorIPKiEESD_NSA_IPiEEiN6hipcub16HIPCUB_304000_NS3MaxENSH_8EqualityEiEE10hipError_tPvRmT2_T3_T4_T5_mT6_T7_P12ihipStream_tbENKUlT_T0_E_clISt17integral_constantIbLb0EES10_EEDaSV_SW_EUlSV_E_NS1_11comp_targetILNS1_3genE5ELNS1_11target_archE942ELNS1_3gpuE9ELNS1_3repE0EEENS1_30default_config_static_selectorELNS0_4arch9wavefront6targetE0EEEvT1_
    .private_segment_fixed_size: 0
    .sgpr_count:     0
    .sgpr_spill_count: 0
    .symbol:         _ZN7rocprim17ROCPRIM_400000_NS6detail17trampoline_kernelINS0_14default_configENS1_27scan_by_key_config_selectorIiiEEZZNS1_16scan_by_key_implILNS1_25lookback_scan_determinismE0ELb0ES3_N6thrust23THRUST_200600_302600_NS16reverse_iteratorIPKiEESD_NSA_IPiEEiN6hipcub16HIPCUB_304000_NS3MaxENSH_8EqualityEiEE10hipError_tPvRmT2_T3_T4_T5_mT6_T7_P12ihipStream_tbENKUlT_T0_E_clISt17integral_constantIbLb0EES10_EEDaSV_SW_EUlSV_E_NS1_11comp_targetILNS1_3genE5ELNS1_11target_archE942ELNS1_3gpuE9ELNS1_3repE0EEENS1_30default_config_static_selectorELNS0_4arch9wavefront6targetE0EEEvT1_.kd
    .uniform_work_group_size: 1
    .uses_dynamic_stack: false
    .vgpr_count:     0
    .vgpr_spill_count: 0
    .wavefront_size: 32
    .workgroup_processor_mode: 1
  - .args:
      - .offset:         0
        .size:           112
        .value_kind:     by_value
    .group_segment_fixed_size: 0
    .kernarg_segment_align: 8
    .kernarg_segment_size: 112
    .language:       OpenCL C
    .language_version:
      - 2
      - 0
    .max_flat_workgroup_size: 256
    .name:           _ZN7rocprim17ROCPRIM_400000_NS6detail17trampoline_kernelINS0_14default_configENS1_27scan_by_key_config_selectorIiiEEZZNS1_16scan_by_key_implILNS1_25lookback_scan_determinismE0ELb0ES3_N6thrust23THRUST_200600_302600_NS16reverse_iteratorIPKiEESD_NSA_IPiEEiN6hipcub16HIPCUB_304000_NS3MaxENSH_8EqualityEiEE10hipError_tPvRmT2_T3_T4_T5_mT6_T7_P12ihipStream_tbENKUlT_T0_E_clISt17integral_constantIbLb0EES10_EEDaSV_SW_EUlSV_E_NS1_11comp_targetILNS1_3genE4ELNS1_11target_archE910ELNS1_3gpuE8ELNS1_3repE0EEENS1_30default_config_static_selectorELNS0_4arch9wavefront6targetE0EEEvT1_
    .private_segment_fixed_size: 0
    .sgpr_count:     0
    .sgpr_spill_count: 0
    .symbol:         _ZN7rocprim17ROCPRIM_400000_NS6detail17trampoline_kernelINS0_14default_configENS1_27scan_by_key_config_selectorIiiEEZZNS1_16scan_by_key_implILNS1_25lookback_scan_determinismE0ELb0ES3_N6thrust23THRUST_200600_302600_NS16reverse_iteratorIPKiEESD_NSA_IPiEEiN6hipcub16HIPCUB_304000_NS3MaxENSH_8EqualityEiEE10hipError_tPvRmT2_T3_T4_T5_mT6_T7_P12ihipStream_tbENKUlT_T0_E_clISt17integral_constantIbLb0EES10_EEDaSV_SW_EUlSV_E_NS1_11comp_targetILNS1_3genE4ELNS1_11target_archE910ELNS1_3gpuE8ELNS1_3repE0EEENS1_30default_config_static_selectorELNS0_4arch9wavefront6targetE0EEEvT1_.kd
    .uniform_work_group_size: 1
    .uses_dynamic_stack: false
    .vgpr_count:     0
    .vgpr_spill_count: 0
    .wavefront_size: 32
    .workgroup_processor_mode: 1
  - .args:
      - .offset:         0
        .size:           112
        .value_kind:     by_value
    .group_segment_fixed_size: 0
    .kernarg_segment_align: 8
    .kernarg_segment_size: 112
    .language:       OpenCL C
    .language_version:
      - 2
      - 0
    .max_flat_workgroup_size: 256
    .name:           _ZN7rocprim17ROCPRIM_400000_NS6detail17trampoline_kernelINS0_14default_configENS1_27scan_by_key_config_selectorIiiEEZZNS1_16scan_by_key_implILNS1_25lookback_scan_determinismE0ELb0ES3_N6thrust23THRUST_200600_302600_NS16reverse_iteratorIPKiEESD_NSA_IPiEEiN6hipcub16HIPCUB_304000_NS3MaxENSH_8EqualityEiEE10hipError_tPvRmT2_T3_T4_T5_mT6_T7_P12ihipStream_tbENKUlT_T0_E_clISt17integral_constantIbLb0EES10_EEDaSV_SW_EUlSV_E_NS1_11comp_targetILNS1_3genE3ELNS1_11target_archE908ELNS1_3gpuE7ELNS1_3repE0EEENS1_30default_config_static_selectorELNS0_4arch9wavefront6targetE0EEEvT1_
    .private_segment_fixed_size: 0
    .sgpr_count:     0
    .sgpr_spill_count: 0
    .symbol:         _ZN7rocprim17ROCPRIM_400000_NS6detail17trampoline_kernelINS0_14default_configENS1_27scan_by_key_config_selectorIiiEEZZNS1_16scan_by_key_implILNS1_25lookback_scan_determinismE0ELb0ES3_N6thrust23THRUST_200600_302600_NS16reverse_iteratorIPKiEESD_NSA_IPiEEiN6hipcub16HIPCUB_304000_NS3MaxENSH_8EqualityEiEE10hipError_tPvRmT2_T3_T4_T5_mT6_T7_P12ihipStream_tbENKUlT_T0_E_clISt17integral_constantIbLb0EES10_EEDaSV_SW_EUlSV_E_NS1_11comp_targetILNS1_3genE3ELNS1_11target_archE908ELNS1_3gpuE7ELNS1_3repE0EEENS1_30default_config_static_selectorELNS0_4arch9wavefront6targetE0EEEvT1_.kd
    .uniform_work_group_size: 1
    .uses_dynamic_stack: false
    .vgpr_count:     0
    .vgpr_spill_count: 0
    .wavefront_size: 32
    .workgroup_processor_mode: 1
  - .args:
      - .offset:         0
        .size:           112
        .value_kind:     by_value
    .group_segment_fixed_size: 0
    .kernarg_segment_align: 8
    .kernarg_segment_size: 112
    .language:       OpenCL C
    .language_version:
      - 2
      - 0
    .max_flat_workgroup_size: 256
    .name:           _ZN7rocprim17ROCPRIM_400000_NS6detail17trampoline_kernelINS0_14default_configENS1_27scan_by_key_config_selectorIiiEEZZNS1_16scan_by_key_implILNS1_25lookback_scan_determinismE0ELb0ES3_N6thrust23THRUST_200600_302600_NS16reverse_iteratorIPKiEESD_NSA_IPiEEiN6hipcub16HIPCUB_304000_NS3MaxENSH_8EqualityEiEE10hipError_tPvRmT2_T3_T4_T5_mT6_T7_P12ihipStream_tbENKUlT_T0_E_clISt17integral_constantIbLb0EES10_EEDaSV_SW_EUlSV_E_NS1_11comp_targetILNS1_3genE2ELNS1_11target_archE906ELNS1_3gpuE6ELNS1_3repE0EEENS1_30default_config_static_selectorELNS0_4arch9wavefront6targetE0EEEvT1_
    .private_segment_fixed_size: 0
    .sgpr_count:     0
    .sgpr_spill_count: 0
    .symbol:         _ZN7rocprim17ROCPRIM_400000_NS6detail17trampoline_kernelINS0_14default_configENS1_27scan_by_key_config_selectorIiiEEZZNS1_16scan_by_key_implILNS1_25lookback_scan_determinismE0ELb0ES3_N6thrust23THRUST_200600_302600_NS16reverse_iteratorIPKiEESD_NSA_IPiEEiN6hipcub16HIPCUB_304000_NS3MaxENSH_8EqualityEiEE10hipError_tPvRmT2_T3_T4_T5_mT6_T7_P12ihipStream_tbENKUlT_T0_E_clISt17integral_constantIbLb0EES10_EEDaSV_SW_EUlSV_E_NS1_11comp_targetILNS1_3genE2ELNS1_11target_archE906ELNS1_3gpuE6ELNS1_3repE0EEENS1_30default_config_static_selectorELNS0_4arch9wavefront6targetE0EEEvT1_.kd
    .uniform_work_group_size: 1
    .uses_dynamic_stack: false
    .vgpr_count:     0
    .vgpr_spill_count: 0
    .wavefront_size: 32
    .workgroup_processor_mode: 1
  - .args:
      - .offset:         0
        .size:           112
        .value_kind:     by_value
    .group_segment_fixed_size: 0
    .kernarg_segment_align: 8
    .kernarg_segment_size: 112
    .language:       OpenCL C
    .language_version:
      - 2
      - 0
    .max_flat_workgroup_size: 256
    .name:           _ZN7rocprim17ROCPRIM_400000_NS6detail17trampoline_kernelINS0_14default_configENS1_27scan_by_key_config_selectorIiiEEZZNS1_16scan_by_key_implILNS1_25lookback_scan_determinismE0ELb0ES3_N6thrust23THRUST_200600_302600_NS16reverse_iteratorIPKiEESD_NSA_IPiEEiN6hipcub16HIPCUB_304000_NS3MaxENSH_8EqualityEiEE10hipError_tPvRmT2_T3_T4_T5_mT6_T7_P12ihipStream_tbENKUlT_T0_E_clISt17integral_constantIbLb0EES10_EEDaSV_SW_EUlSV_E_NS1_11comp_targetILNS1_3genE10ELNS1_11target_archE1200ELNS1_3gpuE4ELNS1_3repE0EEENS1_30default_config_static_selectorELNS0_4arch9wavefront6targetE0EEEvT1_
    .private_segment_fixed_size: 0
    .sgpr_count:     0
    .sgpr_spill_count: 0
    .symbol:         _ZN7rocprim17ROCPRIM_400000_NS6detail17trampoline_kernelINS0_14default_configENS1_27scan_by_key_config_selectorIiiEEZZNS1_16scan_by_key_implILNS1_25lookback_scan_determinismE0ELb0ES3_N6thrust23THRUST_200600_302600_NS16reverse_iteratorIPKiEESD_NSA_IPiEEiN6hipcub16HIPCUB_304000_NS3MaxENSH_8EqualityEiEE10hipError_tPvRmT2_T3_T4_T5_mT6_T7_P12ihipStream_tbENKUlT_T0_E_clISt17integral_constantIbLb0EES10_EEDaSV_SW_EUlSV_E_NS1_11comp_targetILNS1_3genE10ELNS1_11target_archE1200ELNS1_3gpuE4ELNS1_3repE0EEENS1_30default_config_static_selectorELNS0_4arch9wavefront6targetE0EEEvT1_.kd
    .uniform_work_group_size: 1
    .uses_dynamic_stack: false
    .vgpr_count:     0
    .vgpr_spill_count: 0
    .wavefront_size: 32
    .workgroup_processor_mode: 1
  - .args:
      - .offset:         0
        .size:           112
        .value_kind:     by_value
    .group_segment_fixed_size: 0
    .kernarg_segment_align: 8
    .kernarg_segment_size: 112
    .language:       OpenCL C
    .language_version:
      - 2
      - 0
    .max_flat_workgroup_size: 256
    .name:           _ZN7rocprim17ROCPRIM_400000_NS6detail17trampoline_kernelINS0_14default_configENS1_27scan_by_key_config_selectorIiiEEZZNS1_16scan_by_key_implILNS1_25lookback_scan_determinismE0ELb0ES3_N6thrust23THRUST_200600_302600_NS16reverse_iteratorIPKiEESD_NSA_IPiEEiN6hipcub16HIPCUB_304000_NS3MaxENSH_8EqualityEiEE10hipError_tPvRmT2_T3_T4_T5_mT6_T7_P12ihipStream_tbENKUlT_T0_E_clISt17integral_constantIbLb0EES10_EEDaSV_SW_EUlSV_E_NS1_11comp_targetILNS1_3genE9ELNS1_11target_archE1100ELNS1_3gpuE3ELNS1_3repE0EEENS1_30default_config_static_selectorELNS0_4arch9wavefront6targetE0EEEvT1_
    .private_segment_fixed_size: 0
    .sgpr_count:     0
    .sgpr_spill_count: 0
    .symbol:         _ZN7rocprim17ROCPRIM_400000_NS6detail17trampoline_kernelINS0_14default_configENS1_27scan_by_key_config_selectorIiiEEZZNS1_16scan_by_key_implILNS1_25lookback_scan_determinismE0ELb0ES3_N6thrust23THRUST_200600_302600_NS16reverse_iteratorIPKiEESD_NSA_IPiEEiN6hipcub16HIPCUB_304000_NS3MaxENSH_8EqualityEiEE10hipError_tPvRmT2_T3_T4_T5_mT6_T7_P12ihipStream_tbENKUlT_T0_E_clISt17integral_constantIbLb0EES10_EEDaSV_SW_EUlSV_E_NS1_11comp_targetILNS1_3genE9ELNS1_11target_archE1100ELNS1_3gpuE3ELNS1_3repE0EEENS1_30default_config_static_selectorELNS0_4arch9wavefront6targetE0EEEvT1_.kd
    .uniform_work_group_size: 1
    .uses_dynamic_stack: false
    .vgpr_count:     0
    .vgpr_spill_count: 0
    .wavefront_size: 32
    .workgroup_processor_mode: 1
  - .args:
      - .offset:         0
        .size:           112
        .value_kind:     by_value
    .group_segment_fixed_size: 5120
    .kernarg_segment_align: 8
    .kernarg_segment_size: 112
    .language:       OpenCL C
    .language_version:
      - 2
      - 0
    .max_flat_workgroup_size: 256
    .name:           _ZN7rocprim17ROCPRIM_400000_NS6detail17trampoline_kernelINS0_14default_configENS1_27scan_by_key_config_selectorIiiEEZZNS1_16scan_by_key_implILNS1_25lookback_scan_determinismE0ELb0ES3_N6thrust23THRUST_200600_302600_NS16reverse_iteratorIPKiEESD_NSA_IPiEEiN6hipcub16HIPCUB_304000_NS3MaxENSH_8EqualityEiEE10hipError_tPvRmT2_T3_T4_T5_mT6_T7_P12ihipStream_tbENKUlT_T0_E_clISt17integral_constantIbLb0EES10_EEDaSV_SW_EUlSV_E_NS1_11comp_targetILNS1_3genE8ELNS1_11target_archE1030ELNS1_3gpuE2ELNS1_3repE0EEENS1_30default_config_static_selectorELNS0_4arch9wavefront6targetE0EEEvT1_
    .private_segment_fixed_size: 0
    .sgpr_count:     38
    .sgpr_spill_count: 0
    .symbol:         _ZN7rocprim17ROCPRIM_400000_NS6detail17trampoline_kernelINS0_14default_configENS1_27scan_by_key_config_selectorIiiEEZZNS1_16scan_by_key_implILNS1_25lookback_scan_determinismE0ELb0ES3_N6thrust23THRUST_200600_302600_NS16reverse_iteratorIPKiEESD_NSA_IPiEEiN6hipcub16HIPCUB_304000_NS3MaxENSH_8EqualityEiEE10hipError_tPvRmT2_T3_T4_T5_mT6_T7_P12ihipStream_tbENKUlT_T0_E_clISt17integral_constantIbLb0EES10_EEDaSV_SW_EUlSV_E_NS1_11comp_targetILNS1_3genE8ELNS1_11target_archE1030ELNS1_3gpuE2ELNS1_3repE0EEENS1_30default_config_static_selectorELNS0_4arch9wavefront6targetE0EEEvT1_.kd
    .uniform_work_group_size: 1
    .uses_dynamic_stack: false
    .vgpr_count:     42
    .vgpr_spill_count: 0
    .wavefront_size: 32
    .workgroup_processor_mode: 1
  - .args:
      - .address_space:  global
        .offset:         0
        .size:           8
        .value_kind:     global_buffer
      - .offset:         8
        .size:           4
        .value_kind:     by_value
      - .offset:         12
        .size:           4
        .value_kind:     by_value
      - .address_space:  global
        .offset:         16
        .size:           8
        .value_kind:     global_buffer
      - .address_space:  global
        .offset:         24
        .size:           8
        .value_kind:     global_buffer
      - .actual_access:  write_only
        .address_space:  global
        .offset:         32
        .size:           8
        .value_kind:     global_buffer
      - .offset:         40
        .size:           8
        .value_kind:     by_value
      - .offset:         48
        .size:           4
        .value_kind:     by_value
      - .address_space:  global
        .offset:         56
        .size:           8
        .value_kind:     global_buffer
      - .offset:         64
        .size:           4
        .value_kind:     hidden_block_count_x
      - .offset:         68
        .size:           4
        .value_kind:     hidden_block_count_y
      - .offset:         72
        .size:           4
        .value_kind:     hidden_block_count_z
      - .offset:         76
        .size:           2
        .value_kind:     hidden_group_size_x
      - .offset:         78
        .size:           2
        .value_kind:     hidden_group_size_y
      - .offset:         80
        .size:           2
        .value_kind:     hidden_group_size_z
      - .offset:         82
        .size:           2
        .value_kind:     hidden_remainder_x
      - .offset:         84
        .size:           2
        .value_kind:     hidden_remainder_y
      - .offset:         86
        .size:           2
        .value_kind:     hidden_remainder_z
      - .offset:         104
        .size:           8
        .value_kind:     hidden_global_offset_x
      - .offset:         112
        .size:           8
        .value_kind:     hidden_global_offset_y
      - .offset:         120
        .size:           8
        .value_kind:     hidden_global_offset_z
      - .offset:         128
        .size:           2
        .value_kind:     hidden_grid_dims
    .group_segment_fixed_size: 0
    .kernarg_segment_align: 8
    .kernarg_segment_size: 320
    .language:       OpenCL C
    .language_version:
      - 2
      - 0
    .max_flat_workgroup_size: 256
    .name:           _ZN7rocprim17ROCPRIM_400000_NS6detail30init_device_scan_by_key_kernelINS1_19lookback_scan_stateINS0_5tupleIJibEEELb1ELb1EEEN6thrust23THRUST_200600_302600_NS16reverse_iteratorIPKiEEjNS1_16block_id_wrapperIjLb1EEEEEvT_jjPNSF_10value_typeET0_PNSt15iterator_traitsISI_E10value_typeEmT1_T2_
    .private_segment_fixed_size: 0
    .sgpr_count:     19
    .sgpr_spill_count: 0
    .symbol:         _ZN7rocprim17ROCPRIM_400000_NS6detail30init_device_scan_by_key_kernelINS1_19lookback_scan_stateINS0_5tupleIJibEEELb1ELb1EEEN6thrust23THRUST_200600_302600_NS16reverse_iteratorIPKiEEjNS1_16block_id_wrapperIjLb1EEEEEvT_jjPNSF_10value_typeET0_PNSt15iterator_traitsISI_E10value_typeEmT1_T2_.kd
    .uniform_work_group_size: 1
    .uses_dynamic_stack: false
    .vgpr_count:     9
    .vgpr_spill_count: 0
    .wavefront_size: 32
    .workgroup_processor_mode: 1
  - .args:
      - .offset:         0
        .size:           112
        .value_kind:     by_value
    .group_segment_fixed_size: 0
    .kernarg_segment_align: 8
    .kernarg_segment_size: 112
    .language:       OpenCL C
    .language_version:
      - 2
      - 0
    .max_flat_workgroup_size: 256
    .name:           _ZN7rocprim17ROCPRIM_400000_NS6detail17trampoline_kernelINS0_14default_configENS1_27scan_by_key_config_selectorIiiEEZZNS1_16scan_by_key_implILNS1_25lookback_scan_determinismE0ELb0ES3_N6thrust23THRUST_200600_302600_NS16reverse_iteratorIPKiEESD_NSA_IPiEEiN6hipcub16HIPCUB_304000_NS3MaxENSH_8EqualityEiEE10hipError_tPvRmT2_T3_T4_T5_mT6_T7_P12ihipStream_tbENKUlT_T0_E_clISt17integral_constantIbLb1EES10_EEDaSV_SW_EUlSV_E_NS1_11comp_targetILNS1_3genE0ELNS1_11target_archE4294967295ELNS1_3gpuE0ELNS1_3repE0EEENS1_30default_config_static_selectorELNS0_4arch9wavefront6targetE0EEEvT1_
    .private_segment_fixed_size: 0
    .sgpr_count:     0
    .sgpr_spill_count: 0
    .symbol:         _ZN7rocprim17ROCPRIM_400000_NS6detail17trampoline_kernelINS0_14default_configENS1_27scan_by_key_config_selectorIiiEEZZNS1_16scan_by_key_implILNS1_25lookback_scan_determinismE0ELb0ES3_N6thrust23THRUST_200600_302600_NS16reverse_iteratorIPKiEESD_NSA_IPiEEiN6hipcub16HIPCUB_304000_NS3MaxENSH_8EqualityEiEE10hipError_tPvRmT2_T3_T4_T5_mT6_T7_P12ihipStream_tbENKUlT_T0_E_clISt17integral_constantIbLb1EES10_EEDaSV_SW_EUlSV_E_NS1_11comp_targetILNS1_3genE0ELNS1_11target_archE4294967295ELNS1_3gpuE0ELNS1_3repE0EEENS1_30default_config_static_selectorELNS0_4arch9wavefront6targetE0EEEvT1_.kd
    .uniform_work_group_size: 1
    .uses_dynamic_stack: false
    .vgpr_count:     0
    .vgpr_spill_count: 0
    .wavefront_size: 32
    .workgroup_processor_mode: 1
  - .args:
      - .offset:         0
        .size:           112
        .value_kind:     by_value
    .group_segment_fixed_size: 0
    .kernarg_segment_align: 8
    .kernarg_segment_size: 112
    .language:       OpenCL C
    .language_version:
      - 2
      - 0
    .max_flat_workgroup_size: 256
    .name:           _ZN7rocprim17ROCPRIM_400000_NS6detail17trampoline_kernelINS0_14default_configENS1_27scan_by_key_config_selectorIiiEEZZNS1_16scan_by_key_implILNS1_25lookback_scan_determinismE0ELb0ES3_N6thrust23THRUST_200600_302600_NS16reverse_iteratorIPKiEESD_NSA_IPiEEiN6hipcub16HIPCUB_304000_NS3MaxENSH_8EqualityEiEE10hipError_tPvRmT2_T3_T4_T5_mT6_T7_P12ihipStream_tbENKUlT_T0_E_clISt17integral_constantIbLb1EES10_EEDaSV_SW_EUlSV_E_NS1_11comp_targetILNS1_3genE10ELNS1_11target_archE1201ELNS1_3gpuE5ELNS1_3repE0EEENS1_30default_config_static_selectorELNS0_4arch9wavefront6targetE0EEEvT1_
    .private_segment_fixed_size: 0
    .sgpr_count:     0
    .sgpr_spill_count: 0
    .symbol:         _ZN7rocprim17ROCPRIM_400000_NS6detail17trampoline_kernelINS0_14default_configENS1_27scan_by_key_config_selectorIiiEEZZNS1_16scan_by_key_implILNS1_25lookback_scan_determinismE0ELb0ES3_N6thrust23THRUST_200600_302600_NS16reverse_iteratorIPKiEESD_NSA_IPiEEiN6hipcub16HIPCUB_304000_NS3MaxENSH_8EqualityEiEE10hipError_tPvRmT2_T3_T4_T5_mT6_T7_P12ihipStream_tbENKUlT_T0_E_clISt17integral_constantIbLb1EES10_EEDaSV_SW_EUlSV_E_NS1_11comp_targetILNS1_3genE10ELNS1_11target_archE1201ELNS1_3gpuE5ELNS1_3repE0EEENS1_30default_config_static_selectorELNS0_4arch9wavefront6targetE0EEEvT1_.kd
    .uniform_work_group_size: 1
    .uses_dynamic_stack: false
    .vgpr_count:     0
    .vgpr_spill_count: 0
    .wavefront_size: 32
    .workgroup_processor_mode: 1
  - .args:
      - .offset:         0
        .size:           112
        .value_kind:     by_value
    .group_segment_fixed_size: 0
    .kernarg_segment_align: 8
    .kernarg_segment_size: 112
    .language:       OpenCL C
    .language_version:
      - 2
      - 0
    .max_flat_workgroup_size: 256
    .name:           _ZN7rocprim17ROCPRIM_400000_NS6detail17trampoline_kernelINS0_14default_configENS1_27scan_by_key_config_selectorIiiEEZZNS1_16scan_by_key_implILNS1_25lookback_scan_determinismE0ELb0ES3_N6thrust23THRUST_200600_302600_NS16reverse_iteratorIPKiEESD_NSA_IPiEEiN6hipcub16HIPCUB_304000_NS3MaxENSH_8EqualityEiEE10hipError_tPvRmT2_T3_T4_T5_mT6_T7_P12ihipStream_tbENKUlT_T0_E_clISt17integral_constantIbLb1EES10_EEDaSV_SW_EUlSV_E_NS1_11comp_targetILNS1_3genE5ELNS1_11target_archE942ELNS1_3gpuE9ELNS1_3repE0EEENS1_30default_config_static_selectorELNS0_4arch9wavefront6targetE0EEEvT1_
    .private_segment_fixed_size: 0
    .sgpr_count:     0
    .sgpr_spill_count: 0
    .symbol:         _ZN7rocprim17ROCPRIM_400000_NS6detail17trampoline_kernelINS0_14default_configENS1_27scan_by_key_config_selectorIiiEEZZNS1_16scan_by_key_implILNS1_25lookback_scan_determinismE0ELb0ES3_N6thrust23THRUST_200600_302600_NS16reverse_iteratorIPKiEESD_NSA_IPiEEiN6hipcub16HIPCUB_304000_NS3MaxENSH_8EqualityEiEE10hipError_tPvRmT2_T3_T4_T5_mT6_T7_P12ihipStream_tbENKUlT_T0_E_clISt17integral_constantIbLb1EES10_EEDaSV_SW_EUlSV_E_NS1_11comp_targetILNS1_3genE5ELNS1_11target_archE942ELNS1_3gpuE9ELNS1_3repE0EEENS1_30default_config_static_selectorELNS0_4arch9wavefront6targetE0EEEvT1_.kd
    .uniform_work_group_size: 1
    .uses_dynamic_stack: false
    .vgpr_count:     0
    .vgpr_spill_count: 0
    .wavefront_size: 32
    .workgroup_processor_mode: 1
  - .args:
      - .offset:         0
        .size:           112
        .value_kind:     by_value
    .group_segment_fixed_size: 0
    .kernarg_segment_align: 8
    .kernarg_segment_size: 112
    .language:       OpenCL C
    .language_version:
      - 2
      - 0
    .max_flat_workgroup_size: 256
    .name:           _ZN7rocprim17ROCPRIM_400000_NS6detail17trampoline_kernelINS0_14default_configENS1_27scan_by_key_config_selectorIiiEEZZNS1_16scan_by_key_implILNS1_25lookback_scan_determinismE0ELb0ES3_N6thrust23THRUST_200600_302600_NS16reverse_iteratorIPKiEESD_NSA_IPiEEiN6hipcub16HIPCUB_304000_NS3MaxENSH_8EqualityEiEE10hipError_tPvRmT2_T3_T4_T5_mT6_T7_P12ihipStream_tbENKUlT_T0_E_clISt17integral_constantIbLb1EES10_EEDaSV_SW_EUlSV_E_NS1_11comp_targetILNS1_3genE4ELNS1_11target_archE910ELNS1_3gpuE8ELNS1_3repE0EEENS1_30default_config_static_selectorELNS0_4arch9wavefront6targetE0EEEvT1_
    .private_segment_fixed_size: 0
    .sgpr_count:     0
    .sgpr_spill_count: 0
    .symbol:         _ZN7rocprim17ROCPRIM_400000_NS6detail17trampoline_kernelINS0_14default_configENS1_27scan_by_key_config_selectorIiiEEZZNS1_16scan_by_key_implILNS1_25lookback_scan_determinismE0ELb0ES3_N6thrust23THRUST_200600_302600_NS16reverse_iteratorIPKiEESD_NSA_IPiEEiN6hipcub16HIPCUB_304000_NS3MaxENSH_8EqualityEiEE10hipError_tPvRmT2_T3_T4_T5_mT6_T7_P12ihipStream_tbENKUlT_T0_E_clISt17integral_constantIbLb1EES10_EEDaSV_SW_EUlSV_E_NS1_11comp_targetILNS1_3genE4ELNS1_11target_archE910ELNS1_3gpuE8ELNS1_3repE0EEENS1_30default_config_static_selectorELNS0_4arch9wavefront6targetE0EEEvT1_.kd
    .uniform_work_group_size: 1
    .uses_dynamic_stack: false
    .vgpr_count:     0
    .vgpr_spill_count: 0
    .wavefront_size: 32
    .workgroup_processor_mode: 1
  - .args:
      - .offset:         0
        .size:           112
        .value_kind:     by_value
    .group_segment_fixed_size: 0
    .kernarg_segment_align: 8
    .kernarg_segment_size: 112
    .language:       OpenCL C
    .language_version:
      - 2
      - 0
    .max_flat_workgroup_size: 256
    .name:           _ZN7rocprim17ROCPRIM_400000_NS6detail17trampoline_kernelINS0_14default_configENS1_27scan_by_key_config_selectorIiiEEZZNS1_16scan_by_key_implILNS1_25lookback_scan_determinismE0ELb0ES3_N6thrust23THRUST_200600_302600_NS16reverse_iteratorIPKiEESD_NSA_IPiEEiN6hipcub16HIPCUB_304000_NS3MaxENSH_8EqualityEiEE10hipError_tPvRmT2_T3_T4_T5_mT6_T7_P12ihipStream_tbENKUlT_T0_E_clISt17integral_constantIbLb1EES10_EEDaSV_SW_EUlSV_E_NS1_11comp_targetILNS1_3genE3ELNS1_11target_archE908ELNS1_3gpuE7ELNS1_3repE0EEENS1_30default_config_static_selectorELNS0_4arch9wavefront6targetE0EEEvT1_
    .private_segment_fixed_size: 0
    .sgpr_count:     0
    .sgpr_spill_count: 0
    .symbol:         _ZN7rocprim17ROCPRIM_400000_NS6detail17trampoline_kernelINS0_14default_configENS1_27scan_by_key_config_selectorIiiEEZZNS1_16scan_by_key_implILNS1_25lookback_scan_determinismE0ELb0ES3_N6thrust23THRUST_200600_302600_NS16reverse_iteratorIPKiEESD_NSA_IPiEEiN6hipcub16HIPCUB_304000_NS3MaxENSH_8EqualityEiEE10hipError_tPvRmT2_T3_T4_T5_mT6_T7_P12ihipStream_tbENKUlT_T0_E_clISt17integral_constantIbLb1EES10_EEDaSV_SW_EUlSV_E_NS1_11comp_targetILNS1_3genE3ELNS1_11target_archE908ELNS1_3gpuE7ELNS1_3repE0EEENS1_30default_config_static_selectorELNS0_4arch9wavefront6targetE0EEEvT1_.kd
    .uniform_work_group_size: 1
    .uses_dynamic_stack: false
    .vgpr_count:     0
    .vgpr_spill_count: 0
    .wavefront_size: 32
    .workgroup_processor_mode: 1
  - .args:
      - .offset:         0
        .size:           112
        .value_kind:     by_value
    .group_segment_fixed_size: 0
    .kernarg_segment_align: 8
    .kernarg_segment_size: 112
    .language:       OpenCL C
    .language_version:
      - 2
      - 0
    .max_flat_workgroup_size: 256
    .name:           _ZN7rocprim17ROCPRIM_400000_NS6detail17trampoline_kernelINS0_14default_configENS1_27scan_by_key_config_selectorIiiEEZZNS1_16scan_by_key_implILNS1_25lookback_scan_determinismE0ELb0ES3_N6thrust23THRUST_200600_302600_NS16reverse_iteratorIPKiEESD_NSA_IPiEEiN6hipcub16HIPCUB_304000_NS3MaxENSH_8EqualityEiEE10hipError_tPvRmT2_T3_T4_T5_mT6_T7_P12ihipStream_tbENKUlT_T0_E_clISt17integral_constantIbLb1EES10_EEDaSV_SW_EUlSV_E_NS1_11comp_targetILNS1_3genE2ELNS1_11target_archE906ELNS1_3gpuE6ELNS1_3repE0EEENS1_30default_config_static_selectorELNS0_4arch9wavefront6targetE0EEEvT1_
    .private_segment_fixed_size: 0
    .sgpr_count:     0
    .sgpr_spill_count: 0
    .symbol:         _ZN7rocprim17ROCPRIM_400000_NS6detail17trampoline_kernelINS0_14default_configENS1_27scan_by_key_config_selectorIiiEEZZNS1_16scan_by_key_implILNS1_25lookback_scan_determinismE0ELb0ES3_N6thrust23THRUST_200600_302600_NS16reverse_iteratorIPKiEESD_NSA_IPiEEiN6hipcub16HIPCUB_304000_NS3MaxENSH_8EqualityEiEE10hipError_tPvRmT2_T3_T4_T5_mT6_T7_P12ihipStream_tbENKUlT_T0_E_clISt17integral_constantIbLb1EES10_EEDaSV_SW_EUlSV_E_NS1_11comp_targetILNS1_3genE2ELNS1_11target_archE906ELNS1_3gpuE6ELNS1_3repE0EEENS1_30default_config_static_selectorELNS0_4arch9wavefront6targetE0EEEvT1_.kd
    .uniform_work_group_size: 1
    .uses_dynamic_stack: false
    .vgpr_count:     0
    .vgpr_spill_count: 0
    .wavefront_size: 32
    .workgroup_processor_mode: 1
  - .args:
      - .offset:         0
        .size:           112
        .value_kind:     by_value
    .group_segment_fixed_size: 0
    .kernarg_segment_align: 8
    .kernarg_segment_size: 112
    .language:       OpenCL C
    .language_version:
      - 2
      - 0
    .max_flat_workgroup_size: 256
    .name:           _ZN7rocprim17ROCPRIM_400000_NS6detail17trampoline_kernelINS0_14default_configENS1_27scan_by_key_config_selectorIiiEEZZNS1_16scan_by_key_implILNS1_25lookback_scan_determinismE0ELb0ES3_N6thrust23THRUST_200600_302600_NS16reverse_iteratorIPKiEESD_NSA_IPiEEiN6hipcub16HIPCUB_304000_NS3MaxENSH_8EqualityEiEE10hipError_tPvRmT2_T3_T4_T5_mT6_T7_P12ihipStream_tbENKUlT_T0_E_clISt17integral_constantIbLb1EES10_EEDaSV_SW_EUlSV_E_NS1_11comp_targetILNS1_3genE10ELNS1_11target_archE1200ELNS1_3gpuE4ELNS1_3repE0EEENS1_30default_config_static_selectorELNS0_4arch9wavefront6targetE0EEEvT1_
    .private_segment_fixed_size: 0
    .sgpr_count:     0
    .sgpr_spill_count: 0
    .symbol:         _ZN7rocprim17ROCPRIM_400000_NS6detail17trampoline_kernelINS0_14default_configENS1_27scan_by_key_config_selectorIiiEEZZNS1_16scan_by_key_implILNS1_25lookback_scan_determinismE0ELb0ES3_N6thrust23THRUST_200600_302600_NS16reverse_iteratorIPKiEESD_NSA_IPiEEiN6hipcub16HIPCUB_304000_NS3MaxENSH_8EqualityEiEE10hipError_tPvRmT2_T3_T4_T5_mT6_T7_P12ihipStream_tbENKUlT_T0_E_clISt17integral_constantIbLb1EES10_EEDaSV_SW_EUlSV_E_NS1_11comp_targetILNS1_3genE10ELNS1_11target_archE1200ELNS1_3gpuE4ELNS1_3repE0EEENS1_30default_config_static_selectorELNS0_4arch9wavefront6targetE0EEEvT1_.kd
    .uniform_work_group_size: 1
    .uses_dynamic_stack: false
    .vgpr_count:     0
    .vgpr_spill_count: 0
    .wavefront_size: 32
    .workgroup_processor_mode: 1
  - .args:
      - .offset:         0
        .size:           112
        .value_kind:     by_value
    .group_segment_fixed_size: 0
    .kernarg_segment_align: 8
    .kernarg_segment_size: 112
    .language:       OpenCL C
    .language_version:
      - 2
      - 0
    .max_flat_workgroup_size: 256
    .name:           _ZN7rocprim17ROCPRIM_400000_NS6detail17trampoline_kernelINS0_14default_configENS1_27scan_by_key_config_selectorIiiEEZZNS1_16scan_by_key_implILNS1_25lookback_scan_determinismE0ELb0ES3_N6thrust23THRUST_200600_302600_NS16reverse_iteratorIPKiEESD_NSA_IPiEEiN6hipcub16HIPCUB_304000_NS3MaxENSH_8EqualityEiEE10hipError_tPvRmT2_T3_T4_T5_mT6_T7_P12ihipStream_tbENKUlT_T0_E_clISt17integral_constantIbLb1EES10_EEDaSV_SW_EUlSV_E_NS1_11comp_targetILNS1_3genE9ELNS1_11target_archE1100ELNS1_3gpuE3ELNS1_3repE0EEENS1_30default_config_static_selectorELNS0_4arch9wavefront6targetE0EEEvT1_
    .private_segment_fixed_size: 0
    .sgpr_count:     0
    .sgpr_spill_count: 0
    .symbol:         _ZN7rocprim17ROCPRIM_400000_NS6detail17trampoline_kernelINS0_14default_configENS1_27scan_by_key_config_selectorIiiEEZZNS1_16scan_by_key_implILNS1_25lookback_scan_determinismE0ELb0ES3_N6thrust23THRUST_200600_302600_NS16reverse_iteratorIPKiEESD_NSA_IPiEEiN6hipcub16HIPCUB_304000_NS3MaxENSH_8EqualityEiEE10hipError_tPvRmT2_T3_T4_T5_mT6_T7_P12ihipStream_tbENKUlT_T0_E_clISt17integral_constantIbLb1EES10_EEDaSV_SW_EUlSV_E_NS1_11comp_targetILNS1_3genE9ELNS1_11target_archE1100ELNS1_3gpuE3ELNS1_3repE0EEENS1_30default_config_static_selectorELNS0_4arch9wavefront6targetE0EEEvT1_.kd
    .uniform_work_group_size: 1
    .uses_dynamic_stack: false
    .vgpr_count:     0
    .vgpr_spill_count: 0
    .wavefront_size: 32
    .workgroup_processor_mode: 1
  - .args:
      - .offset:         0
        .size:           112
        .value_kind:     by_value
    .group_segment_fixed_size: 0
    .kernarg_segment_align: 8
    .kernarg_segment_size: 112
    .language:       OpenCL C
    .language_version:
      - 2
      - 0
    .max_flat_workgroup_size: 256
    .name:           _ZN7rocprim17ROCPRIM_400000_NS6detail17trampoline_kernelINS0_14default_configENS1_27scan_by_key_config_selectorIiiEEZZNS1_16scan_by_key_implILNS1_25lookback_scan_determinismE0ELb0ES3_N6thrust23THRUST_200600_302600_NS16reverse_iteratorIPKiEESD_NSA_IPiEEiN6hipcub16HIPCUB_304000_NS3MaxENSH_8EqualityEiEE10hipError_tPvRmT2_T3_T4_T5_mT6_T7_P12ihipStream_tbENKUlT_T0_E_clISt17integral_constantIbLb1EES10_EEDaSV_SW_EUlSV_E_NS1_11comp_targetILNS1_3genE8ELNS1_11target_archE1030ELNS1_3gpuE2ELNS1_3repE0EEENS1_30default_config_static_selectorELNS0_4arch9wavefront6targetE0EEEvT1_
    .private_segment_fixed_size: 0
    .sgpr_count:     0
    .sgpr_spill_count: 0
    .symbol:         _ZN7rocprim17ROCPRIM_400000_NS6detail17trampoline_kernelINS0_14default_configENS1_27scan_by_key_config_selectorIiiEEZZNS1_16scan_by_key_implILNS1_25lookback_scan_determinismE0ELb0ES3_N6thrust23THRUST_200600_302600_NS16reverse_iteratorIPKiEESD_NSA_IPiEEiN6hipcub16HIPCUB_304000_NS3MaxENSH_8EqualityEiEE10hipError_tPvRmT2_T3_T4_T5_mT6_T7_P12ihipStream_tbENKUlT_T0_E_clISt17integral_constantIbLb1EES10_EEDaSV_SW_EUlSV_E_NS1_11comp_targetILNS1_3genE8ELNS1_11target_archE1030ELNS1_3gpuE2ELNS1_3repE0EEENS1_30default_config_static_selectorELNS0_4arch9wavefront6targetE0EEEvT1_.kd
    .uniform_work_group_size: 1
    .uses_dynamic_stack: false
    .vgpr_count:     0
    .vgpr_spill_count: 0
    .wavefront_size: 32
    .workgroup_processor_mode: 1
  - .args:
      - .address_space:  global
        .offset:         0
        .size:           8
        .value_kind:     global_buffer
      - .offset:         8
        .size:           4
        .value_kind:     by_value
      - .offset:         12
        .size:           4
        .value_kind:     by_value
      - .address_space:  global
        .offset:         16
        .size:           8
        .value_kind:     global_buffer
      - .address_space:  global
        .offset:         24
        .size:           8
        .value_kind:     global_buffer
      - .actual_access:  write_only
        .address_space:  global
        .offset:         32
        .size:           8
        .value_kind:     global_buffer
      - .offset:         40
        .size:           8
        .value_kind:     by_value
      - .offset:         48
        .size:           4
        .value_kind:     by_value
      - .offset:         52
        .size:           1
        .value_kind:     by_value
      - .offset:         56
        .size:           4
        .value_kind:     hidden_block_count_x
      - .offset:         60
        .size:           4
        .value_kind:     hidden_block_count_y
      - .offset:         64
        .size:           4
        .value_kind:     hidden_block_count_z
      - .offset:         68
        .size:           2
        .value_kind:     hidden_group_size_x
      - .offset:         70
        .size:           2
        .value_kind:     hidden_group_size_y
      - .offset:         72
        .size:           2
        .value_kind:     hidden_group_size_z
      - .offset:         74
        .size:           2
        .value_kind:     hidden_remainder_x
      - .offset:         76
        .size:           2
        .value_kind:     hidden_remainder_y
      - .offset:         78
        .size:           2
        .value_kind:     hidden_remainder_z
      - .offset:         96
        .size:           8
        .value_kind:     hidden_global_offset_x
      - .offset:         104
        .size:           8
        .value_kind:     hidden_global_offset_y
      - .offset:         112
        .size:           8
        .value_kind:     hidden_global_offset_z
      - .offset:         120
        .size:           2
        .value_kind:     hidden_grid_dims
    .group_segment_fixed_size: 0
    .kernarg_segment_align: 8
    .kernarg_segment_size: 312
    .language:       OpenCL C
    .language_version:
      - 2
      - 0
    .max_flat_workgroup_size: 256
    .name:           _ZN7rocprim17ROCPRIM_400000_NS6detail30init_device_scan_by_key_kernelINS1_19lookback_scan_stateINS0_5tupleIJibEEELb1ELb1EEEN6thrust23THRUST_200600_302600_NS16reverse_iteratorIPKiEEjNS1_16block_id_wrapperIjLb0EEEEEvT_jjPNSF_10value_typeET0_PNSt15iterator_traitsISI_E10value_typeEmT1_T2_
    .private_segment_fixed_size: 0
    .sgpr_count:     19
    .sgpr_spill_count: 0
    .symbol:         _ZN7rocprim17ROCPRIM_400000_NS6detail30init_device_scan_by_key_kernelINS1_19lookback_scan_stateINS0_5tupleIJibEEELb1ELb1EEEN6thrust23THRUST_200600_302600_NS16reverse_iteratorIPKiEEjNS1_16block_id_wrapperIjLb0EEEEEvT_jjPNSF_10value_typeET0_PNSt15iterator_traitsISI_E10value_typeEmT1_T2_.kd
    .uniform_work_group_size: 1
    .uses_dynamic_stack: false
    .vgpr_count:     9
    .vgpr_spill_count: 0
    .wavefront_size: 32
    .workgroup_processor_mode: 1
  - .args:
      - .offset:         0
        .size:           112
        .value_kind:     by_value
    .group_segment_fixed_size: 0
    .kernarg_segment_align: 8
    .kernarg_segment_size: 112
    .language:       OpenCL C
    .language_version:
      - 2
      - 0
    .max_flat_workgroup_size: 256
    .name:           _ZN7rocprim17ROCPRIM_400000_NS6detail17trampoline_kernelINS0_14default_configENS1_27scan_by_key_config_selectorIiiEEZZNS1_16scan_by_key_implILNS1_25lookback_scan_determinismE0ELb0ES3_N6thrust23THRUST_200600_302600_NS16reverse_iteratorIPKiEESD_NSA_IPiEEiN6hipcub16HIPCUB_304000_NS3MaxENSH_8EqualityEiEE10hipError_tPvRmT2_T3_T4_T5_mT6_T7_P12ihipStream_tbENKUlT_T0_E_clISt17integral_constantIbLb1EESZ_IbLb0EEEEDaSV_SW_EUlSV_E_NS1_11comp_targetILNS1_3genE0ELNS1_11target_archE4294967295ELNS1_3gpuE0ELNS1_3repE0EEENS1_30default_config_static_selectorELNS0_4arch9wavefront6targetE0EEEvT1_
    .private_segment_fixed_size: 0
    .sgpr_count:     0
    .sgpr_spill_count: 0
    .symbol:         _ZN7rocprim17ROCPRIM_400000_NS6detail17trampoline_kernelINS0_14default_configENS1_27scan_by_key_config_selectorIiiEEZZNS1_16scan_by_key_implILNS1_25lookback_scan_determinismE0ELb0ES3_N6thrust23THRUST_200600_302600_NS16reverse_iteratorIPKiEESD_NSA_IPiEEiN6hipcub16HIPCUB_304000_NS3MaxENSH_8EqualityEiEE10hipError_tPvRmT2_T3_T4_T5_mT6_T7_P12ihipStream_tbENKUlT_T0_E_clISt17integral_constantIbLb1EESZ_IbLb0EEEEDaSV_SW_EUlSV_E_NS1_11comp_targetILNS1_3genE0ELNS1_11target_archE4294967295ELNS1_3gpuE0ELNS1_3repE0EEENS1_30default_config_static_selectorELNS0_4arch9wavefront6targetE0EEEvT1_.kd
    .uniform_work_group_size: 1
    .uses_dynamic_stack: false
    .vgpr_count:     0
    .vgpr_spill_count: 0
    .wavefront_size: 32
    .workgroup_processor_mode: 1
  - .args:
      - .offset:         0
        .size:           112
        .value_kind:     by_value
    .group_segment_fixed_size: 0
    .kernarg_segment_align: 8
    .kernarg_segment_size: 112
    .language:       OpenCL C
    .language_version:
      - 2
      - 0
    .max_flat_workgroup_size: 256
    .name:           _ZN7rocprim17ROCPRIM_400000_NS6detail17trampoline_kernelINS0_14default_configENS1_27scan_by_key_config_selectorIiiEEZZNS1_16scan_by_key_implILNS1_25lookback_scan_determinismE0ELb0ES3_N6thrust23THRUST_200600_302600_NS16reverse_iteratorIPKiEESD_NSA_IPiEEiN6hipcub16HIPCUB_304000_NS3MaxENSH_8EqualityEiEE10hipError_tPvRmT2_T3_T4_T5_mT6_T7_P12ihipStream_tbENKUlT_T0_E_clISt17integral_constantIbLb1EESZ_IbLb0EEEEDaSV_SW_EUlSV_E_NS1_11comp_targetILNS1_3genE10ELNS1_11target_archE1201ELNS1_3gpuE5ELNS1_3repE0EEENS1_30default_config_static_selectorELNS0_4arch9wavefront6targetE0EEEvT1_
    .private_segment_fixed_size: 0
    .sgpr_count:     0
    .sgpr_spill_count: 0
    .symbol:         _ZN7rocprim17ROCPRIM_400000_NS6detail17trampoline_kernelINS0_14default_configENS1_27scan_by_key_config_selectorIiiEEZZNS1_16scan_by_key_implILNS1_25lookback_scan_determinismE0ELb0ES3_N6thrust23THRUST_200600_302600_NS16reverse_iteratorIPKiEESD_NSA_IPiEEiN6hipcub16HIPCUB_304000_NS3MaxENSH_8EqualityEiEE10hipError_tPvRmT2_T3_T4_T5_mT6_T7_P12ihipStream_tbENKUlT_T0_E_clISt17integral_constantIbLb1EESZ_IbLb0EEEEDaSV_SW_EUlSV_E_NS1_11comp_targetILNS1_3genE10ELNS1_11target_archE1201ELNS1_3gpuE5ELNS1_3repE0EEENS1_30default_config_static_selectorELNS0_4arch9wavefront6targetE0EEEvT1_.kd
    .uniform_work_group_size: 1
    .uses_dynamic_stack: false
    .vgpr_count:     0
    .vgpr_spill_count: 0
    .wavefront_size: 32
    .workgroup_processor_mode: 1
  - .args:
      - .offset:         0
        .size:           112
        .value_kind:     by_value
    .group_segment_fixed_size: 0
    .kernarg_segment_align: 8
    .kernarg_segment_size: 112
    .language:       OpenCL C
    .language_version:
      - 2
      - 0
    .max_flat_workgroup_size: 256
    .name:           _ZN7rocprim17ROCPRIM_400000_NS6detail17trampoline_kernelINS0_14default_configENS1_27scan_by_key_config_selectorIiiEEZZNS1_16scan_by_key_implILNS1_25lookback_scan_determinismE0ELb0ES3_N6thrust23THRUST_200600_302600_NS16reverse_iteratorIPKiEESD_NSA_IPiEEiN6hipcub16HIPCUB_304000_NS3MaxENSH_8EqualityEiEE10hipError_tPvRmT2_T3_T4_T5_mT6_T7_P12ihipStream_tbENKUlT_T0_E_clISt17integral_constantIbLb1EESZ_IbLb0EEEEDaSV_SW_EUlSV_E_NS1_11comp_targetILNS1_3genE5ELNS1_11target_archE942ELNS1_3gpuE9ELNS1_3repE0EEENS1_30default_config_static_selectorELNS0_4arch9wavefront6targetE0EEEvT1_
    .private_segment_fixed_size: 0
    .sgpr_count:     0
    .sgpr_spill_count: 0
    .symbol:         _ZN7rocprim17ROCPRIM_400000_NS6detail17trampoline_kernelINS0_14default_configENS1_27scan_by_key_config_selectorIiiEEZZNS1_16scan_by_key_implILNS1_25lookback_scan_determinismE0ELb0ES3_N6thrust23THRUST_200600_302600_NS16reverse_iteratorIPKiEESD_NSA_IPiEEiN6hipcub16HIPCUB_304000_NS3MaxENSH_8EqualityEiEE10hipError_tPvRmT2_T3_T4_T5_mT6_T7_P12ihipStream_tbENKUlT_T0_E_clISt17integral_constantIbLb1EESZ_IbLb0EEEEDaSV_SW_EUlSV_E_NS1_11comp_targetILNS1_3genE5ELNS1_11target_archE942ELNS1_3gpuE9ELNS1_3repE0EEENS1_30default_config_static_selectorELNS0_4arch9wavefront6targetE0EEEvT1_.kd
    .uniform_work_group_size: 1
    .uses_dynamic_stack: false
    .vgpr_count:     0
    .vgpr_spill_count: 0
    .wavefront_size: 32
    .workgroup_processor_mode: 1
  - .args:
      - .offset:         0
        .size:           112
        .value_kind:     by_value
    .group_segment_fixed_size: 0
    .kernarg_segment_align: 8
    .kernarg_segment_size: 112
    .language:       OpenCL C
    .language_version:
      - 2
      - 0
    .max_flat_workgroup_size: 256
    .name:           _ZN7rocprim17ROCPRIM_400000_NS6detail17trampoline_kernelINS0_14default_configENS1_27scan_by_key_config_selectorIiiEEZZNS1_16scan_by_key_implILNS1_25lookback_scan_determinismE0ELb0ES3_N6thrust23THRUST_200600_302600_NS16reverse_iteratorIPKiEESD_NSA_IPiEEiN6hipcub16HIPCUB_304000_NS3MaxENSH_8EqualityEiEE10hipError_tPvRmT2_T3_T4_T5_mT6_T7_P12ihipStream_tbENKUlT_T0_E_clISt17integral_constantIbLb1EESZ_IbLb0EEEEDaSV_SW_EUlSV_E_NS1_11comp_targetILNS1_3genE4ELNS1_11target_archE910ELNS1_3gpuE8ELNS1_3repE0EEENS1_30default_config_static_selectorELNS0_4arch9wavefront6targetE0EEEvT1_
    .private_segment_fixed_size: 0
    .sgpr_count:     0
    .sgpr_spill_count: 0
    .symbol:         _ZN7rocprim17ROCPRIM_400000_NS6detail17trampoline_kernelINS0_14default_configENS1_27scan_by_key_config_selectorIiiEEZZNS1_16scan_by_key_implILNS1_25lookback_scan_determinismE0ELb0ES3_N6thrust23THRUST_200600_302600_NS16reverse_iteratorIPKiEESD_NSA_IPiEEiN6hipcub16HIPCUB_304000_NS3MaxENSH_8EqualityEiEE10hipError_tPvRmT2_T3_T4_T5_mT6_T7_P12ihipStream_tbENKUlT_T0_E_clISt17integral_constantIbLb1EESZ_IbLb0EEEEDaSV_SW_EUlSV_E_NS1_11comp_targetILNS1_3genE4ELNS1_11target_archE910ELNS1_3gpuE8ELNS1_3repE0EEENS1_30default_config_static_selectorELNS0_4arch9wavefront6targetE0EEEvT1_.kd
    .uniform_work_group_size: 1
    .uses_dynamic_stack: false
    .vgpr_count:     0
    .vgpr_spill_count: 0
    .wavefront_size: 32
    .workgroup_processor_mode: 1
  - .args:
      - .offset:         0
        .size:           112
        .value_kind:     by_value
    .group_segment_fixed_size: 0
    .kernarg_segment_align: 8
    .kernarg_segment_size: 112
    .language:       OpenCL C
    .language_version:
      - 2
      - 0
    .max_flat_workgroup_size: 256
    .name:           _ZN7rocprim17ROCPRIM_400000_NS6detail17trampoline_kernelINS0_14default_configENS1_27scan_by_key_config_selectorIiiEEZZNS1_16scan_by_key_implILNS1_25lookback_scan_determinismE0ELb0ES3_N6thrust23THRUST_200600_302600_NS16reverse_iteratorIPKiEESD_NSA_IPiEEiN6hipcub16HIPCUB_304000_NS3MaxENSH_8EqualityEiEE10hipError_tPvRmT2_T3_T4_T5_mT6_T7_P12ihipStream_tbENKUlT_T0_E_clISt17integral_constantIbLb1EESZ_IbLb0EEEEDaSV_SW_EUlSV_E_NS1_11comp_targetILNS1_3genE3ELNS1_11target_archE908ELNS1_3gpuE7ELNS1_3repE0EEENS1_30default_config_static_selectorELNS0_4arch9wavefront6targetE0EEEvT1_
    .private_segment_fixed_size: 0
    .sgpr_count:     0
    .sgpr_spill_count: 0
    .symbol:         _ZN7rocprim17ROCPRIM_400000_NS6detail17trampoline_kernelINS0_14default_configENS1_27scan_by_key_config_selectorIiiEEZZNS1_16scan_by_key_implILNS1_25lookback_scan_determinismE0ELb0ES3_N6thrust23THRUST_200600_302600_NS16reverse_iteratorIPKiEESD_NSA_IPiEEiN6hipcub16HIPCUB_304000_NS3MaxENSH_8EqualityEiEE10hipError_tPvRmT2_T3_T4_T5_mT6_T7_P12ihipStream_tbENKUlT_T0_E_clISt17integral_constantIbLb1EESZ_IbLb0EEEEDaSV_SW_EUlSV_E_NS1_11comp_targetILNS1_3genE3ELNS1_11target_archE908ELNS1_3gpuE7ELNS1_3repE0EEENS1_30default_config_static_selectorELNS0_4arch9wavefront6targetE0EEEvT1_.kd
    .uniform_work_group_size: 1
    .uses_dynamic_stack: false
    .vgpr_count:     0
    .vgpr_spill_count: 0
    .wavefront_size: 32
    .workgroup_processor_mode: 1
  - .args:
      - .offset:         0
        .size:           112
        .value_kind:     by_value
    .group_segment_fixed_size: 0
    .kernarg_segment_align: 8
    .kernarg_segment_size: 112
    .language:       OpenCL C
    .language_version:
      - 2
      - 0
    .max_flat_workgroup_size: 256
    .name:           _ZN7rocprim17ROCPRIM_400000_NS6detail17trampoline_kernelINS0_14default_configENS1_27scan_by_key_config_selectorIiiEEZZNS1_16scan_by_key_implILNS1_25lookback_scan_determinismE0ELb0ES3_N6thrust23THRUST_200600_302600_NS16reverse_iteratorIPKiEESD_NSA_IPiEEiN6hipcub16HIPCUB_304000_NS3MaxENSH_8EqualityEiEE10hipError_tPvRmT2_T3_T4_T5_mT6_T7_P12ihipStream_tbENKUlT_T0_E_clISt17integral_constantIbLb1EESZ_IbLb0EEEEDaSV_SW_EUlSV_E_NS1_11comp_targetILNS1_3genE2ELNS1_11target_archE906ELNS1_3gpuE6ELNS1_3repE0EEENS1_30default_config_static_selectorELNS0_4arch9wavefront6targetE0EEEvT1_
    .private_segment_fixed_size: 0
    .sgpr_count:     0
    .sgpr_spill_count: 0
    .symbol:         _ZN7rocprim17ROCPRIM_400000_NS6detail17trampoline_kernelINS0_14default_configENS1_27scan_by_key_config_selectorIiiEEZZNS1_16scan_by_key_implILNS1_25lookback_scan_determinismE0ELb0ES3_N6thrust23THRUST_200600_302600_NS16reverse_iteratorIPKiEESD_NSA_IPiEEiN6hipcub16HIPCUB_304000_NS3MaxENSH_8EqualityEiEE10hipError_tPvRmT2_T3_T4_T5_mT6_T7_P12ihipStream_tbENKUlT_T0_E_clISt17integral_constantIbLb1EESZ_IbLb0EEEEDaSV_SW_EUlSV_E_NS1_11comp_targetILNS1_3genE2ELNS1_11target_archE906ELNS1_3gpuE6ELNS1_3repE0EEENS1_30default_config_static_selectorELNS0_4arch9wavefront6targetE0EEEvT1_.kd
    .uniform_work_group_size: 1
    .uses_dynamic_stack: false
    .vgpr_count:     0
    .vgpr_spill_count: 0
    .wavefront_size: 32
    .workgroup_processor_mode: 1
  - .args:
      - .offset:         0
        .size:           112
        .value_kind:     by_value
    .group_segment_fixed_size: 0
    .kernarg_segment_align: 8
    .kernarg_segment_size: 112
    .language:       OpenCL C
    .language_version:
      - 2
      - 0
    .max_flat_workgroup_size: 256
    .name:           _ZN7rocprim17ROCPRIM_400000_NS6detail17trampoline_kernelINS0_14default_configENS1_27scan_by_key_config_selectorIiiEEZZNS1_16scan_by_key_implILNS1_25lookback_scan_determinismE0ELb0ES3_N6thrust23THRUST_200600_302600_NS16reverse_iteratorIPKiEESD_NSA_IPiEEiN6hipcub16HIPCUB_304000_NS3MaxENSH_8EqualityEiEE10hipError_tPvRmT2_T3_T4_T5_mT6_T7_P12ihipStream_tbENKUlT_T0_E_clISt17integral_constantIbLb1EESZ_IbLb0EEEEDaSV_SW_EUlSV_E_NS1_11comp_targetILNS1_3genE10ELNS1_11target_archE1200ELNS1_3gpuE4ELNS1_3repE0EEENS1_30default_config_static_selectorELNS0_4arch9wavefront6targetE0EEEvT1_
    .private_segment_fixed_size: 0
    .sgpr_count:     0
    .sgpr_spill_count: 0
    .symbol:         _ZN7rocprim17ROCPRIM_400000_NS6detail17trampoline_kernelINS0_14default_configENS1_27scan_by_key_config_selectorIiiEEZZNS1_16scan_by_key_implILNS1_25lookback_scan_determinismE0ELb0ES3_N6thrust23THRUST_200600_302600_NS16reverse_iteratorIPKiEESD_NSA_IPiEEiN6hipcub16HIPCUB_304000_NS3MaxENSH_8EqualityEiEE10hipError_tPvRmT2_T3_T4_T5_mT6_T7_P12ihipStream_tbENKUlT_T0_E_clISt17integral_constantIbLb1EESZ_IbLb0EEEEDaSV_SW_EUlSV_E_NS1_11comp_targetILNS1_3genE10ELNS1_11target_archE1200ELNS1_3gpuE4ELNS1_3repE0EEENS1_30default_config_static_selectorELNS0_4arch9wavefront6targetE0EEEvT1_.kd
    .uniform_work_group_size: 1
    .uses_dynamic_stack: false
    .vgpr_count:     0
    .vgpr_spill_count: 0
    .wavefront_size: 32
    .workgroup_processor_mode: 1
  - .args:
      - .offset:         0
        .size:           112
        .value_kind:     by_value
    .group_segment_fixed_size: 0
    .kernarg_segment_align: 8
    .kernarg_segment_size: 112
    .language:       OpenCL C
    .language_version:
      - 2
      - 0
    .max_flat_workgroup_size: 256
    .name:           _ZN7rocprim17ROCPRIM_400000_NS6detail17trampoline_kernelINS0_14default_configENS1_27scan_by_key_config_selectorIiiEEZZNS1_16scan_by_key_implILNS1_25lookback_scan_determinismE0ELb0ES3_N6thrust23THRUST_200600_302600_NS16reverse_iteratorIPKiEESD_NSA_IPiEEiN6hipcub16HIPCUB_304000_NS3MaxENSH_8EqualityEiEE10hipError_tPvRmT2_T3_T4_T5_mT6_T7_P12ihipStream_tbENKUlT_T0_E_clISt17integral_constantIbLb1EESZ_IbLb0EEEEDaSV_SW_EUlSV_E_NS1_11comp_targetILNS1_3genE9ELNS1_11target_archE1100ELNS1_3gpuE3ELNS1_3repE0EEENS1_30default_config_static_selectorELNS0_4arch9wavefront6targetE0EEEvT1_
    .private_segment_fixed_size: 0
    .sgpr_count:     0
    .sgpr_spill_count: 0
    .symbol:         _ZN7rocprim17ROCPRIM_400000_NS6detail17trampoline_kernelINS0_14default_configENS1_27scan_by_key_config_selectorIiiEEZZNS1_16scan_by_key_implILNS1_25lookback_scan_determinismE0ELb0ES3_N6thrust23THRUST_200600_302600_NS16reverse_iteratorIPKiEESD_NSA_IPiEEiN6hipcub16HIPCUB_304000_NS3MaxENSH_8EqualityEiEE10hipError_tPvRmT2_T3_T4_T5_mT6_T7_P12ihipStream_tbENKUlT_T0_E_clISt17integral_constantIbLb1EESZ_IbLb0EEEEDaSV_SW_EUlSV_E_NS1_11comp_targetILNS1_3genE9ELNS1_11target_archE1100ELNS1_3gpuE3ELNS1_3repE0EEENS1_30default_config_static_selectorELNS0_4arch9wavefront6targetE0EEEvT1_.kd
    .uniform_work_group_size: 1
    .uses_dynamic_stack: false
    .vgpr_count:     0
    .vgpr_spill_count: 0
    .wavefront_size: 32
    .workgroup_processor_mode: 1
  - .args:
      - .offset:         0
        .size:           112
        .value_kind:     by_value
    .group_segment_fixed_size: 0
    .kernarg_segment_align: 8
    .kernarg_segment_size: 112
    .language:       OpenCL C
    .language_version:
      - 2
      - 0
    .max_flat_workgroup_size: 256
    .name:           _ZN7rocprim17ROCPRIM_400000_NS6detail17trampoline_kernelINS0_14default_configENS1_27scan_by_key_config_selectorIiiEEZZNS1_16scan_by_key_implILNS1_25lookback_scan_determinismE0ELb0ES3_N6thrust23THRUST_200600_302600_NS16reverse_iteratorIPKiEESD_NSA_IPiEEiN6hipcub16HIPCUB_304000_NS3MaxENSH_8EqualityEiEE10hipError_tPvRmT2_T3_T4_T5_mT6_T7_P12ihipStream_tbENKUlT_T0_E_clISt17integral_constantIbLb1EESZ_IbLb0EEEEDaSV_SW_EUlSV_E_NS1_11comp_targetILNS1_3genE8ELNS1_11target_archE1030ELNS1_3gpuE2ELNS1_3repE0EEENS1_30default_config_static_selectorELNS0_4arch9wavefront6targetE0EEEvT1_
    .private_segment_fixed_size: 0
    .sgpr_count:     0
    .sgpr_spill_count: 0
    .symbol:         _ZN7rocprim17ROCPRIM_400000_NS6detail17trampoline_kernelINS0_14default_configENS1_27scan_by_key_config_selectorIiiEEZZNS1_16scan_by_key_implILNS1_25lookback_scan_determinismE0ELb0ES3_N6thrust23THRUST_200600_302600_NS16reverse_iteratorIPKiEESD_NSA_IPiEEiN6hipcub16HIPCUB_304000_NS3MaxENSH_8EqualityEiEE10hipError_tPvRmT2_T3_T4_T5_mT6_T7_P12ihipStream_tbENKUlT_T0_E_clISt17integral_constantIbLb1EESZ_IbLb0EEEEDaSV_SW_EUlSV_E_NS1_11comp_targetILNS1_3genE8ELNS1_11target_archE1030ELNS1_3gpuE2ELNS1_3repE0EEENS1_30default_config_static_selectorELNS0_4arch9wavefront6targetE0EEEvT1_.kd
    .uniform_work_group_size: 1
    .uses_dynamic_stack: false
    .vgpr_count:     0
    .vgpr_spill_count: 0
    .wavefront_size: 32
    .workgroup_processor_mode: 1
  - .args:
      - .address_space:  global
        .offset:         0
        .size:           8
        .value_kind:     global_buffer
      - .offset:         8
        .size:           4
        .value_kind:     by_value
      - .offset:         12
        .size:           4
        .value_kind:     by_value
      - .address_space:  global
        .offset:         16
        .size:           8
        .value_kind:     global_buffer
      - .address_space:  global
        .offset:         24
        .size:           8
        .value_kind:     global_buffer
      - .actual_access:  write_only
        .address_space:  global
        .offset:         32
        .size:           8
        .value_kind:     global_buffer
      - .offset:         40
        .size:           8
        .value_kind:     by_value
      - .offset:         48
        .size:           4
        .value_kind:     by_value
      - .address_space:  global
        .offset:         56
        .size:           8
        .value_kind:     global_buffer
      - .offset:         64
        .size:           4
        .value_kind:     hidden_block_count_x
      - .offset:         68
        .size:           4
        .value_kind:     hidden_block_count_y
      - .offset:         72
        .size:           4
        .value_kind:     hidden_block_count_z
      - .offset:         76
        .size:           2
        .value_kind:     hidden_group_size_x
      - .offset:         78
        .size:           2
        .value_kind:     hidden_group_size_y
      - .offset:         80
        .size:           2
        .value_kind:     hidden_group_size_z
      - .offset:         82
        .size:           2
        .value_kind:     hidden_remainder_x
      - .offset:         84
        .size:           2
        .value_kind:     hidden_remainder_y
      - .offset:         86
        .size:           2
        .value_kind:     hidden_remainder_z
      - .offset:         104
        .size:           8
        .value_kind:     hidden_global_offset_x
      - .offset:         112
        .size:           8
        .value_kind:     hidden_global_offset_y
      - .offset:         120
        .size:           8
        .value_kind:     hidden_global_offset_z
      - .offset:         128
        .size:           2
        .value_kind:     hidden_grid_dims
    .group_segment_fixed_size: 0
    .kernarg_segment_align: 8
    .kernarg_segment_size: 320
    .language:       OpenCL C
    .language_version:
      - 2
      - 0
    .max_flat_workgroup_size: 256
    .name:           _ZN7rocprim17ROCPRIM_400000_NS6detail30init_device_scan_by_key_kernelINS1_19lookback_scan_stateINS0_5tupleIJibEEELb0ELb1EEEN6thrust23THRUST_200600_302600_NS16reverse_iteratorIPKiEEjNS1_16block_id_wrapperIjLb1EEEEEvT_jjPNSF_10value_typeET0_PNSt15iterator_traitsISI_E10value_typeEmT1_T2_
    .private_segment_fixed_size: 0
    .sgpr_count:     19
    .sgpr_spill_count: 0
    .symbol:         _ZN7rocprim17ROCPRIM_400000_NS6detail30init_device_scan_by_key_kernelINS1_19lookback_scan_stateINS0_5tupleIJibEEELb0ELb1EEEN6thrust23THRUST_200600_302600_NS16reverse_iteratorIPKiEEjNS1_16block_id_wrapperIjLb1EEEEEvT_jjPNSF_10value_typeET0_PNSt15iterator_traitsISI_E10value_typeEmT1_T2_.kd
    .uniform_work_group_size: 1
    .uses_dynamic_stack: false
    .vgpr_count:     9
    .vgpr_spill_count: 0
    .wavefront_size: 32
    .workgroup_processor_mode: 1
  - .args:
      - .offset:         0
        .size:           112
        .value_kind:     by_value
    .group_segment_fixed_size: 0
    .kernarg_segment_align: 8
    .kernarg_segment_size: 112
    .language:       OpenCL C
    .language_version:
      - 2
      - 0
    .max_flat_workgroup_size: 256
    .name:           _ZN7rocprim17ROCPRIM_400000_NS6detail17trampoline_kernelINS0_14default_configENS1_27scan_by_key_config_selectorIiiEEZZNS1_16scan_by_key_implILNS1_25lookback_scan_determinismE0ELb0ES3_N6thrust23THRUST_200600_302600_NS16reverse_iteratorIPKiEESD_NSA_IPiEEiN6hipcub16HIPCUB_304000_NS3MaxENSH_8EqualityEiEE10hipError_tPvRmT2_T3_T4_T5_mT6_T7_P12ihipStream_tbENKUlT_T0_E_clISt17integral_constantIbLb0EESZ_IbLb1EEEEDaSV_SW_EUlSV_E_NS1_11comp_targetILNS1_3genE0ELNS1_11target_archE4294967295ELNS1_3gpuE0ELNS1_3repE0EEENS1_30default_config_static_selectorELNS0_4arch9wavefront6targetE0EEEvT1_
    .private_segment_fixed_size: 0
    .sgpr_count:     0
    .sgpr_spill_count: 0
    .symbol:         _ZN7rocprim17ROCPRIM_400000_NS6detail17trampoline_kernelINS0_14default_configENS1_27scan_by_key_config_selectorIiiEEZZNS1_16scan_by_key_implILNS1_25lookback_scan_determinismE0ELb0ES3_N6thrust23THRUST_200600_302600_NS16reverse_iteratorIPKiEESD_NSA_IPiEEiN6hipcub16HIPCUB_304000_NS3MaxENSH_8EqualityEiEE10hipError_tPvRmT2_T3_T4_T5_mT6_T7_P12ihipStream_tbENKUlT_T0_E_clISt17integral_constantIbLb0EESZ_IbLb1EEEEDaSV_SW_EUlSV_E_NS1_11comp_targetILNS1_3genE0ELNS1_11target_archE4294967295ELNS1_3gpuE0ELNS1_3repE0EEENS1_30default_config_static_selectorELNS0_4arch9wavefront6targetE0EEEvT1_.kd
    .uniform_work_group_size: 1
    .uses_dynamic_stack: false
    .vgpr_count:     0
    .vgpr_spill_count: 0
    .wavefront_size: 32
    .workgroup_processor_mode: 1
  - .args:
      - .offset:         0
        .size:           112
        .value_kind:     by_value
    .group_segment_fixed_size: 0
    .kernarg_segment_align: 8
    .kernarg_segment_size: 112
    .language:       OpenCL C
    .language_version:
      - 2
      - 0
    .max_flat_workgroup_size: 256
    .name:           _ZN7rocprim17ROCPRIM_400000_NS6detail17trampoline_kernelINS0_14default_configENS1_27scan_by_key_config_selectorIiiEEZZNS1_16scan_by_key_implILNS1_25lookback_scan_determinismE0ELb0ES3_N6thrust23THRUST_200600_302600_NS16reverse_iteratorIPKiEESD_NSA_IPiEEiN6hipcub16HIPCUB_304000_NS3MaxENSH_8EqualityEiEE10hipError_tPvRmT2_T3_T4_T5_mT6_T7_P12ihipStream_tbENKUlT_T0_E_clISt17integral_constantIbLb0EESZ_IbLb1EEEEDaSV_SW_EUlSV_E_NS1_11comp_targetILNS1_3genE10ELNS1_11target_archE1201ELNS1_3gpuE5ELNS1_3repE0EEENS1_30default_config_static_selectorELNS0_4arch9wavefront6targetE0EEEvT1_
    .private_segment_fixed_size: 0
    .sgpr_count:     0
    .sgpr_spill_count: 0
    .symbol:         _ZN7rocprim17ROCPRIM_400000_NS6detail17trampoline_kernelINS0_14default_configENS1_27scan_by_key_config_selectorIiiEEZZNS1_16scan_by_key_implILNS1_25lookback_scan_determinismE0ELb0ES3_N6thrust23THRUST_200600_302600_NS16reverse_iteratorIPKiEESD_NSA_IPiEEiN6hipcub16HIPCUB_304000_NS3MaxENSH_8EqualityEiEE10hipError_tPvRmT2_T3_T4_T5_mT6_T7_P12ihipStream_tbENKUlT_T0_E_clISt17integral_constantIbLb0EESZ_IbLb1EEEEDaSV_SW_EUlSV_E_NS1_11comp_targetILNS1_3genE10ELNS1_11target_archE1201ELNS1_3gpuE5ELNS1_3repE0EEENS1_30default_config_static_selectorELNS0_4arch9wavefront6targetE0EEEvT1_.kd
    .uniform_work_group_size: 1
    .uses_dynamic_stack: false
    .vgpr_count:     0
    .vgpr_spill_count: 0
    .wavefront_size: 32
    .workgroup_processor_mode: 1
  - .args:
      - .offset:         0
        .size:           112
        .value_kind:     by_value
    .group_segment_fixed_size: 0
    .kernarg_segment_align: 8
    .kernarg_segment_size: 112
    .language:       OpenCL C
    .language_version:
      - 2
      - 0
    .max_flat_workgroup_size: 256
    .name:           _ZN7rocprim17ROCPRIM_400000_NS6detail17trampoline_kernelINS0_14default_configENS1_27scan_by_key_config_selectorIiiEEZZNS1_16scan_by_key_implILNS1_25lookback_scan_determinismE0ELb0ES3_N6thrust23THRUST_200600_302600_NS16reverse_iteratorIPKiEESD_NSA_IPiEEiN6hipcub16HIPCUB_304000_NS3MaxENSH_8EqualityEiEE10hipError_tPvRmT2_T3_T4_T5_mT6_T7_P12ihipStream_tbENKUlT_T0_E_clISt17integral_constantIbLb0EESZ_IbLb1EEEEDaSV_SW_EUlSV_E_NS1_11comp_targetILNS1_3genE5ELNS1_11target_archE942ELNS1_3gpuE9ELNS1_3repE0EEENS1_30default_config_static_selectorELNS0_4arch9wavefront6targetE0EEEvT1_
    .private_segment_fixed_size: 0
    .sgpr_count:     0
    .sgpr_spill_count: 0
    .symbol:         _ZN7rocprim17ROCPRIM_400000_NS6detail17trampoline_kernelINS0_14default_configENS1_27scan_by_key_config_selectorIiiEEZZNS1_16scan_by_key_implILNS1_25lookback_scan_determinismE0ELb0ES3_N6thrust23THRUST_200600_302600_NS16reverse_iteratorIPKiEESD_NSA_IPiEEiN6hipcub16HIPCUB_304000_NS3MaxENSH_8EqualityEiEE10hipError_tPvRmT2_T3_T4_T5_mT6_T7_P12ihipStream_tbENKUlT_T0_E_clISt17integral_constantIbLb0EESZ_IbLb1EEEEDaSV_SW_EUlSV_E_NS1_11comp_targetILNS1_3genE5ELNS1_11target_archE942ELNS1_3gpuE9ELNS1_3repE0EEENS1_30default_config_static_selectorELNS0_4arch9wavefront6targetE0EEEvT1_.kd
    .uniform_work_group_size: 1
    .uses_dynamic_stack: false
    .vgpr_count:     0
    .vgpr_spill_count: 0
    .wavefront_size: 32
    .workgroup_processor_mode: 1
  - .args:
      - .offset:         0
        .size:           112
        .value_kind:     by_value
    .group_segment_fixed_size: 0
    .kernarg_segment_align: 8
    .kernarg_segment_size: 112
    .language:       OpenCL C
    .language_version:
      - 2
      - 0
    .max_flat_workgroup_size: 256
    .name:           _ZN7rocprim17ROCPRIM_400000_NS6detail17trampoline_kernelINS0_14default_configENS1_27scan_by_key_config_selectorIiiEEZZNS1_16scan_by_key_implILNS1_25lookback_scan_determinismE0ELb0ES3_N6thrust23THRUST_200600_302600_NS16reverse_iteratorIPKiEESD_NSA_IPiEEiN6hipcub16HIPCUB_304000_NS3MaxENSH_8EqualityEiEE10hipError_tPvRmT2_T3_T4_T5_mT6_T7_P12ihipStream_tbENKUlT_T0_E_clISt17integral_constantIbLb0EESZ_IbLb1EEEEDaSV_SW_EUlSV_E_NS1_11comp_targetILNS1_3genE4ELNS1_11target_archE910ELNS1_3gpuE8ELNS1_3repE0EEENS1_30default_config_static_selectorELNS0_4arch9wavefront6targetE0EEEvT1_
    .private_segment_fixed_size: 0
    .sgpr_count:     0
    .sgpr_spill_count: 0
    .symbol:         _ZN7rocprim17ROCPRIM_400000_NS6detail17trampoline_kernelINS0_14default_configENS1_27scan_by_key_config_selectorIiiEEZZNS1_16scan_by_key_implILNS1_25lookback_scan_determinismE0ELb0ES3_N6thrust23THRUST_200600_302600_NS16reverse_iteratorIPKiEESD_NSA_IPiEEiN6hipcub16HIPCUB_304000_NS3MaxENSH_8EqualityEiEE10hipError_tPvRmT2_T3_T4_T5_mT6_T7_P12ihipStream_tbENKUlT_T0_E_clISt17integral_constantIbLb0EESZ_IbLb1EEEEDaSV_SW_EUlSV_E_NS1_11comp_targetILNS1_3genE4ELNS1_11target_archE910ELNS1_3gpuE8ELNS1_3repE0EEENS1_30default_config_static_selectorELNS0_4arch9wavefront6targetE0EEEvT1_.kd
    .uniform_work_group_size: 1
    .uses_dynamic_stack: false
    .vgpr_count:     0
    .vgpr_spill_count: 0
    .wavefront_size: 32
    .workgroup_processor_mode: 1
  - .args:
      - .offset:         0
        .size:           112
        .value_kind:     by_value
    .group_segment_fixed_size: 0
    .kernarg_segment_align: 8
    .kernarg_segment_size: 112
    .language:       OpenCL C
    .language_version:
      - 2
      - 0
    .max_flat_workgroup_size: 256
    .name:           _ZN7rocprim17ROCPRIM_400000_NS6detail17trampoline_kernelINS0_14default_configENS1_27scan_by_key_config_selectorIiiEEZZNS1_16scan_by_key_implILNS1_25lookback_scan_determinismE0ELb0ES3_N6thrust23THRUST_200600_302600_NS16reverse_iteratorIPKiEESD_NSA_IPiEEiN6hipcub16HIPCUB_304000_NS3MaxENSH_8EqualityEiEE10hipError_tPvRmT2_T3_T4_T5_mT6_T7_P12ihipStream_tbENKUlT_T0_E_clISt17integral_constantIbLb0EESZ_IbLb1EEEEDaSV_SW_EUlSV_E_NS1_11comp_targetILNS1_3genE3ELNS1_11target_archE908ELNS1_3gpuE7ELNS1_3repE0EEENS1_30default_config_static_selectorELNS0_4arch9wavefront6targetE0EEEvT1_
    .private_segment_fixed_size: 0
    .sgpr_count:     0
    .sgpr_spill_count: 0
    .symbol:         _ZN7rocprim17ROCPRIM_400000_NS6detail17trampoline_kernelINS0_14default_configENS1_27scan_by_key_config_selectorIiiEEZZNS1_16scan_by_key_implILNS1_25lookback_scan_determinismE0ELb0ES3_N6thrust23THRUST_200600_302600_NS16reverse_iteratorIPKiEESD_NSA_IPiEEiN6hipcub16HIPCUB_304000_NS3MaxENSH_8EqualityEiEE10hipError_tPvRmT2_T3_T4_T5_mT6_T7_P12ihipStream_tbENKUlT_T0_E_clISt17integral_constantIbLb0EESZ_IbLb1EEEEDaSV_SW_EUlSV_E_NS1_11comp_targetILNS1_3genE3ELNS1_11target_archE908ELNS1_3gpuE7ELNS1_3repE0EEENS1_30default_config_static_selectorELNS0_4arch9wavefront6targetE0EEEvT1_.kd
    .uniform_work_group_size: 1
    .uses_dynamic_stack: false
    .vgpr_count:     0
    .vgpr_spill_count: 0
    .wavefront_size: 32
    .workgroup_processor_mode: 1
  - .args:
      - .offset:         0
        .size:           112
        .value_kind:     by_value
    .group_segment_fixed_size: 0
    .kernarg_segment_align: 8
    .kernarg_segment_size: 112
    .language:       OpenCL C
    .language_version:
      - 2
      - 0
    .max_flat_workgroup_size: 256
    .name:           _ZN7rocprim17ROCPRIM_400000_NS6detail17trampoline_kernelINS0_14default_configENS1_27scan_by_key_config_selectorIiiEEZZNS1_16scan_by_key_implILNS1_25lookback_scan_determinismE0ELb0ES3_N6thrust23THRUST_200600_302600_NS16reverse_iteratorIPKiEESD_NSA_IPiEEiN6hipcub16HIPCUB_304000_NS3MaxENSH_8EqualityEiEE10hipError_tPvRmT2_T3_T4_T5_mT6_T7_P12ihipStream_tbENKUlT_T0_E_clISt17integral_constantIbLb0EESZ_IbLb1EEEEDaSV_SW_EUlSV_E_NS1_11comp_targetILNS1_3genE2ELNS1_11target_archE906ELNS1_3gpuE6ELNS1_3repE0EEENS1_30default_config_static_selectorELNS0_4arch9wavefront6targetE0EEEvT1_
    .private_segment_fixed_size: 0
    .sgpr_count:     0
    .sgpr_spill_count: 0
    .symbol:         _ZN7rocprim17ROCPRIM_400000_NS6detail17trampoline_kernelINS0_14default_configENS1_27scan_by_key_config_selectorIiiEEZZNS1_16scan_by_key_implILNS1_25lookback_scan_determinismE0ELb0ES3_N6thrust23THRUST_200600_302600_NS16reverse_iteratorIPKiEESD_NSA_IPiEEiN6hipcub16HIPCUB_304000_NS3MaxENSH_8EqualityEiEE10hipError_tPvRmT2_T3_T4_T5_mT6_T7_P12ihipStream_tbENKUlT_T0_E_clISt17integral_constantIbLb0EESZ_IbLb1EEEEDaSV_SW_EUlSV_E_NS1_11comp_targetILNS1_3genE2ELNS1_11target_archE906ELNS1_3gpuE6ELNS1_3repE0EEENS1_30default_config_static_selectorELNS0_4arch9wavefront6targetE0EEEvT1_.kd
    .uniform_work_group_size: 1
    .uses_dynamic_stack: false
    .vgpr_count:     0
    .vgpr_spill_count: 0
    .wavefront_size: 32
    .workgroup_processor_mode: 1
  - .args:
      - .offset:         0
        .size:           112
        .value_kind:     by_value
    .group_segment_fixed_size: 0
    .kernarg_segment_align: 8
    .kernarg_segment_size: 112
    .language:       OpenCL C
    .language_version:
      - 2
      - 0
    .max_flat_workgroup_size: 256
    .name:           _ZN7rocprim17ROCPRIM_400000_NS6detail17trampoline_kernelINS0_14default_configENS1_27scan_by_key_config_selectorIiiEEZZNS1_16scan_by_key_implILNS1_25lookback_scan_determinismE0ELb0ES3_N6thrust23THRUST_200600_302600_NS16reverse_iteratorIPKiEESD_NSA_IPiEEiN6hipcub16HIPCUB_304000_NS3MaxENSH_8EqualityEiEE10hipError_tPvRmT2_T3_T4_T5_mT6_T7_P12ihipStream_tbENKUlT_T0_E_clISt17integral_constantIbLb0EESZ_IbLb1EEEEDaSV_SW_EUlSV_E_NS1_11comp_targetILNS1_3genE10ELNS1_11target_archE1200ELNS1_3gpuE4ELNS1_3repE0EEENS1_30default_config_static_selectorELNS0_4arch9wavefront6targetE0EEEvT1_
    .private_segment_fixed_size: 0
    .sgpr_count:     0
    .sgpr_spill_count: 0
    .symbol:         _ZN7rocprim17ROCPRIM_400000_NS6detail17trampoline_kernelINS0_14default_configENS1_27scan_by_key_config_selectorIiiEEZZNS1_16scan_by_key_implILNS1_25lookback_scan_determinismE0ELb0ES3_N6thrust23THRUST_200600_302600_NS16reverse_iteratorIPKiEESD_NSA_IPiEEiN6hipcub16HIPCUB_304000_NS3MaxENSH_8EqualityEiEE10hipError_tPvRmT2_T3_T4_T5_mT6_T7_P12ihipStream_tbENKUlT_T0_E_clISt17integral_constantIbLb0EESZ_IbLb1EEEEDaSV_SW_EUlSV_E_NS1_11comp_targetILNS1_3genE10ELNS1_11target_archE1200ELNS1_3gpuE4ELNS1_3repE0EEENS1_30default_config_static_selectorELNS0_4arch9wavefront6targetE0EEEvT1_.kd
    .uniform_work_group_size: 1
    .uses_dynamic_stack: false
    .vgpr_count:     0
    .vgpr_spill_count: 0
    .wavefront_size: 32
    .workgroup_processor_mode: 1
  - .args:
      - .offset:         0
        .size:           112
        .value_kind:     by_value
    .group_segment_fixed_size: 0
    .kernarg_segment_align: 8
    .kernarg_segment_size: 112
    .language:       OpenCL C
    .language_version:
      - 2
      - 0
    .max_flat_workgroup_size: 256
    .name:           _ZN7rocprim17ROCPRIM_400000_NS6detail17trampoline_kernelINS0_14default_configENS1_27scan_by_key_config_selectorIiiEEZZNS1_16scan_by_key_implILNS1_25lookback_scan_determinismE0ELb0ES3_N6thrust23THRUST_200600_302600_NS16reverse_iteratorIPKiEESD_NSA_IPiEEiN6hipcub16HIPCUB_304000_NS3MaxENSH_8EqualityEiEE10hipError_tPvRmT2_T3_T4_T5_mT6_T7_P12ihipStream_tbENKUlT_T0_E_clISt17integral_constantIbLb0EESZ_IbLb1EEEEDaSV_SW_EUlSV_E_NS1_11comp_targetILNS1_3genE9ELNS1_11target_archE1100ELNS1_3gpuE3ELNS1_3repE0EEENS1_30default_config_static_selectorELNS0_4arch9wavefront6targetE0EEEvT1_
    .private_segment_fixed_size: 0
    .sgpr_count:     0
    .sgpr_spill_count: 0
    .symbol:         _ZN7rocprim17ROCPRIM_400000_NS6detail17trampoline_kernelINS0_14default_configENS1_27scan_by_key_config_selectorIiiEEZZNS1_16scan_by_key_implILNS1_25lookback_scan_determinismE0ELb0ES3_N6thrust23THRUST_200600_302600_NS16reverse_iteratorIPKiEESD_NSA_IPiEEiN6hipcub16HIPCUB_304000_NS3MaxENSH_8EqualityEiEE10hipError_tPvRmT2_T3_T4_T5_mT6_T7_P12ihipStream_tbENKUlT_T0_E_clISt17integral_constantIbLb0EESZ_IbLb1EEEEDaSV_SW_EUlSV_E_NS1_11comp_targetILNS1_3genE9ELNS1_11target_archE1100ELNS1_3gpuE3ELNS1_3repE0EEENS1_30default_config_static_selectorELNS0_4arch9wavefront6targetE0EEEvT1_.kd
    .uniform_work_group_size: 1
    .uses_dynamic_stack: false
    .vgpr_count:     0
    .vgpr_spill_count: 0
    .wavefront_size: 32
    .workgroup_processor_mode: 1
  - .args:
      - .offset:         0
        .size:           112
        .value_kind:     by_value
    .group_segment_fixed_size: 5120
    .kernarg_segment_align: 8
    .kernarg_segment_size: 112
    .language:       OpenCL C
    .language_version:
      - 2
      - 0
    .max_flat_workgroup_size: 256
    .name:           _ZN7rocprim17ROCPRIM_400000_NS6detail17trampoline_kernelINS0_14default_configENS1_27scan_by_key_config_selectorIiiEEZZNS1_16scan_by_key_implILNS1_25lookback_scan_determinismE0ELb0ES3_N6thrust23THRUST_200600_302600_NS16reverse_iteratorIPKiEESD_NSA_IPiEEiN6hipcub16HIPCUB_304000_NS3MaxENSH_8EqualityEiEE10hipError_tPvRmT2_T3_T4_T5_mT6_T7_P12ihipStream_tbENKUlT_T0_E_clISt17integral_constantIbLb0EESZ_IbLb1EEEEDaSV_SW_EUlSV_E_NS1_11comp_targetILNS1_3genE8ELNS1_11target_archE1030ELNS1_3gpuE2ELNS1_3repE0EEENS1_30default_config_static_selectorELNS0_4arch9wavefront6targetE0EEEvT1_
    .private_segment_fixed_size: 0
    .sgpr_count:     38
    .sgpr_spill_count: 0
    .symbol:         _ZN7rocprim17ROCPRIM_400000_NS6detail17trampoline_kernelINS0_14default_configENS1_27scan_by_key_config_selectorIiiEEZZNS1_16scan_by_key_implILNS1_25lookback_scan_determinismE0ELb0ES3_N6thrust23THRUST_200600_302600_NS16reverse_iteratorIPKiEESD_NSA_IPiEEiN6hipcub16HIPCUB_304000_NS3MaxENSH_8EqualityEiEE10hipError_tPvRmT2_T3_T4_T5_mT6_T7_P12ihipStream_tbENKUlT_T0_E_clISt17integral_constantIbLb0EESZ_IbLb1EEEEDaSV_SW_EUlSV_E_NS1_11comp_targetILNS1_3genE8ELNS1_11target_archE1030ELNS1_3gpuE2ELNS1_3repE0EEENS1_30default_config_static_selectorELNS0_4arch9wavefront6targetE0EEEvT1_.kd
    .uniform_work_group_size: 1
    .uses_dynamic_stack: false
    .vgpr_count:     42
    .vgpr_spill_count: 0
    .wavefront_size: 32
    .workgroup_processor_mode: 1
  - .args:
      - .offset:         0
        .size:           24
        .value_kind:     by_value
      - .offset:         24
        .size:           4
        .value_kind:     by_value
      - .offset:         28
        .size:           4
        .value_kind:     by_value
      - .address_space:  global
        .offset:         32
        .size:           8
        .value_kind:     global_buffer
      - .address_space:  global
        .offset:         40
        .size:           8
        .value_kind:     global_buffer
      - .actual_access:  write_only
        .address_space:  global
        .offset:         48
        .size:           8
        .value_kind:     global_buffer
      - .offset:         56
        .size:           8
        .value_kind:     by_value
      - .offset:         64
        .size:           4
        .value_kind:     by_value
      - .offset:         68
        .size:           1
        .value_kind:     by_value
      - .offset:         72
        .size:           4
        .value_kind:     hidden_block_count_x
      - .offset:         76
        .size:           4
        .value_kind:     hidden_block_count_y
      - .offset:         80
        .size:           4
        .value_kind:     hidden_block_count_z
      - .offset:         84
        .size:           2
        .value_kind:     hidden_group_size_x
      - .offset:         86
        .size:           2
        .value_kind:     hidden_group_size_y
      - .offset:         88
        .size:           2
        .value_kind:     hidden_group_size_z
      - .offset:         90
        .size:           2
        .value_kind:     hidden_remainder_x
      - .offset:         92
        .size:           2
        .value_kind:     hidden_remainder_y
      - .offset:         94
        .size:           2
        .value_kind:     hidden_remainder_z
      - .offset:         112
        .size:           8
        .value_kind:     hidden_global_offset_x
      - .offset:         120
        .size:           8
        .value_kind:     hidden_global_offset_y
      - .offset:         128
        .size:           8
        .value_kind:     hidden_global_offset_z
      - .offset:         136
        .size:           2
        .value_kind:     hidden_grid_dims
    .group_segment_fixed_size: 0
    .kernarg_segment_align: 8
    .kernarg_segment_size: 328
    .language:       OpenCL C
    .language_version:
      - 2
      - 0
    .max_flat_workgroup_size: 256
    .name:           _ZN7rocprim17ROCPRIM_400000_NS6detail30init_device_scan_by_key_kernelINS1_19lookback_scan_stateINS0_5tupleIJlbEEELb0ELb0EEEPKljNS1_16block_id_wrapperIjLb0EEEEEvT_jjPNSB_10value_typeET0_PNSt15iterator_traitsISE_E10value_typeEmT1_T2_
    .private_segment_fixed_size: 0
    .sgpr_count:     24
    .sgpr_spill_count: 0
    .symbol:         _ZN7rocprim17ROCPRIM_400000_NS6detail30init_device_scan_by_key_kernelINS1_19lookback_scan_stateINS0_5tupleIJlbEEELb0ELb0EEEPKljNS1_16block_id_wrapperIjLb0EEEEEvT_jjPNSB_10value_typeET0_PNSt15iterator_traitsISE_E10value_typeEmT1_T2_.kd
    .uniform_work_group_size: 1
    .uses_dynamic_stack: false
    .vgpr_count:     8
    .vgpr_spill_count: 0
    .wavefront_size: 32
    .workgroup_processor_mode: 1
  - .args:
      - .offset:         0
        .size:           24
        .value_kind:     by_value
      - .offset:         24
        .size:           4
        .value_kind:     by_value
      - .offset:         28
        .size:           4
        .value_kind:     by_value
      - .address_space:  global
        .offset:         32
        .size:           8
        .value_kind:     global_buffer
      - .offset:         40
        .size:           1
        .value_kind:     by_value
      - .offset:         48
        .size:           4
        .value_kind:     hidden_block_count_x
      - .offset:         52
        .size:           4
        .value_kind:     hidden_block_count_y
      - .offset:         56
        .size:           4
        .value_kind:     hidden_block_count_z
      - .offset:         60
        .size:           2
        .value_kind:     hidden_group_size_x
      - .offset:         62
        .size:           2
        .value_kind:     hidden_group_size_y
      - .offset:         64
        .size:           2
        .value_kind:     hidden_group_size_z
      - .offset:         66
        .size:           2
        .value_kind:     hidden_remainder_x
      - .offset:         68
        .size:           2
        .value_kind:     hidden_remainder_y
      - .offset:         70
        .size:           2
        .value_kind:     hidden_remainder_z
      - .offset:         88
        .size:           8
        .value_kind:     hidden_global_offset_x
      - .offset:         96
        .size:           8
        .value_kind:     hidden_global_offset_y
      - .offset:         104
        .size:           8
        .value_kind:     hidden_global_offset_z
      - .offset:         112
        .size:           2
        .value_kind:     hidden_grid_dims
    .group_segment_fixed_size: 0
    .kernarg_segment_align: 8
    .kernarg_segment_size: 304
    .language:       OpenCL C
    .language_version:
      - 2
      - 0
    .max_flat_workgroup_size: 256
    .name:           _ZN7rocprim17ROCPRIM_400000_NS6detail30init_device_scan_by_key_kernelINS1_19lookback_scan_stateINS0_5tupleIJlbEEELb0ELb0EEENS1_16block_id_wrapperIjLb0EEEEEvT_jjPNS9_10value_typeET0_
    .private_segment_fixed_size: 0
    .sgpr_count:     18
    .sgpr_spill_count: 0
    .symbol:         _ZN7rocprim17ROCPRIM_400000_NS6detail30init_device_scan_by_key_kernelINS1_19lookback_scan_stateINS0_5tupleIJlbEEELb0ELb0EEENS1_16block_id_wrapperIjLb0EEEEEvT_jjPNS9_10value_typeET0_.kd
    .uniform_work_group_size: 1
    .uses_dynamic_stack: false
    .vgpr_count:     5
    .vgpr_spill_count: 0
    .wavefront_size: 32
    .workgroup_processor_mode: 1
  - .args:
      - .offset:         0
        .size:           144
        .value_kind:     by_value
    .group_segment_fixed_size: 0
    .kernarg_segment_align: 8
    .kernarg_segment_size: 144
    .language:       OpenCL C
    .language_version:
      - 2
      - 0
    .max_flat_workgroup_size: 256
    .name:           _ZN7rocprim17ROCPRIM_400000_NS6detail17trampoline_kernelINS0_14default_configENS1_27scan_by_key_config_selectorIllEEZZNS1_16scan_by_key_implILNS1_25lookback_scan_determinismE0ELb0ES3_PKlN6hipcub16HIPCUB_304000_NS21ConstantInputIteratorIllEEPllNSB_3SumENSB_8EqualityElEE10hipError_tPvRmT2_T3_T4_T5_mT6_T7_P12ihipStream_tbENKUlT_T0_E_clISt17integral_constantIbLb0EESX_EEDaSS_ST_EUlSS_E_NS1_11comp_targetILNS1_3genE0ELNS1_11target_archE4294967295ELNS1_3gpuE0ELNS1_3repE0EEENS1_30default_config_static_selectorELNS0_4arch9wavefront6targetE0EEEvT1_
    .private_segment_fixed_size: 0
    .sgpr_count:     0
    .sgpr_spill_count: 0
    .symbol:         _ZN7rocprim17ROCPRIM_400000_NS6detail17trampoline_kernelINS0_14default_configENS1_27scan_by_key_config_selectorIllEEZZNS1_16scan_by_key_implILNS1_25lookback_scan_determinismE0ELb0ES3_PKlN6hipcub16HIPCUB_304000_NS21ConstantInputIteratorIllEEPllNSB_3SumENSB_8EqualityElEE10hipError_tPvRmT2_T3_T4_T5_mT6_T7_P12ihipStream_tbENKUlT_T0_E_clISt17integral_constantIbLb0EESX_EEDaSS_ST_EUlSS_E_NS1_11comp_targetILNS1_3genE0ELNS1_11target_archE4294967295ELNS1_3gpuE0ELNS1_3repE0EEENS1_30default_config_static_selectorELNS0_4arch9wavefront6targetE0EEEvT1_.kd
    .uniform_work_group_size: 1
    .uses_dynamic_stack: false
    .vgpr_count:     0
    .vgpr_spill_count: 0
    .wavefront_size: 32
    .workgroup_processor_mode: 1
  - .args:
      - .offset:         0
        .size:           144
        .value_kind:     by_value
    .group_segment_fixed_size: 0
    .kernarg_segment_align: 8
    .kernarg_segment_size: 144
    .language:       OpenCL C
    .language_version:
      - 2
      - 0
    .max_flat_workgroup_size: 256
    .name:           _ZN7rocprim17ROCPRIM_400000_NS6detail17trampoline_kernelINS0_14default_configENS1_27scan_by_key_config_selectorIllEEZZNS1_16scan_by_key_implILNS1_25lookback_scan_determinismE0ELb0ES3_PKlN6hipcub16HIPCUB_304000_NS21ConstantInputIteratorIllEEPllNSB_3SumENSB_8EqualityElEE10hipError_tPvRmT2_T3_T4_T5_mT6_T7_P12ihipStream_tbENKUlT_T0_E_clISt17integral_constantIbLb0EESX_EEDaSS_ST_EUlSS_E_NS1_11comp_targetILNS1_3genE10ELNS1_11target_archE1201ELNS1_3gpuE5ELNS1_3repE0EEENS1_30default_config_static_selectorELNS0_4arch9wavefront6targetE0EEEvT1_
    .private_segment_fixed_size: 0
    .sgpr_count:     0
    .sgpr_spill_count: 0
    .symbol:         _ZN7rocprim17ROCPRIM_400000_NS6detail17trampoline_kernelINS0_14default_configENS1_27scan_by_key_config_selectorIllEEZZNS1_16scan_by_key_implILNS1_25lookback_scan_determinismE0ELb0ES3_PKlN6hipcub16HIPCUB_304000_NS21ConstantInputIteratorIllEEPllNSB_3SumENSB_8EqualityElEE10hipError_tPvRmT2_T3_T4_T5_mT6_T7_P12ihipStream_tbENKUlT_T0_E_clISt17integral_constantIbLb0EESX_EEDaSS_ST_EUlSS_E_NS1_11comp_targetILNS1_3genE10ELNS1_11target_archE1201ELNS1_3gpuE5ELNS1_3repE0EEENS1_30default_config_static_selectorELNS0_4arch9wavefront6targetE0EEEvT1_.kd
    .uniform_work_group_size: 1
    .uses_dynamic_stack: false
    .vgpr_count:     0
    .vgpr_spill_count: 0
    .wavefront_size: 32
    .workgroup_processor_mode: 1
  - .args:
      - .offset:         0
        .size:           144
        .value_kind:     by_value
    .group_segment_fixed_size: 0
    .kernarg_segment_align: 8
    .kernarg_segment_size: 144
    .language:       OpenCL C
    .language_version:
      - 2
      - 0
    .max_flat_workgroup_size: 256
    .name:           _ZN7rocprim17ROCPRIM_400000_NS6detail17trampoline_kernelINS0_14default_configENS1_27scan_by_key_config_selectorIllEEZZNS1_16scan_by_key_implILNS1_25lookback_scan_determinismE0ELb0ES3_PKlN6hipcub16HIPCUB_304000_NS21ConstantInputIteratorIllEEPllNSB_3SumENSB_8EqualityElEE10hipError_tPvRmT2_T3_T4_T5_mT6_T7_P12ihipStream_tbENKUlT_T0_E_clISt17integral_constantIbLb0EESX_EEDaSS_ST_EUlSS_E_NS1_11comp_targetILNS1_3genE5ELNS1_11target_archE942ELNS1_3gpuE9ELNS1_3repE0EEENS1_30default_config_static_selectorELNS0_4arch9wavefront6targetE0EEEvT1_
    .private_segment_fixed_size: 0
    .sgpr_count:     0
    .sgpr_spill_count: 0
    .symbol:         _ZN7rocprim17ROCPRIM_400000_NS6detail17trampoline_kernelINS0_14default_configENS1_27scan_by_key_config_selectorIllEEZZNS1_16scan_by_key_implILNS1_25lookback_scan_determinismE0ELb0ES3_PKlN6hipcub16HIPCUB_304000_NS21ConstantInputIteratorIllEEPllNSB_3SumENSB_8EqualityElEE10hipError_tPvRmT2_T3_T4_T5_mT6_T7_P12ihipStream_tbENKUlT_T0_E_clISt17integral_constantIbLb0EESX_EEDaSS_ST_EUlSS_E_NS1_11comp_targetILNS1_3genE5ELNS1_11target_archE942ELNS1_3gpuE9ELNS1_3repE0EEENS1_30default_config_static_selectorELNS0_4arch9wavefront6targetE0EEEvT1_.kd
    .uniform_work_group_size: 1
    .uses_dynamic_stack: false
    .vgpr_count:     0
    .vgpr_spill_count: 0
    .wavefront_size: 32
    .workgroup_processor_mode: 1
  - .args:
      - .offset:         0
        .size:           144
        .value_kind:     by_value
    .group_segment_fixed_size: 0
    .kernarg_segment_align: 8
    .kernarg_segment_size: 144
    .language:       OpenCL C
    .language_version:
      - 2
      - 0
    .max_flat_workgroup_size: 64
    .name:           _ZN7rocprim17ROCPRIM_400000_NS6detail17trampoline_kernelINS0_14default_configENS1_27scan_by_key_config_selectorIllEEZZNS1_16scan_by_key_implILNS1_25lookback_scan_determinismE0ELb0ES3_PKlN6hipcub16HIPCUB_304000_NS21ConstantInputIteratorIllEEPllNSB_3SumENSB_8EqualityElEE10hipError_tPvRmT2_T3_T4_T5_mT6_T7_P12ihipStream_tbENKUlT_T0_E_clISt17integral_constantIbLb0EESX_EEDaSS_ST_EUlSS_E_NS1_11comp_targetILNS1_3genE4ELNS1_11target_archE910ELNS1_3gpuE8ELNS1_3repE0EEENS1_30default_config_static_selectorELNS0_4arch9wavefront6targetE0EEEvT1_
    .private_segment_fixed_size: 0
    .sgpr_count:     0
    .sgpr_spill_count: 0
    .symbol:         _ZN7rocprim17ROCPRIM_400000_NS6detail17trampoline_kernelINS0_14default_configENS1_27scan_by_key_config_selectorIllEEZZNS1_16scan_by_key_implILNS1_25lookback_scan_determinismE0ELb0ES3_PKlN6hipcub16HIPCUB_304000_NS21ConstantInputIteratorIllEEPllNSB_3SumENSB_8EqualityElEE10hipError_tPvRmT2_T3_T4_T5_mT6_T7_P12ihipStream_tbENKUlT_T0_E_clISt17integral_constantIbLb0EESX_EEDaSS_ST_EUlSS_E_NS1_11comp_targetILNS1_3genE4ELNS1_11target_archE910ELNS1_3gpuE8ELNS1_3repE0EEENS1_30default_config_static_selectorELNS0_4arch9wavefront6targetE0EEEvT1_.kd
    .uniform_work_group_size: 1
    .uses_dynamic_stack: false
    .vgpr_count:     0
    .vgpr_spill_count: 0
    .wavefront_size: 32
    .workgroup_processor_mode: 1
  - .args:
      - .offset:         0
        .size:           144
        .value_kind:     by_value
    .group_segment_fixed_size: 0
    .kernarg_segment_align: 8
    .kernarg_segment_size: 144
    .language:       OpenCL C
    .language_version:
      - 2
      - 0
    .max_flat_workgroup_size: 256
    .name:           _ZN7rocprim17ROCPRIM_400000_NS6detail17trampoline_kernelINS0_14default_configENS1_27scan_by_key_config_selectorIllEEZZNS1_16scan_by_key_implILNS1_25lookback_scan_determinismE0ELb0ES3_PKlN6hipcub16HIPCUB_304000_NS21ConstantInputIteratorIllEEPllNSB_3SumENSB_8EqualityElEE10hipError_tPvRmT2_T3_T4_T5_mT6_T7_P12ihipStream_tbENKUlT_T0_E_clISt17integral_constantIbLb0EESX_EEDaSS_ST_EUlSS_E_NS1_11comp_targetILNS1_3genE3ELNS1_11target_archE908ELNS1_3gpuE7ELNS1_3repE0EEENS1_30default_config_static_selectorELNS0_4arch9wavefront6targetE0EEEvT1_
    .private_segment_fixed_size: 0
    .sgpr_count:     0
    .sgpr_spill_count: 0
    .symbol:         _ZN7rocprim17ROCPRIM_400000_NS6detail17trampoline_kernelINS0_14default_configENS1_27scan_by_key_config_selectorIllEEZZNS1_16scan_by_key_implILNS1_25lookback_scan_determinismE0ELb0ES3_PKlN6hipcub16HIPCUB_304000_NS21ConstantInputIteratorIllEEPllNSB_3SumENSB_8EqualityElEE10hipError_tPvRmT2_T3_T4_T5_mT6_T7_P12ihipStream_tbENKUlT_T0_E_clISt17integral_constantIbLb0EESX_EEDaSS_ST_EUlSS_E_NS1_11comp_targetILNS1_3genE3ELNS1_11target_archE908ELNS1_3gpuE7ELNS1_3repE0EEENS1_30default_config_static_selectorELNS0_4arch9wavefront6targetE0EEEvT1_.kd
    .uniform_work_group_size: 1
    .uses_dynamic_stack: false
    .vgpr_count:     0
    .vgpr_spill_count: 0
    .wavefront_size: 32
    .workgroup_processor_mode: 1
  - .args:
      - .offset:         0
        .size:           144
        .value_kind:     by_value
    .group_segment_fixed_size: 0
    .kernarg_segment_align: 8
    .kernarg_segment_size: 144
    .language:       OpenCL C
    .language_version:
      - 2
      - 0
    .max_flat_workgroup_size: 256
    .name:           _ZN7rocprim17ROCPRIM_400000_NS6detail17trampoline_kernelINS0_14default_configENS1_27scan_by_key_config_selectorIllEEZZNS1_16scan_by_key_implILNS1_25lookback_scan_determinismE0ELb0ES3_PKlN6hipcub16HIPCUB_304000_NS21ConstantInputIteratorIllEEPllNSB_3SumENSB_8EqualityElEE10hipError_tPvRmT2_T3_T4_T5_mT6_T7_P12ihipStream_tbENKUlT_T0_E_clISt17integral_constantIbLb0EESX_EEDaSS_ST_EUlSS_E_NS1_11comp_targetILNS1_3genE2ELNS1_11target_archE906ELNS1_3gpuE6ELNS1_3repE0EEENS1_30default_config_static_selectorELNS0_4arch9wavefront6targetE0EEEvT1_
    .private_segment_fixed_size: 0
    .sgpr_count:     0
    .sgpr_spill_count: 0
    .symbol:         _ZN7rocprim17ROCPRIM_400000_NS6detail17trampoline_kernelINS0_14default_configENS1_27scan_by_key_config_selectorIllEEZZNS1_16scan_by_key_implILNS1_25lookback_scan_determinismE0ELb0ES3_PKlN6hipcub16HIPCUB_304000_NS21ConstantInputIteratorIllEEPllNSB_3SumENSB_8EqualityElEE10hipError_tPvRmT2_T3_T4_T5_mT6_T7_P12ihipStream_tbENKUlT_T0_E_clISt17integral_constantIbLb0EESX_EEDaSS_ST_EUlSS_E_NS1_11comp_targetILNS1_3genE2ELNS1_11target_archE906ELNS1_3gpuE6ELNS1_3repE0EEENS1_30default_config_static_selectorELNS0_4arch9wavefront6targetE0EEEvT1_.kd
    .uniform_work_group_size: 1
    .uses_dynamic_stack: false
    .vgpr_count:     0
    .vgpr_spill_count: 0
    .wavefront_size: 32
    .workgroup_processor_mode: 1
  - .args:
      - .offset:         0
        .size:           144
        .value_kind:     by_value
    .group_segment_fixed_size: 0
    .kernarg_segment_align: 8
    .kernarg_segment_size: 144
    .language:       OpenCL C
    .language_version:
      - 2
      - 0
    .max_flat_workgroup_size: 256
    .name:           _ZN7rocprim17ROCPRIM_400000_NS6detail17trampoline_kernelINS0_14default_configENS1_27scan_by_key_config_selectorIllEEZZNS1_16scan_by_key_implILNS1_25lookback_scan_determinismE0ELb0ES3_PKlN6hipcub16HIPCUB_304000_NS21ConstantInputIteratorIllEEPllNSB_3SumENSB_8EqualityElEE10hipError_tPvRmT2_T3_T4_T5_mT6_T7_P12ihipStream_tbENKUlT_T0_E_clISt17integral_constantIbLb0EESX_EEDaSS_ST_EUlSS_E_NS1_11comp_targetILNS1_3genE10ELNS1_11target_archE1200ELNS1_3gpuE4ELNS1_3repE0EEENS1_30default_config_static_selectorELNS0_4arch9wavefront6targetE0EEEvT1_
    .private_segment_fixed_size: 0
    .sgpr_count:     0
    .sgpr_spill_count: 0
    .symbol:         _ZN7rocprim17ROCPRIM_400000_NS6detail17trampoline_kernelINS0_14default_configENS1_27scan_by_key_config_selectorIllEEZZNS1_16scan_by_key_implILNS1_25lookback_scan_determinismE0ELb0ES3_PKlN6hipcub16HIPCUB_304000_NS21ConstantInputIteratorIllEEPllNSB_3SumENSB_8EqualityElEE10hipError_tPvRmT2_T3_T4_T5_mT6_T7_P12ihipStream_tbENKUlT_T0_E_clISt17integral_constantIbLb0EESX_EEDaSS_ST_EUlSS_E_NS1_11comp_targetILNS1_3genE10ELNS1_11target_archE1200ELNS1_3gpuE4ELNS1_3repE0EEENS1_30default_config_static_selectorELNS0_4arch9wavefront6targetE0EEEvT1_.kd
    .uniform_work_group_size: 1
    .uses_dynamic_stack: false
    .vgpr_count:     0
    .vgpr_spill_count: 0
    .wavefront_size: 32
    .workgroup_processor_mode: 1
  - .args:
      - .offset:         0
        .size:           144
        .value_kind:     by_value
    .group_segment_fixed_size: 0
    .kernarg_segment_align: 8
    .kernarg_segment_size: 144
    .language:       OpenCL C
    .language_version:
      - 2
      - 0
    .max_flat_workgroup_size: 256
    .name:           _ZN7rocprim17ROCPRIM_400000_NS6detail17trampoline_kernelINS0_14default_configENS1_27scan_by_key_config_selectorIllEEZZNS1_16scan_by_key_implILNS1_25lookback_scan_determinismE0ELb0ES3_PKlN6hipcub16HIPCUB_304000_NS21ConstantInputIteratorIllEEPllNSB_3SumENSB_8EqualityElEE10hipError_tPvRmT2_T3_T4_T5_mT6_T7_P12ihipStream_tbENKUlT_T0_E_clISt17integral_constantIbLb0EESX_EEDaSS_ST_EUlSS_E_NS1_11comp_targetILNS1_3genE9ELNS1_11target_archE1100ELNS1_3gpuE3ELNS1_3repE0EEENS1_30default_config_static_selectorELNS0_4arch9wavefront6targetE0EEEvT1_
    .private_segment_fixed_size: 0
    .sgpr_count:     0
    .sgpr_spill_count: 0
    .symbol:         _ZN7rocprim17ROCPRIM_400000_NS6detail17trampoline_kernelINS0_14default_configENS1_27scan_by_key_config_selectorIllEEZZNS1_16scan_by_key_implILNS1_25lookback_scan_determinismE0ELb0ES3_PKlN6hipcub16HIPCUB_304000_NS21ConstantInputIteratorIllEEPllNSB_3SumENSB_8EqualityElEE10hipError_tPvRmT2_T3_T4_T5_mT6_T7_P12ihipStream_tbENKUlT_T0_E_clISt17integral_constantIbLb0EESX_EEDaSS_ST_EUlSS_E_NS1_11comp_targetILNS1_3genE9ELNS1_11target_archE1100ELNS1_3gpuE3ELNS1_3repE0EEENS1_30default_config_static_selectorELNS0_4arch9wavefront6targetE0EEEvT1_.kd
    .uniform_work_group_size: 1
    .uses_dynamic_stack: false
    .vgpr_count:     0
    .vgpr_spill_count: 0
    .wavefront_size: 32
    .workgroup_processor_mode: 1
  - .args:
      - .offset:         0
        .size:           144
        .value_kind:     by_value
    .group_segment_fixed_size: 30720
    .kernarg_segment_align: 8
    .kernarg_segment_size: 144
    .language:       OpenCL C
    .language_version:
      - 2
      - 0
    .max_flat_workgroup_size: 256
    .name:           _ZN7rocprim17ROCPRIM_400000_NS6detail17trampoline_kernelINS0_14default_configENS1_27scan_by_key_config_selectorIllEEZZNS1_16scan_by_key_implILNS1_25lookback_scan_determinismE0ELb0ES3_PKlN6hipcub16HIPCUB_304000_NS21ConstantInputIteratorIllEEPllNSB_3SumENSB_8EqualityElEE10hipError_tPvRmT2_T3_T4_T5_mT6_T7_P12ihipStream_tbENKUlT_T0_E_clISt17integral_constantIbLb0EESX_EEDaSS_ST_EUlSS_E_NS1_11comp_targetILNS1_3genE8ELNS1_11target_archE1030ELNS1_3gpuE2ELNS1_3repE0EEENS1_30default_config_static_selectorELNS0_4arch9wavefront6targetE0EEEvT1_
    .private_segment_fixed_size: 0
    .sgpr_count:     50
    .sgpr_spill_count: 0
    .symbol:         _ZN7rocprim17ROCPRIM_400000_NS6detail17trampoline_kernelINS0_14default_configENS1_27scan_by_key_config_selectorIllEEZZNS1_16scan_by_key_implILNS1_25lookback_scan_determinismE0ELb0ES3_PKlN6hipcub16HIPCUB_304000_NS21ConstantInputIteratorIllEEPllNSB_3SumENSB_8EqualityElEE10hipError_tPvRmT2_T3_T4_T5_mT6_T7_P12ihipStream_tbENKUlT_T0_E_clISt17integral_constantIbLb0EESX_EEDaSS_ST_EUlSS_E_NS1_11comp_targetILNS1_3genE8ELNS1_11target_archE1030ELNS1_3gpuE2ELNS1_3repE0EEENS1_30default_config_static_selectorELNS0_4arch9wavefront6targetE0EEEvT1_.kd
    .uniform_work_group_size: 1
    .uses_dynamic_stack: false
    .vgpr_count:     108
    .vgpr_spill_count: 0
    .wavefront_size: 32
    .workgroup_processor_mode: 1
  - .args:
      - .offset:         0
        .size:           24
        .value_kind:     by_value
      - .offset:         24
        .size:           4
        .value_kind:     by_value
      - .offset:         28
        .size:           4
        .value_kind:     by_value
      - .address_space:  global
        .offset:         32
        .size:           8
        .value_kind:     global_buffer
      - .address_space:  global
        .offset:         40
        .size:           8
        .value_kind:     global_buffer
      - .actual_access:  write_only
        .address_space:  global
        .offset:         48
        .size:           8
        .value_kind:     global_buffer
      - .offset:         56
        .size:           8
        .value_kind:     by_value
      - .offset:         64
        .size:           4
        .value_kind:     by_value
      - .address_space:  global
        .offset:         72
        .size:           8
        .value_kind:     global_buffer
      - .offset:         80
        .size:           4
        .value_kind:     hidden_block_count_x
      - .offset:         84
        .size:           4
        .value_kind:     hidden_block_count_y
      - .offset:         88
        .size:           4
        .value_kind:     hidden_block_count_z
      - .offset:         92
        .size:           2
        .value_kind:     hidden_group_size_x
      - .offset:         94
        .size:           2
        .value_kind:     hidden_group_size_y
      - .offset:         96
        .size:           2
        .value_kind:     hidden_group_size_z
      - .offset:         98
        .size:           2
        .value_kind:     hidden_remainder_x
      - .offset:         100
        .size:           2
        .value_kind:     hidden_remainder_y
      - .offset:         102
        .size:           2
        .value_kind:     hidden_remainder_z
      - .offset:         120
        .size:           8
        .value_kind:     hidden_global_offset_x
      - .offset:         128
        .size:           8
        .value_kind:     hidden_global_offset_y
      - .offset:         136
        .size:           8
        .value_kind:     hidden_global_offset_z
      - .offset:         144
        .size:           2
        .value_kind:     hidden_grid_dims
    .group_segment_fixed_size: 0
    .kernarg_segment_align: 8
    .kernarg_segment_size: 336
    .language:       OpenCL C
    .language_version:
      - 2
      - 0
    .max_flat_workgroup_size: 256
    .name:           _ZN7rocprim17ROCPRIM_400000_NS6detail30init_device_scan_by_key_kernelINS1_19lookback_scan_stateINS0_5tupleIJlbEEELb1ELb0EEEPKljNS1_16block_id_wrapperIjLb1EEEEEvT_jjPNSB_10value_typeET0_PNSt15iterator_traitsISE_E10value_typeEmT1_T2_
    .private_segment_fixed_size: 0
    .sgpr_count:     25
    .sgpr_spill_count: 0
    .symbol:         _ZN7rocprim17ROCPRIM_400000_NS6detail30init_device_scan_by_key_kernelINS1_19lookback_scan_stateINS0_5tupleIJlbEEELb1ELb0EEEPKljNS1_16block_id_wrapperIjLb1EEEEEvT_jjPNSB_10value_typeET0_PNSt15iterator_traitsISE_E10value_typeEmT1_T2_.kd
    .uniform_work_group_size: 1
    .uses_dynamic_stack: false
    .vgpr_count:     8
    .vgpr_spill_count: 0
    .wavefront_size: 32
    .workgroup_processor_mode: 1
  - .args:
      - .offset:         0
        .size:           24
        .value_kind:     by_value
      - .offset:         24
        .size:           4
        .value_kind:     by_value
      - .offset:         28
        .size:           4
        .value_kind:     by_value
      - .address_space:  global
        .offset:         32
        .size:           8
        .value_kind:     global_buffer
      - .address_space:  global
        .offset:         40
        .size:           8
        .value_kind:     global_buffer
      - .offset:         48
        .size:           4
        .value_kind:     hidden_block_count_x
      - .offset:         52
        .size:           4
        .value_kind:     hidden_block_count_y
      - .offset:         56
        .size:           4
        .value_kind:     hidden_block_count_z
      - .offset:         60
        .size:           2
        .value_kind:     hidden_group_size_x
      - .offset:         62
        .size:           2
        .value_kind:     hidden_group_size_y
      - .offset:         64
        .size:           2
        .value_kind:     hidden_group_size_z
      - .offset:         66
        .size:           2
        .value_kind:     hidden_remainder_x
      - .offset:         68
        .size:           2
        .value_kind:     hidden_remainder_y
      - .offset:         70
        .size:           2
        .value_kind:     hidden_remainder_z
      - .offset:         88
        .size:           8
        .value_kind:     hidden_global_offset_x
      - .offset:         96
        .size:           8
        .value_kind:     hidden_global_offset_y
      - .offset:         104
        .size:           8
        .value_kind:     hidden_global_offset_z
      - .offset:         112
        .size:           2
        .value_kind:     hidden_grid_dims
    .group_segment_fixed_size: 0
    .kernarg_segment_align: 8
    .kernarg_segment_size: 304
    .language:       OpenCL C
    .language_version:
      - 2
      - 0
    .max_flat_workgroup_size: 256
    .name:           _ZN7rocprim17ROCPRIM_400000_NS6detail30init_device_scan_by_key_kernelINS1_19lookback_scan_stateINS0_5tupleIJlbEEELb1ELb0EEENS1_16block_id_wrapperIjLb1EEEEEvT_jjPNS9_10value_typeET0_
    .private_segment_fixed_size: 0
    .sgpr_count:     21
    .sgpr_spill_count: 0
    .symbol:         _ZN7rocprim17ROCPRIM_400000_NS6detail30init_device_scan_by_key_kernelINS1_19lookback_scan_stateINS0_5tupleIJlbEEELb1ELb0EEENS1_16block_id_wrapperIjLb1EEEEEvT_jjPNS9_10value_typeET0_.kd
    .uniform_work_group_size: 1
    .uses_dynamic_stack: false
    .vgpr_count:     5
    .vgpr_spill_count: 0
    .wavefront_size: 32
    .workgroup_processor_mode: 1
  - .args:
      - .offset:         0
        .size:           144
        .value_kind:     by_value
    .group_segment_fixed_size: 0
    .kernarg_segment_align: 8
    .kernarg_segment_size: 144
    .language:       OpenCL C
    .language_version:
      - 2
      - 0
    .max_flat_workgroup_size: 256
    .name:           _ZN7rocprim17ROCPRIM_400000_NS6detail17trampoline_kernelINS0_14default_configENS1_27scan_by_key_config_selectorIllEEZZNS1_16scan_by_key_implILNS1_25lookback_scan_determinismE0ELb0ES3_PKlN6hipcub16HIPCUB_304000_NS21ConstantInputIteratorIllEEPllNSB_3SumENSB_8EqualityElEE10hipError_tPvRmT2_T3_T4_T5_mT6_T7_P12ihipStream_tbENKUlT_T0_E_clISt17integral_constantIbLb1EESX_EEDaSS_ST_EUlSS_E_NS1_11comp_targetILNS1_3genE0ELNS1_11target_archE4294967295ELNS1_3gpuE0ELNS1_3repE0EEENS1_30default_config_static_selectorELNS0_4arch9wavefront6targetE0EEEvT1_
    .private_segment_fixed_size: 0
    .sgpr_count:     0
    .sgpr_spill_count: 0
    .symbol:         _ZN7rocprim17ROCPRIM_400000_NS6detail17trampoline_kernelINS0_14default_configENS1_27scan_by_key_config_selectorIllEEZZNS1_16scan_by_key_implILNS1_25lookback_scan_determinismE0ELb0ES3_PKlN6hipcub16HIPCUB_304000_NS21ConstantInputIteratorIllEEPllNSB_3SumENSB_8EqualityElEE10hipError_tPvRmT2_T3_T4_T5_mT6_T7_P12ihipStream_tbENKUlT_T0_E_clISt17integral_constantIbLb1EESX_EEDaSS_ST_EUlSS_E_NS1_11comp_targetILNS1_3genE0ELNS1_11target_archE4294967295ELNS1_3gpuE0ELNS1_3repE0EEENS1_30default_config_static_selectorELNS0_4arch9wavefront6targetE0EEEvT1_.kd
    .uniform_work_group_size: 1
    .uses_dynamic_stack: false
    .vgpr_count:     0
    .vgpr_spill_count: 0
    .wavefront_size: 32
    .workgroup_processor_mode: 1
  - .args:
      - .offset:         0
        .size:           144
        .value_kind:     by_value
    .group_segment_fixed_size: 0
    .kernarg_segment_align: 8
    .kernarg_segment_size: 144
    .language:       OpenCL C
    .language_version:
      - 2
      - 0
    .max_flat_workgroup_size: 256
    .name:           _ZN7rocprim17ROCPRIM_400000_NS6detail17trampoline_kernelINS0_14default_configENS1_27scan_by_key_config_selectorIllEEZZNS1_16scan_by_key_implILNS1_25lookback_scan_determinismE0ELb0ES3_PKlN6hipcub16HIPCUB_304000_NS21ConstantInputIteratorIllEEPllNSB_3SumENSB_8EqualityElEE10hipError_tPvRmT2_T3_T4_T5_mT6_T7_P12ihipStream_tbENKUlT_T0_E_clISt17integral_constantIbLb1EESX_EEDaSS_ST_EUlSS_E_NS1_11comp_targetILNS1_3genE10ELNS1_11target_archE1201ELNS1_3gpuE5ELNS1_3repE0EEENS1_30default_config_static_selectorELNS0_4arch9wavefront6targetE0EEEvT1_
    .private_segment_fixed_size: 0
    .sgpr_count:     0
    .sgpr_spill_count: 0
    .symbol:         _ZN7rocprim17ROCPRIM_400000_NS6detail17trampoline_kernelINS0_14default_configENS1_27scan_by_key_config_selectorIllEEZZNS1_16scan_by_key_implILNS1_25lookback_scan_determinismE0ELb0ES3_PKlN6hipcub16HIPCUB_304000_NS21ConstantInputIteratorIllEEPllNSB_3SumENSB_8EqualityElEE10hipError_tPvRmT2_T3_T4_T5_mT6_T7_P12ihipStream_tbENKUlT_T0_E_clISt17integral_constantIbLb1EESX_EEDaSS_ST_EUlSS_E_NS1_11comp_targetILNS1_3genE10ELNS1_11target_archE1201ELNS1_3gpuE5ELNS1_3repE0EEENS1_30default_config_static_selectorELNS0_4arch9wavefront6targetE0EEEvT1_.kd
    .uniform_work_group_size: 1
    .uses_dynamic_stack: false
    .vgpr_count:     0
    .vgpr_spill_count: 0
    .wavefront_size: 32
    .workgroup_processor_mode: 1
  - .args:
      - .offset:         0
        .size:           144
        .value_kind:     by_value
    .group_segment_fixed_size: 0
    .kernarg_segment_align: 8
    .kernarg_segment_size: 144
    .language:       OpenCL C
    .language_version:
      - 2
      - 0
    .max_flat_workgroup_size: 256
    .name:           _ZN7rocprim17ROCPRIM_400000_NS6detail17trampoline_kernelINS0_14default_configENS1_27scan_by_key_config_selectorIllEEZZNS1_16scan_by_key_implILNS1_25lookback_scan_determinismE0ELb0ES3_PKlN6hipcub16HIPCUB_304000_NS21ConstantInputIteratorIllEEPllNSB_3SumENSB_8EqualityElEE10hipError_tPvRmT2_T3_T4_T5_mT6_T7_P12ihipStream_tbENKUlT_T0_E_clISt17integral_constantIbLb1EESX_EEDaSS_ST_EUlSS_E_NS1_11comp_targetILNS1_3genE5ELNS1_11target_archE942ELNS1_3gpuE9ELNS1_3repE0EEENS1_30default_config_static_selectorELNS0_4arch9wavefront6targetE0EEEvT1_
    .private_segment_fixed_size: 0
    .sgpr_count:     0
    .sgpr_spill_count: 0
    .symbol:         _ZN7rocprim17ROCPRIM_400000_NS6detail17trampoline_kernelINS0_14default_configENS1_27scan_by_key_config_selectorIllEEZZNS1_16scan_by_key_implILNS1_25lookback_scan_determinismE0ELb0ES3_PKlN6hipcub16HIPCUB_304000_NS21ConstantInputIteratorIllEEPllNSB_3SumENSB_8EqualityElEE10hipError_tPvRmT2_T3_T4_T5_mT6_T7_P12ihipStream_tbENKUlT_T0_E_clISt17integral_constantIbLb1EESX_EEDaSS_ST_EUlSS_E_NS1_11comp_targetILNS1_3genE5ELNS1_11target_archE942ELNS1_3gpuE9ELNS1_3repE0EEENS1_30default_config_static_selectorELNS0_4arch9wavefront6targetE0EEEvT1_.kd
    .uniform_work_group_size: 1
    .uses_dynamic_stack: false
    .vgpr_count:     0
    .vgpr_spill_count: 0
    .wavefront_size: 32
    .workgroup_processor_mode: 1
  - .args:
      - .offset:         0
        .size:           144
        .value_kind:     by_value
    .group_segment_fixed_size: 0
    .kernarg_segment_align: 8
    .kernarg_segment_size: 144
    .language:       OpenCL C
    .language_version:
      - 2
      - 0
    .max_flat_workgroup_size: 64
    .name:           _ZN7rocprim17ROCPRIM_400000_NS6detail17trampoline_kernelINS0_14default_configENS1_27scan_by_key_config_selectorIllEEZZNS1_16scan_by_key_implILNS1_25lookback_scan_determinismE0ELb0ES3_PKlN6hipcub16HIPCUB_304000_NS21ConstantInputIteratorIllEEPllNSB_3SumENSB_8EqualityElEE10hipError_tPvRmT2_T3_T4_T5_mT6_T7_P12ihipStream_tbENKUlT_T0_E_clISt17integral_constantIbLb1EESX_EEDaSS_ST_EUlSS_E_NS1_11comp_targetILNS1_3genE4ELNS1_11target_archE910ELNS1_3gpuE8ELNS1_3repE0EEENS1_30default_config_static_selectorELNS0_4arch9wavefront6targetE0EEEvT1_
    .private_segment_fixed_size: 0
    .sgpr_count:     0
    .sgpr_spill_count: 0
    .symbol:         _ZN7rocprim17ROCPRIM_400000_NS6detail17trampoline_kernelINS0_14default_configENS1_27scan_by_key_config_selectorIllEEZZNS1_16scan_by_key_implILNS1_25lookback_scan_determinismE0ELb0ES3_PKlN6hipcub16HIPCUB_304000_NS21ConstantInputIteratorIllEEPllNSB_3SumENSB_8EqualityElEE10hipError_tPvRmT2_T3_T4_T5_mT6_T7_P12ihipStream_tbENKUlT_T0_E_clISt17integral_constantIbLb1EESX_EEDaSS_ST_EUlSS_E_NS1_11comp_targetILNS1_3genE4ELNS1_11target_archE910ELNS1_3gpuE8ELNS1_3repE0EEENS1_30default_config_static_selectorELNS0_4arch9wavefront6targetE0EEEvT1_.kd
    .uniform_work_group_size: 1
    .uses_dynamic_stack: false
    .vgpr_count:     0
    .vgpr_spill_count: 0
    .wavefront_size: 32
    .workgroup_processor_mode: 1
  - .args:
      - .offset:         0
        .size:           144
        .value_kind:     by_value
    .group_segment_fixed_size: 0
    .kernarg_segment_align: 8
    .kernarg_segment_size: 144
    .language:       OpenCL C
    .language_version:
      - 2
      - 0
    .max_flat_workgroup_size: 256
    .name:           _ZN7rocprim17ROCPRIM_400000_NS6detail17trampoline_kernelINS0_14default_configENS1_27scan_by_key_config_selectorIllEEZZNS1_16scan_by_key_implILNS1_25lookback_scan_determinismE0ELb0ES3_PKlN6hipcub16HIPCUB_304000_NS21ConstantInputIteratorIllEEPllNSB_3SumENSB_8EqualityElEE10hipError_tPvRmT2_T3_T4_T5_mT6_T7_P12ihipStream_tbENKUlT_T0_E_clISt17integral_constantIbLb1EESX_EEDaSS_ST_EUlSS_E_NS1_11comp_targetILNS1_3genE3ELNS1_11target_archE908ELNS1_3gpuE7ELNS1_3repE0EEENS1_30default_config_static_selectorELNS0_4arch9wavefront6targetE0EEEvT1_
    .private_segment_fixed_size: 0
    .sgpr_count:     0
    .sgpr_spill_count: 0
    .symbol:         _ZN7rocprim17ROCPRIM_400000_NS6detail17trampoline_kernelINS0_14default_configENS1_27scan_by_key_config_selectorIllEEZZNS1_16scan_by_key_implILNS1_25lookback_scan_determinismE0ELb0ES3_PKlN6hipcub16HIPCUB_304000_NS21ConstantInputIteratorIllEEPllNSB_3SumENSB_8EqualityElEE10hipError_tPvRmT2_T3_T4_T5_mT6_T7_P12ihipStream_tbENKUlT_T0_E_clISt17integral_constantIbLb1EESX_EEDaSS_ST_EUlSS_E_NS1_11comp_targetILNS1_3genE3ELNS1_11target_archE908ELNS1_3gpuE7ELNS1_3repE0EEENS1_30default_config_static_selectorELNS0_4arch9wavefront6targetE0EEEvT1_.kd
    .uniform_work_group_size: 1
    .uses_dynamic_stack: false
    .vgpr_count:     0
    .vgpr_spill_count: 0
    .wavefront_size: 32
    .workgroup_processor_mode: 1
  - .args:
      - .offset:         0
        .size:           144
        .value_kind:     by_value
    .group_segment_fixed_size: 0
    .kernarg_segment_align: 8
    .kernarg_segment_size: 144
    .language:       OpenCL C
    .language_version:
      - 2
      - 0
    .max_flat_workgroup_size: 256
    .name:           _ZN7rocprim17ROCPRIM_400000_NS6detail17trampoline_kernelINS0_14default_configENS1_27scan_by_key_config_selectorIllEEZZNS1_16scan_by_key_implILNS1_25lookback_scan_determinismE0ELb0ES3_PKlN6hipcub16HIPCUB_304000_NS21ConstantInputIteratorIllEEPllNSB_3SumENSB_8EqualityElEE10hipError_tPvRmT2_T3_T4_T5_mT6_T7_P12ihipStream_tbENKUlT_T0_E_clISt17integral_constantIbLb1EESX_EEDaSS_ST_EUlSS_E_NS1_11comp_targetILNS1_3genE2ELNS1_11target_archE906ELNS1_3gpuE6ELNS1_3repE0EEENS1_30default_config_static_selectorELNS0_4arch9wavefront6targetE0EEEvT1_
    .private_segment_fixed_size: 0
    .sgpr_count:     0
    .sgpr_spill_count: 0
    .symbol:         _ZN7rocprim17ROCPRIM_400000_NS6detail17trampoline_kernelINS0_14default_configENS1_27scan_by_key_config_selectorIllEEZZNS1_16scan_by_key_implILNS1_25lookback_scan_determinismE0ELb0ES3_PKlN6hipcub16HIPCUB_304000_NS21ConstantInputIteratorIllEEPllNSB_3SumENSB_8EqualityElEE10hipError_tPvRmT2_T3_T4_T5_mT6_T7_P12ihipStream_tbENKUlT_T0_E_clISt17integral_constantIbLb1EESX_EEDaSS_ST_EUlSS_E_NS1_11comp_targetILNS1_3genE2ELNS1_11target_archE906ELNS1_3gpuE6ELNS1_3repE0EEENS1_30default_config_static_selectorELNS0_4arch9wavefront6targetE0EEEvT1_.kd
    .uniform_work_group_size: 1
    .uses_dynamic_stack: false
    .vgpr_count:     0
    .vgpr_spill_count: 0
    .wavefront_size: 32
    .workgroup_processor_mode: 1
  - .args:
      - .offset:         0
        .size:           144
        .value_kind:     by_value
    .group_segment_fixed_size: 0
    .kernarg_segment_align: 8
    .kernarg_segment_size: 144
    .language:       OpenCL C
    .language_version:
      - 2
      - 0
    .max_flat_workgroup_size: 256
    .name:           _ZN7rocprim17ROCPRIM_400000_NS6detail17trampoline_kernelINS0_14default_configENS1_27scan_by_key_config_selectorIllEEZZNS1_16scan_by_key_implILNS1_25lookback_scan_determinismE0ELb0ES3_PKlN6hipcub16HIPCUB_304000_NS21ConstantInputIteratorIllEEPllNSB_3SumENSB_8EqualityElEE10hipError_tPvRmT2_T3_T4_T5_mT6_T7_P12ihipStream_tbENKUlT_T0_E_clISt17integral_constantIbLb1EESX_EEDaSS_ST_EUlSS_E_NS1_11comp_targetILNS1_3genE10ELNS1_11target_archE1200ELNS1_3gpuE4ELNS1_3repE0EEENS1_30default_config_static_selectorELNS0_4arch9wavefront6targetE0EEEvT1_
    .private_segment_fixed_size: 0
    .sgpr_count:     0
    .sgpr_spill_count: 0
    .symbol:         _ZN7rocprim17ROCPRIM_400000_NS6detail17trampoline_kernelINS0_14default_configENS1_27scan_by_key_config_selectorIllEEZZNS1_16scan_by_key_implILNS1_25lookback_scan_determinismE0ELb0ES3_PKlN6hipcub16HIPCUB_304000_NS21ConstantInputIteratorIllEEPllNSB_3SumENSB_8EqualityElEE10hipError_tPvRmT2_T3_T4_T5_mT6_T7_P12ihipStream_tbENKUlT_T0_E_clISt17integral_constantIbLb1EESX_EEDaSS_ST_EUlSS_E_NS1_11comp_targetILNS1_3genE10ELNS1_11target_archE1200ELNS1_3gpuE4ELNS1_3repE0EEENS1_30default_config_static_selectorELNS0_4arch9wavefront6targetE0EEEvT1_.kd
    .uniform_work_group_size: 1
    .uses_dynamic_stack: false
    .vgpr_count:     0
    .vgpr_spill_count: 0
    .wavefront_size: 32
    .workgroup_processor_mode: 1
  - .args:
      - .offset:         0
        .size:           144
        .value_kind:     by_value
    .group_segment_fixed_size: 0
    .kernarg_segment_align: 8
    .kernarg_segment_size: 144
    .language:       OpenCL C
    .language_version:
      - 2
      - 0
    .max_flat_workgroup_size: 256
    .name:           _ZN7rocprim17ROCPRIM_400000_NS6detail17trampoline_kernelINS0_14default_configENS1_27scan_by_key_config_selectorIllEEZZNS1_16scan_by_key_implILNS1_25lookback_scan_determinismE0ELb0ES3_PKlN6hipcub16HIPCUB_304000_NS21ConstantInputIteratorIllEEPllNSB_3SumENSB_8EqualityElEE10hipError_tPvRmT2_T3_T4_T5_mT6_T7_P12ihipStream_tbENKUlT_T0_E_clISt17integral_constantIbLb1EESX_EEDaSS_ST_EUlSS_E_NS1_11comp_targetILNS1_3genE9ELNS1_11target_archE1100ELNS1_3gpuE3ELNS1_3repE0EEENS1_30default_config_static_selectorELNS0_4arch9wavefront6targetE0EEEvT1_
    .private_segment_fixed_size: 0
    .sgpr_count:     0
    .sgpr_spill_count: 0
    .symbol:         _ZN7rocprim17ROCPRIM_400000_NS6detail17trampoline_kernelINS0_14default_configENS1_27scan_by_key_config_selectorIllEEZZNS1_16scan_by_key_implILNS1_25lookback_scan_determinismE0ELb0ES3_PKlN6hipcub16HIPCUB_304000_NS21ConstantInputIteratorIllEEPllNSB_3SumENSB_8EqualityElEE10hipError_tPvRmT2_T3_T4_T5_mT6_T7_P12ihipStream_tbENKUlT_T0_E_clISt17integral_constantIbLb1EESX_EEDaSS_ST_EUlSS_E_NS1_11comp_targetILNS1_3genE9ELNS1_11target_archE1100ELNS1_3gpuE3ELNS1_3repE0EEENS1_30default_config_static_selectorELNS0_4arch9wavefront6targetE0EEEvT1_.kd
    .uniform_work_group_size: 1
    .uses_dynamic_stack: false
    .vgpr_count:     0
    .vgpr_spill_count: 0
    .wavefront_size: 32
    .workgroup_processor_mode: 1
  - .args:
      - .offset:         0
        .size:           144
        .value_kind:     by_value
    .group_segment_fixed_size: 0
    .kernarg_segment_align: 8
    .kernarg_segment_size: 144
    .language:       OpenCL C
    .language_version:
      - 2
      - 0
    .max_flat_workgroup_size: 256
    .name:           _ZN7rocprim17ROCPRIM_400000_NS6detail17trampoline_kernelINS0_14default_configENS1_27scan_by_key_config_selectorIllEEZZNS1_16scan_by_key_implILNS1_25lookback_scan_determinismE0ELb0ES3_PKlN6hipcub16HIPCUB_304000_NS21ConstantInputIteratorIllEEPllNSB_3SumENSB_8EqualityElEE10hipError_tPvRmT2_T3_T4_T5_mT6_T7_P12ihipStream_tbENKUlT_T0_E_clISt17integral_constantIbLb1EESX_EEDaSS_ST_EUlSS_E_NS1_11comp_targetILNS1_3genE8ELNS1_11target_archE1030ELNS1_3gpuE2ELNS1_3repE0EEENS1_30default_config_static_selectorELNS0_4arch9wavefront6targetE0EEEvT1_
    .private_segment_fixed_size: 0
    .sgpr_count:     0
    .sgpr_spill_count: 0
    .symbol:         _ZN7rocprim17ROCPRIM_400000_NS6detail17trampoline_kernelINS0_14default_configENS1_27scan_by_key_config_selectorIllEEZZNS1_16scan_by_key_implILNS1_25lookback_scan_determinismE0ELb0ES3_PKlN6hipcub16HIPCUB_304000_NS21ConstantInputIteratorIllEEPllNSB_3SumENSB_8EqualityElEE10hipError_tPvRmT2_T3_T4_T5_mT6_T7_P12ihipStream_tbENKUlT_T0_E_clISt17integral_constantIbLb1EESX_EEDaSS_ST_EUlSS_E_NS1_11comp_targetILNS1_3genE8ELNS1_11target_archE1030ELNS1_3gpuE2ELNS1_3repE0EEENS1_30default_config_static_selectorELNS0_4arch9wavefront6targetE0EEEvT1_.kd
    .uniform_work_group_size: 1
    .uses_dynamic_stack: false
    .vgpr_count:     0
    .vgpr_spill_count: 0
    .wavefront_size: 32
    .workgroup_processor_mode: 1
  - .args:
      - .offset:         0
        .size:           24
        .value_kind:     by_value
      - .offset:         24
        .size:           4
        .value_kind:     by_value
      - .offset:         28
        .size:           4
        .value_kind:     by_value
      - .address_space:  global
        .offset:         32
        .size:           8
        .value_kind:     global_buffer
      - .address_space:  global
        .offset:         40
        .size:           8
        .value_kind:     global_buffer
      - .actual_access:  write_only
        .address_space:  global
        .offset:         48
        .size:           8
        .value_kind:     global_buffer
      - .offset:         56
        .size:           8
        .value_kind:     by_value
      - .offset:         64
        .size:           4
        .value_kind:     by_value
      - .offset:         68
        .size:           1
        .value_kind:     by_value
      - .offset:         72
        .size:           4
        .value_kind:     hidden_block_count_x
      - .offset:         76
        .size:           4
        .value_kind:     hidden_block_count_y
      - .offset:         80
        .size:           4
        .value_kind:     hidden_block_count_z
      - .offset:         84
        .size:           2
        .value_kind:     hidden_group_size_x
      - .offset:         86
        .size:           2
        .value_kind:     hidden_group_size_y
      - .offset:         88
        .size:           2
        .value_kind:     hidden_group_size_z
      - .offset:         90
        .size:           2
        .value_kind:     hidden_remainder_x
      - .offset:         92
        .size:           2
        .value_kind:     hidden_remainder_y
      - .offset:         94
        .size:           2
        .value_kind:     hidden_remainder_z
      - .offset:         112
        .size:           8
        .value_kind:     hidden_global_offset_x
      - .offset:         120
        .size:           8
        .value_kind:     hidden_global_offset_y
      - .offset:         128
        .size:           8
        .value_kind:     hidden_global_offset_z
      - .offset:         136
        .size:           2
        .value_kind:     hidden_grid_dims
    .group_segment_fixed_size: 0
    .kernarg_segment_align: 8
    .kernarg_segment_size: 328
    .language:       OpenCL C
    .language_version:
      - 2
      - 0
    .max_flat_workgroup_size: 256
    .name:           _ZN7rocprim17ROCPRIM_400000_NS6detail30init_device_scan_by_key_kernelINS1_19lookback_scan_stateINS0_5tupleIJlbEEELb1ELb0EEEPKljNS1_16block_id_wrapperIjLb0EEEEEvT_jjPNSB_10value_typeET0_PNSt15iterator_traitsISE_E10value_typeEmT1_T2_
    .private_segment_fixed_size: 0
    .sgpr_count:     25
    .sgpr_spill_count: 0
    .symbol:         _ZN7rocprim17ROCPRIM_400000_NS6detail30init_device_scan_by_key_kernelINS1_19lookback_scan_stateINS0_5tupleIJlbEEELb1ELb0EEEPKljNS1_16block_id_wrapperIjLb0EEEEEvT_jjPNSB_10value_typeET0_PNSt15iterator_traitsISE_E10value_typeEmT1_T2_.kd
    .uniform_work_group_size: 1
    .uses_dynamic_stack: false
    .vgpr_count:     8
    .vgpr_spill_count: 0
    .wavefront_size: 32
    .workgroup_processor_mode: 1
  - .args:
      - .offset:         0
        .size:           24
        .value_kind:     by_value
      - .offset:         24
        .size:           4
        .value_kind:     by_value
      - .offset:         28
        .size:           4
        .value_kind:     by_value
      - .address_space:  global
        .offset:         32
        .size:           8
        .value_kind:     global_buffer
      - .offset:         40
        .size:           1
        .value_kind:     by_value
      - .offset:         48
        .size:           4
        .value_kind:     hidden_block_count_x
      - .offset:         52
        .size:           4
        .value_kind:     hidden_block_count_y
      - .offset:         56
        .size:           4
        .value_kind:     hidden_block_count_z
      - .offset:         60
        .size:           2
        .value_kind:     hidden_group_size_x
      - .offset:         62
        .size:           2
        .value_kind:     hidden_group_size_y
      - .offset:         64
        .size:           2
        .value_kind:     hidden_group_size_z
      - .offset:         66
        .size:           2
        .value_kind:     hidden_remainder_x
      - .offset:         68
        .size:           2
        .value_kind:     hidden_remainder_y
      - .offset:         70
        .size:           2
        .value_kind:     hidden_remainder_z
      - .offset:         88
        .size:           8
        .value_kind:     hidden_global_offset_x
      - .offset:         96
        .size:           8
        .value_kind:     hidden_global_offset_y
      - .offset:         104
        .size:           8
        .value_kind:     hidden_global_offset_z
      - .offset:         112
        .size:           2
        .value_kind:     hidden_grid_dims
    .group_segment_fixed_size: 0
    .kernarg_segment_align: 8
    .kernarg_segment_size: 304
    .language:       OpenCL C
    .language_version:
      - 2
      - 0
    .max_flat_workgroup_size: 256
    .name:           _ZN7rocprim17ROCPRIM_400000_NS6detail30init_device_scan_by_key_kernelINS1_19lookback_scan_stateINS0_5tupleIJlbEEELb1ELb0EEENS1_16block_id_wrapperIjLb0EEEEEvT_jjPNS9_10value_typeET0_
    .private_segment_fixed_size: 0
    .sgpr_count:     19
    .sgpr_spill_count: 0
    .symbol:         _ZN7rocprim17ROCPRIM_400000_NS6detail30init_device_scan_by_key_kernelINS1_19lookback_scan_stateINS0_5tupleIJlbEEELb1ELb0EEENS1_16block_id_wrapperIjLb0EEEEEvT_jjPNS9_10value_typeET0_.kd
    .uniform_work_group_size: 1
    .uses_dynamic_stack: false
    .vgpr_count:     5
    .vgpr_spill_count: 0
    .wavefront_size: 32
    .workgroup_processor_mode: 1
  - .args:
      - .offset:         0
        .size:           144
        .value_kind:     by_value
    .group_segment_fixed_size: 0
    .kernarg_segment_align: 8
    .kernarg_segment_size: 144
    .language:       OpenCL C
    .language_version:
      - 2
      - 0
    .max_flat_workgroup_size: 256
    .name:           _ZN7rocprim17ROCPRIM_400000_NS6detail17trampoline_kernelINS0_14default_configENS1_27scan_by_key_config_selectorIllEEZZNS1_16scan_by_key_implILNS1_25lookback_scan_determinismE0ELb0ES3_PKlN6hipcub16HIPCUB_304000_NS21ConstantInputIteratorIllEEPllNSB_3SumENSB_8EqualityElEE10hipError_tPvRmT2_T3_T4_T5_mT6_T7_P12ihipStream_tbENKUlT_T0_E_clISt17integral_constantIbLb1EESW_IbLb0EEEEDaSS_ST_EUlSS_E_NS1_11comp_targetILNS1_3genE0ELNS1_11target_archE4294967295ELNS1_3gpuE0ELNS1_3repE0EEENS1_30default_config_static_selectorELNS0_4arch9wavefront6targetE0EEEvT1_
    .private_segment_fixed_size: 0
    .sgpr_count:     0
    .sgpr_spill_count: 0
    .symbol:         _ZN7rocprim17ROCPRIM_400000_NS6detail17trampoline_kernelINS0_14default_configENS1_27scan_by_key_config_selectorIllEEZZNS1_16scan_by_key_implILNS1_25lookback_scan_determinismE0ELb0ES3_PKlN6hipcub16HIPCUB_304000_NS21ConstantInputIteratorIllEEPllNSB_3SumENSB_8EqualityElEE10hipError_tPvRmT2_T3_T4_T5_mT6_T7_P12ihipStream_tbENKUlT_T0_E_clISt17integral_constantIbLb1EESW_IbLb0EEEEDaSS_ST_EUlSS_E_NS1_11comp_targetILNS1_3genE0ELNS1_11target_archE4294967295ELNS1_3gpuE0ELNS1_3repE0EEENS1_30default_config_static_selectorELNS0_4arch9wavefront6targetE0EEEvT1_.kd
    .uniform_work_group_size: 1
    .uses_dynamic_stack: false
    .vgpr_count:     0
    .vgpr_spill_count: 0
    .wavefront_size: 32
    .workgroup_processor_mode: 1
  - .args:
      - .offset:         0
        .size:           144
        .value_kind:     by_value
    .group_segment_fixed_size: 0
    .kernarg_segment_align: 8
    .kernarg_segment_size: 144
    .language:       OpenCL C
    .language_version:
      - 2
      - 0
    .max_flat_workgroup_size: 256
    .name:           _ZN7rocprim17ROCPRIM_400000_NS6detail17trampoline_kernelINS0_14default_configENS1_27scan_by_key_config_selectorIllEEZZNS1_16scan_by_key_implILNS1_25lookback_scan_determinismE0ELb0ES3_PKlN6hipcub16HIPCUB_304000_NS21ConstantInputIteratorIllEEPllNSB_3SumENSB_8EqualityElEE10hipError_tPvRmT2_T3_T4_T5_mT6_T7_P12ihipStream_tbENKUlT_T0_E_clISt17integral_constantIbLb1EESW_IbLb0EEEEDaSS_ST_EUlSS_E_NS1_11comp_targetILNS1_3genE10ELNS1_11target_archE1201ELNS1_3gpuE5ELNS1_3repE0EEENS1_30default_config_static_selectorELNS0_4arch9wavefront6targetE0EEEvT1_
    .private_segment_fixed_size: 0
    .sgpr_count:     0
    .sgpr_spill_count: 0
    .symbol:         _ZN7rocprim17ROCPRIM_400000_NS6detail17trampoline_kernelINS0_14default_configENS1_27scan_by_key_config_selectorIllEEZZNS1_16scan_by_key_implILNS1_25lookback_scan_determinismE0ELb0ES3_PKlN6hipcub16HIPCUB_304000_NS21ConstantInputIteratorIllEEPllNSB_3SumENSB_8EqualityElEE10hipError_tPvRmT2_T3_T4_T5_mT6_T7_P12ihipStream_tbENKUlT_T0_E_clISt17integral_constantIbLb1EESW_IbLb0EEEEDaSS_ST_EUlSS_E_NS1_11comp_targetILNS1_3genE10ELNS1_11target_archE1201ELNS1_3gpuE5ELNS1_3repE0EEENS1_30default_config_static_selectorELNS0_4arch9wavefront6targetE0EEEvT1_.kd
    .uniform_work_group_size: 1
    .uses_dynamic_stack: false
    .vgpr_count:     0
    .vgpr_spill_count: 0
    .wavefront_size: 32
    .workgroup_processor_mode: 1
  - .args:
      - .offset:         0
        .size:           144
        .value_kind:     by_value
    .group_segment_fixed_size: 0
    .kernarg_segment_align: 8
    .kernarg_segment_size: 144
    .language:       OpenCL C
    .language_version:
      - 2
      - 0
    .max_flat_workgroup_size: 256
    .name:           _ZN7rocprim17ROCPRIM_400000_NS6detail17trampoline_kernelINS0_14default_configENS1_27scan_by_key_config_selectorIllEEZZNS1_16scan_by_key_implILNS1_25lookback_scan_determinismE0ELb0ES3_PKlN6hipcub16HIPCUB_304000_NS21ConstantInputIteratorIllEEPllNSB_3SumENSB_8EqualityElEE10hipError_tPvRmT2_T3_T4_T5_mT6_T7_P12ihipStream_tbENKUlT_T0_E_clISt17integral_constantIbLb1EESW_IbLb0EEEEDaSS_ST_EUlSS_E_NS1_11comp_targetILNS1_3genE5ELNS1_11target_archE942ELNS1_3gpuE9ELNS1_3repE0EEENS1_30default_config_static_selectorELNS0_4arch9wavefront6targetE0EEEvT1_
    .private_segment_fixed_size: 0
    .sgpr_count:     0
    .sgpr_spill_count: 0
    .symbol:         _ZN7rocprim17ROCPRIM_400000_NS6detail17trampoline_kernelINS0_14default_configENS1_27scan_by_key_config_selectorIllEEZZNS1_16scan_by_key_implILNS1_25lookback_scan_determinismE0ELb0ES3_PKlN6hipcub16HIPCUB_304000_NS21ConstantInputIteratorIllEEPllNSB_3SumENSB_8EqualityElEE10hipError_tPvRmT2_T3_T4_T5_mT6_T7_P12ihipStream_tbENKUlT_T0_E_clISt17integral_constantIbLb1EESW_IbLb0EEEEDaSS_ST_EUlSS_E_NS1_11comp_targetILNS1_3genE5ELNS1_11target_archE942ELNS1_3gpuE9ELNS1_3repE0EEENS1_30default_config_static_selectorELNS0_4arch9wavefront6targetE0EEEvT1_.kd
    .uniform_work_group_size: 1
    .uses_dynamic_stack: false
    .vgpr_count:     0
    .vgpr_spill_count: 0
    .wavefront_size: 32
    .workgroup_processor_mode: 1
  - .args:
      - .offset:         0
        .size:           144
        .value_kind:     by_value
    .group_segment_fixed_size: 0
    .kernarg_segment_align: 8
    .kernarg_segment_size: 144
    .language:       OpenCL C
    .language_version:
      - 2
      - 0
    .max_flat_workgroup_size: 64
    .name:           _ZN7rocprim17ROCPRIM_400000_NS6detail17trampoline_kernelINS0_14default_configENS1_27scan_by_key_config_selectorIllEEZZNS1_16scan_by_key_implILNS1_25lookback_scan_determinismE0ELb0ES3_PKlN6hipcub16HIPCUB_304000_NS21ConstantInputIteratorIllEEPllNSB_3SumENSB_8EqualityElEE10hipError_tPvRmT2_T3_T4_T5_mT6_T7_P12ihipStream_tbENKUlT_T0_E_clISt17integral_constantIbLb1EESW_IbLb0EEEEDaSS_ST_EUlSS_E_NS1_11comp_targetILNS1_3genE4ELNS1_11target_archE910ELNS1_3gpuE8ELNS1_3repE0EEENS1_30default_config_static_selectorELNS0_4arch9wavefront6targetE0EEEvT1_
    .private_segment_fixed_size: 0
    .sgpr_count:     0
    .sgpr_spill_count: 0
    .symbol:         _ZN7rocprim17ROCPRIM_400000_NS6detail17trampoline_kernelINS0_14default_configENS1_27scan_by_key_config_selectorIllEEZZNS1_16scan_by_key_implILNS1_25lookback_scan_determinismE0ELb0ES3_PKlN6hipcub16HIPCUB_304000_NS21ConstantInputIteratorIllEEPllNSB_3SumENSB_8EqualityElEE10hipError_tPvRmT2_T3_T4_T5_mT6_T7_P12ihipStream_tbENKUlT_T0_E_clISt17integral_constantIbLb1EESW_IbLb0EEEEDaSS_ST_EUlSS_E_NS1_11comp_targetILNS1_3genE4ELNS1_11target_archE910ELNS1_3gpuE8ELNS1_3repE0EEENS1_30default_config_static_selectorELNS0_4arch9wavefront6targetE0EEEvT1_.kd
    .uniform_work_group_size: 1
    .uses_dynamic_stack: false
    .vgpr_count:     0
    .vgpr_spill_count: 0
    .wavefront_size: 32
    .workgroup_processor_mode: 1
  - .args:
      - .offset:         0
        .size:           144
        .value_kind:     by_value
    .group_segment_fixed_size: 0
    .kernarg_segment_align: 8
    .kernarg_segment_size: 144
    .language:       OpenCL C
    .language_version:
      - 2
      - 0
    .max_flat_workgroup_size: 256
    .name:           _ZN7rocprim17ROCPRIM_400000_NS6detail17trampoline_kernelINS0_14default_configENS1_27scan_by_key_config_selectorIllEEZZNS1_16scan_by_key_implILNS1_25lookback_scan_determinismE0ELb0ES3_PKlN6hipcub16HIPCUB_304000_NS21ConstantInputIteratorIllEEPllNSB_3SumENSB_8EqualityElEE10hipError_tPvRmT2_T3_T4_T5_mT6_T7_P12ihipStream_tbENKUlT_T0_E_clISt17integral_constantIbLb1EESW_IbLb0EEEEDaSS_ST_EUlSS_E_NS1_11comp_targetILNS1_3genE3ELNS1_11target_archE908ELNS1_3gpuE7ELNS1_3repE0EEENS1_30default_config_static_selectorELNS0_4arch9wavefront6targetE0EEEvT1_
    .private_segment_fixed_size: 0
    .sgpr_count:     0
    .sgpr_spill_count: 0
    .symbol:         _ZN7rocprim17ROCPRIM_400000_NS6detail17trampoline_kernelINS0_14default_configENS1_27scan_by_key_config_selectorIllEEZZNS1_16scan_by_key_implILNS1_25lookback_scan_determinismE0ELb0ES3_PKlN6hipcub16HIPCUB_304000_NS21ConstantInputIteratorIllEEPllNSB_3SumENSB_8EqualityElEE10hipError_tPvRmT2_T3_T4_T5_mT6_T7_P12ihipStream_tbENKUlT_T0_E_clISt17integral_constantIbLb1EESW_IbLb0EEEEDaSS_ST_EUlSS_E_NS1_11comp_targetILNS1_3genE3ELNS1_11target_archE908ELNS1_3gpuE7ELNS1_3repE0EEENS1_30default_config_static_selectorELNS0_4arch9wavefront6targetE0EEEvT1_.kd
    .uniform_work_group_size: 1
    .uses_dynamic_stack: false
    .vgpr_count:     0
    .vgpr_spill_count: 0
    .wavefront_size: 32
    .workgroup_processor_mode: 1
  - .args:
      - .offset:         0
        .size:           144
        .value_kind:     by_value
    .group_segment_fixed_size: 0
    .kernarg_segment_align: 8
    .kernarg_segment_size: 144
    .language:       OpenCL C
    .language_version:
      - 2
      - 0
    .max_flat_workgroup_size: 256
    .name:           _ZN7rocprim17ROCPRIM_400000_NS6detail17trampoline_kernelINS0_14default_configENS1_27scan_by_key_config_selectorIllEEZZNS1_16scan_by_key_implILNS1_25lookback_scan_determinismE0ELb0ES3_PKlN6hipcub16HIPCUB_304000_NS21ConstantInputIteratorIllEEPllNSB_3SumENSB_8EqualityElEE10hipError_tPvRmT2_T3_T4_T5_mT6_T7_P12ihipStream_tbENKUlT_T0_E_clISt17integral_constantIbLb1EESW_IbLb0EEEEDaSS_ST_EUlSS_E_NS1_11comp_targetILNS1_3genE2ELNS1_11target_archE906ELNS1_3gpuE6ELNS1_3repE0EEENS1_30default_config_static_selectorELNS0_4arch9wavefront6targetE0EEEvT1_
    .private_segment_fixed_size: 0
    .sgpr_count:     0
    .sgpr_spill_count: 0
    .symbol:         _ZN7rocprim17ROCPRIM_400000_NS6detail17trampoline_kernelINS0_14default_configENS1_27scan_by_key_config_selectorIllEEZZNS1_16scan_by_key_implILNS1_25lookback_scan_determinismE0ELb0ES3_PKlN6hipcub16HIPCUB_304000_NS21ConstantInputIteratorIllEEPllNSB_3SumENSB_8EqualityElEE10hipError_tPvRmT2_T3_T4_T5_mT6_T7_P12ihipStream_tbENKUlT_T0_E_clISt17integral_constantIbLb1EESW_IbLb0EEEEDaSS_ST_EUlSS_E_NS1_11comp_targetILNS1_3genE2ELNS1_11target_archE906ELNS1_3gpuE6ELNS1_3repE0EEENS1_30default_config_static_selectorELNS0_4arch9wavefront6targetE0EEEvT1_.kd
    .uniform_work_group_size: 1
    .uses_dynamic_stack: false
    .vgpr_count:     0
    .vgpr_spill_count: 0
    .wavefront_size: 32
    .workgroup_processor_mode: 1
  - .args:
      - .offset:         0
        .size:           144
        .value_kind:     by_value
    .group_segment_fixed_size: 0
    .kernarg_segment_align: 8
    .kernarg_segment_size: 144
    .language:       OpenCL C
    .language_version:
      - 2
      - 0
    .max_flat_workgroup_size: 256
    .name:           _ZN7rocprim17ROCPRIM_400000_NS6detail17trampoline_kernelINS0_14default_configENS1_27scan_by_key_config_selectorIllEEZZNS1_16scan_by_key_implILNS1_25lookback_scan_determinismE0ELb0ES3_PKlN6hipcub16HIPCUB_304000_NS21ConstantInputIteratorIllEEPllNSB_3SumENSB_8EqualityElEE10hipError_tPvRmT2_T3_T4_T5_mT6_T7_P12ihipStream_tbENKUlT_T0_E_clISt17integral_constantIbLb1EESW_IbLb0EEEEDaSS_ST_EUlSS_E_NS1_11comp_targetILNS1_3genE10ELNS1_11target_archE1200ELNS1_3gpuE4ELNS1_3repE0EEENS1_30default_config_static_selectorELNS0_4arch9wavefront6targetE0EEEvT1_
    .private_segment_fixed_size: 0
    .sgpr_count:     0
    .sgpr_spill_count: 0
    .symbol:         _ZN7rocprim17ROCPRIM_400000_NS6detail17trampoline_kernelINS0_14default_configENS1_27scan_by_key_config_selectorIllEEZZNS1_16scan_by_key_implILNS1_25lookback_scan_determinismE0ELb0ES3_PKlN6hipcub16HIPCUB_304000_NS21ConstantInputIteratorIllEEPllNSB_3SumENSB_8EqualityElEE10hipError_tPvRmT2_T3_T4_T5_mT6_T7_P12ihipStream_tbENKUlT_T0_E_clISt17integral_constantIbLb1EESW_IbLb0EEEEDaSS_ST_EUlSS_E_NS1_11comp_targetILNS1_3genE10ELNS1_11target_archE1200ELNS1_3gpuE4ELNS1_3repE0EEENS1_30default_config_static_selectorELNS0_4arch9wavefront6targetE0EEEvT1_.kd
    .uniform_work_group_size: 1
    .uses_dynamic_stack: false
    .vgpr_count:     0
    .vgpr_spill_count: 0
    .wavefront_size: 32
    .workgroup_processor_mode: 1
  - .args:
      - .offset:         0
        .size:           144
        .value_kind:     by_value
    .group_segment_fixed_size: 0
    .kernarg_segment_align: 8
    .kernarg_segment_size: 144
    .language:       OpenCL C
    .language_version:
      - 2
      - 0
    .max_flat_workgroup_size: 256
    .name:           _ZN7rocprim17ROCPRIM_400000_NS6detail17trampoline_kernelINS0_14default_configENS1_27scan_by_key_config_selectorIllEEZZNS1_16scan_by_key_implILNS1_25lookback_scan_determinismE0ELb0ES3_PKlN6hipcub16HIPCUB_304000_NS21ConstantInputIteratorIllEEPllNSB_3SumENSB_8EqualityElEE10hipError_tPvRmT2_T3_T4_T5_mT6_T7_P12ihipStream_tbENKUlT_T0_E_clISt17integral_constantIbLb1EESW_IbLb0EEEEDaSS_ST_EUlSS_E_NS1_11comp_targetILNS1_3genE9ELNS1_11target_archE1100ELNS1_3gpuE3ELNS1_3repE0EEENS1_30default_config_static_selectorELNS0_4arch9wavefront6targetE0EEEvT1_
    .private_segment_fixed_size: 0
    .sgpr_count:     0
    .sgpr_spill_count: 0
    .symbol:         _ZN7rocprim17ROCPRIM_400000_NS6detail17trampoline_kernelINS0_14default_configENS1_27scan_by_key_config_selectorIllEEZZNS1_16scan_by_key_implILNS1_25lookback_scan_determinismE0ELb0ES3_PKlN6hipcub16HIPCUB_304000_NS21ConstantInputIteratorIllEEPllNSB_3SumENSB_8EqualityElEE10hipError_tPvRmT2_T3_T4_T5_mT6_T7_P12ihipStream_tbENKUlT_T0_E_clISt17integral_constantIbLb1EESW_IbLb0EEEEDaSS_ST_EUlSS_E_NS1_11comp_targetILNS1_3genE9ELNS1_11target_archE1100ELNS1_3gpuE3ELNS1_3repE0EEENS1_30default_config_static_selectorELNS0_4arch9wavefront6targetE0EEEvT1_.kd
    .uniform_work_group_size: 1
    .uses_dynamic_stack: false
    .vgpr_count:     0
    .vgpr_spill_count: 0
    .wavefront_size: 32
    .workgroup_processor_mode: 1
  - .args:
      - .offset:         0
        .size:           144
        .value_kind:     by_value
    .group_segment_fixed_size: 0
    .kernarg_segment_align: 8
    .kernarg_segment_size: 144
    .language:       OpenCL C
    .language_version:
      - 2
      - 0
    .max_flat_workgroup_size: 256
    .name:           _ZN7rocprim17ROCPRIM_400000_NS6detail17trampoline_kernelINS0_14default_configENS1_27scan_by_key_config_selectorIllEEZZNS1_16scan_by_key_implILNS1_25lookback_scan_determinismE0ELb0ES3_PKlN6hipcub16HIPCUB_304000_NS21ConstantInputIteratorIllEEPllNSB_3SumENSB_8EqualityElEE10hipError_tPvRmT2_T3_T4_T5_mT6_T7_P12ihipStream_tbENKUlT_T0_E_clISt17integral_constantIbLb1EESW_IbLb0EEEEDaSS_ST_EUlSS_E_NS1_11comp_targetILNS1_3genE8ELNS1_11target_archE1030ELNS1_3gpuE2ELNS1_3repE0EEENS1_30default_config_static_selectorELNS0_4arch9wavefront6targetE0EEEvT1_
    .private_segment_fixed_size: 0
    .sgpr_count:     0
    .sgpr_spill_count: 0
    .symbol:         _ZN7rocprim17ROCPRIM_400000_NS6detail17trampoline_kernelINS0_14default_configENS1_27scan_by_key_config_selectorIllEEZZNS1_16scan_by_key_implILNS1_25lookback_scan_determinismE0ELb0ES3_PKlN6hipcub16HIPCUB_304000_NS21ConstantInputIteratorIllEEPllNSB_3SumENSB_8EqualityElEE10hipError_tPvRmT2_T3_T4_T5_mT6_T7_P12ihipStream_tbENKUlT_T0_E_clISt17integral_constantIbLb1EESW_IbLb0EEEEDaSS_ST_EUlSS_E_NS1_11comp_targetILNS1_3genE8ELNS1_11target_archE1030ELNS1_3gpuE2ELNS1_3repE0EEENS1_30default_config_static_selectorELNS0_4arch9wavefront6targetE0EEEvT1_.kd
    .uniform_work_group_size: 1
    .uses_dynamic_stack: false
    .vgpr_count:     0
    .vgpr_spill_count: 0
    .wavefront_size: 32
    .workgroup_processor_mode: 1
  - .args:
      - .offset:         0
        .size:           24
        .value_kind:     by_value
      - .offset:         24
        .size:           4
        .value_kind:     by_value
      - .offset:         28
        .size:           4
        .value_kind:     by_value
      - .address_space:  global
        .offset:         32
        .size:           8
        .value_kind:     global_buffer
      - .address_space:  global
        .offset:         40
        .size:           8
        .value_kind:     global_buffer
      - .actual_access:  write_only
        .address_space:  global
        .offset:         48
        .size:           8
        .value_kind:     global_buffer
      - .offset:         56
        .size:           8
        .value_kind:     by_value
      - .offset:         64
        .size:           4
        .value_kind:     by_value
      - .address_space:  global
        .offset:         72
        .size:           8
        .value_kind:     global_buffer
      - .offset:         80
        .size:           4
        .value_kind:     hidden_block_count_x
      - .offset:         84
        .size:           4
        .value_kind:     hidden_block_count_y
      - .offset:         88
        .size:           4
        .value_kind:     hidden_block_count_z
      - .offset:         92
        .size:           2
        .value_kind:     hidden_group_size_x
      - .offset:         94
        .size:           2
        .value_kind:     hidden_group_size_y
      - .offset:         96
        .size:           2
        .value_kind:     hidden_group_size_z
      - .offset:         98
        .size:           2
        .value_kind:     hidden_remainder_x
      - .offset:         100
        .size:           2
        .value_kind:     hidden_remainder_y
      - .offset:         102
        .size:           2
        .value_kind:     hidden_remainder_z
      - .offset:         120
        .size:           8
        .value_kind:     hidden_global_offset_x
      - .offset:         128
        .size:           8
        .value_kind:     hidden_global_offset_y
      - .offset:         136
        .size:           8
        .value_kind:     hidden_global_offset_z
      - .offset:         144
        .size:           2
        .value_kind:     hidden_grid_dims
    .group_segment_fixed_size: 0
    .kernarg_segment_align: 8
    .kernarg_segment_size: 336
    .language:       OpenCL C
    .language_version:
      - 2
      - 0
    .max_flat_workgroup_size: 256
    .name:           _ZN7rocprim17ROCPRIM_400000_NS6detail30init_device_scan_by_key_kernelINS1_19lookback_scan_stateINS0_5tupleIJlbEEELb0ELb0EEEPKljNS1_16block_id_wrapperIjLb1EEEEEvT_jjPNSB_10value_typeET0_PNSt15iterator_traitsISE_E10value_typeEmT1_T2_
    .private_segment_fixed_size: 0
    .sgpr_count:     24
    .sgpr_spill_count: 0
    .symbol:         _ZN7rocprim17ROCPRIM_400000_NS6detail30init_device_scan_by_key_kernelINS1_19lookback_scan_stateINS0_5tupleIJlbEEELb0ELb0EEEPKljNS1_16block_id_wrapperIjLb1EEEEEvT_jjPNSB_10value_typeET0_PNSt15iterator_traitsISE_E10value_typeEmT1_T2_.kd
    .uniform_work_group_size: 1
    .uses_dynamic_stack: false
    .vgpr_count:     8
    .vgpr_spill_count: 0
    .wavefront_size: 32
    .workgroup_processor_mode: 1
  - .args:
      - .offset:         0
        .size:           24
        .value_kind:     by_value
      - .offset:         24
        .size:           4
        .value_kind:     by_value
      - .offset:         28
        .size:           4
        .value_kind:     by_value
      - .address_space:  global
        .offset:         32
        .size:           8
        .value_kind:     global_buffer
      - .address_space:  global
        .offset:         40
        .size:           8
        .value_kind:     global_buffer
      - .offset:         48
        .size:           4
        .value_kind:     hidden_block_count_x
      - .offset:         52
        .size:           4
        .value_kind:     hidden_block_count_y
      - .offset:         56
        .size:           4
        .value_kind:     hidden_block_count_z
      - .offset:         60
        .size:           2
        .value_kind:     hidden_group_size_x
      - .offset:         62
        .size:           2
        .value_kind:     hidden_group_size_y
      - .offset:         64
        .size:           2
        .value_kind:     hidden_group_size_z
      - .offset:         66
        .size:           2
        .value_kind:     hidden_remainder_x
      - .offset:         68
        .size:           2
        .value_kind:     hidden_remainder_y
      - .offset:         70
        .size:           2
        .value_kind:     hidden_remainder_z
      - .offset:         88
        .size:           8
        .value_kind:     hidden_global_offset_x
      - .offset:         96
        .size:           8
        .value_kind:     hidden_global_offset_y
      - .offset:         104
        .size:           8
        .value_kind:     hidden_global_offset_z
      - .offset:         112
        .size:           2
        .value_kind:     hidden_grid_dims
    .group_segment_fixed_size: 0
    .kernarg_segment_align: 8
    .kernarg_segment_size: 304
    .language:       OpenCL C
    .language_version:
      - 2
      - 0
    .max_flat_workgroup_size: 256
    .name:           _ZN7rocprim17ROCPRIM_400000_NS6detail30init_device_scan_by_key_kernelINS1_19lookback_scan_stateINS0_5tupleIJlbEEELb0ELb0EEENS1_16block_id_wrapperIjLb1EEEEEvT_jjPNS9_10value_typeET0_
    .private_segment_fixed_size: 0
    .sgpr_count:     20
    .sgpr_spill_count: 0
    .symbol:         _ZN7rocprim17ROCPRIM_400000_NS6detail30init_device_scan_by_key_kernelINS1_19lookback_scan_stateINS0_5tupleIJlbEEELb0ELb0EEENS1_16block_id_wrapperIjLb1EEEEEvT_jjPNS9_10value_typeET0_.kd
    .uniform_work_group_size: 1
    .uses_dynamic_stack: false
    .vgpr_count:     5
    .vgpr_spill_count: 0
    .wavefront_size: 32
    .workgroup_processor_mode: 1
  - .args:
      - .offset:         0
        .size:           144
        .value_kind:     by_value
    .group_segment_fixed_size: 0
    .kernarg_segment_align: 8
    .kernarg_segment_size: 144
    .language:       OpenCL C
    .language_version:
      - 2
      - 0
    .max_flat_workgroup_size: 256
    .name:           _ZN7rocprim17ROCPRIM_400000_NS6detail17trampoline_kernelINS0_14default_configENS1_27scan_by_key_config_selectorIllEEZZNS1_16scan_by_key_implILNS1_25lookback_scan_determinismE0ELb0ES3_PKlN6hipcub16HIPCUB_304000_NS21ConstantInputIteratorIllEEPllNSB_3SumENSB_8EqualityElEE10hipError_tPvRmT2_T3_T4_T5_mT6_T7_P12ihipStream_tbENKUlT_T0_E_clISt17integral_constantIbLb0EESW_IbLb1EEEEDaSS_ST_EUlSS_E_NS1_11comp_targetILNS1_3genE0ELNS1_11target_archE4294967295ELNS1_3gpuE0ELNS1_3repE0EEENS1_30default_config_static_selectorELNS0_4arch9wavefront6targetE0EEEvT1_
    .private_segment_fixed_size: 0
    .sgpr_count:     0
    .sgpr_spill_count: 0
    .symbol:         _ZN7rocprim17ROCPRIM_400000_NS6detail17trampoline_kernelINS0_14default_configENS1_27scan_by_key_config_selectorIllEEZZNS1_16scan_by_key_implILNS1_25lookback_scan_determinismE0ELb0ES3_PKlN6hipcub16HIPCUB_304000_NS21ConstantInputIteratorIllEEPllNSB_3SumENSB_8EqualityElEE10hipError_tPvRmT2_T3_T4_T5_mT6_T7_P12ihipStream_tbENKUlT_T0_E_clISt17integral_constantIbLb0EESW_IbLb1EEEEDaSS_ST_EUlSS_E_NS1_11comp_targetILNS1_3genE0ELNS1_11target_archE4294967295ELNS1_3gpuE0ELNS1_3repE0EEENS1_30default_config_static_selectorELNS0_4arch9wavefront6targetE0EEEvT1_.kd
    .uniform_work_group_size: 1
    .uses_dynamic_stack: false
    .vgpr_count:     0
    .vgpr_spill_count: 0
    .wavefront_size: 32
    .workgroup_processor_mode: 1
  - .args:
      - .offset:         0
        .size:           144
        .value_kind:     by_value
    .group_segment_fixed_size: 0
    .kernarg_segment_align: 8
    .kernarg_segment_size: 144
    .language:       OpenCL C
    .language_version:
      - 2
      - 0
    .max_flat_workgroup_size: 256
    .name:           _ZN7rocprim17ROCPRIM_400000_NS6detail17trampoline_kernelINS0_14default_configENS1_27scan_by_key_config_selectorIllEEZZNS1_16scan_by_key_implILNS1_25lookback_scan_determinismE0ELb0ES3_PKlN6hipcub16HIPCUB_304000_NS21ConstantInputIteratorIllEEPllNSB_3SumENSB_8EqualityElEE10hipError_tPvRmT2_T3_T4_T5_mT6_T7_P12ihipStream_tbENKUlT_T0_E_clISt17integral_constantIbLb0EESW_IbLb1EEEEDaSS_ST_EUlSS_E_NS1_11comp_targetILNS1_3genE10ELNS1_11target_archE1201ELNS1_3gpuE5ELNS1_3repE0EEENS1_30default_config_static_selectorELNS0_4arch9wavefront6targetE0EEEvT1_
    .private_segment_fixed_size: 0
    .sgpr_count:     0
    .sgpr_spill_count: 0
    .symbol:         _ZN7rocprim17ROCPRIM_400000_NS6detail17trampoline_kernelINS0_14default_configENS1_27scan_by_key_config_selectorIllEEZZNS1_16scan_by_key_implILNS1_25lookback_scan_determinismE0ELb0ES3_PKlN6hipcub16HIPCUB_304000_NS21ConstantInputIteratorIllEEPllNSB_3SumENSB_8EqualityElEE10hipError_tPvRmT2_T3_T4_T5_mT6_T7_P12ihipStream_tbENKUlT_T0_E_clISt17integral_constantIbLb0EESW_IbLb1EEEEDaSS_ST_EUlSS_E_NS1_11comp_targetILNS1_3genE10ELNS1_11target_archE1201ELNS1_3gpuE5ELNS1_3repE0EEENS1_30default_config_static_selectorELNS0_4arch9wavefront6targetE0EEEvT1_.kd
    .uniform_work_group_size: 1
    .uses_dynamic_stack: false
    .vgpr_count:     0
    .vgpr_spill_count: 0
    .wavefront_size: 32
    .workgroup_processor_mode: 1
  - .args:
      - .offset:         0
        .size:           144
        .value_kind:     by_value
    .group_segment_fixed_size: 0
    .kernarg_segment_align: 8
    .kernarg_segment_size: 144
    .language:       OpenCL C
    .language_version:
      - 2
      - 0
    .max_flat_workgroup_size: 256
    .name:           _ZN7rocprim17ROCPRIM_400000_NS6detail17trampoline_kernelINS0_14default_configENS1_27scan_by_key_config_selectorIllEEZZNS1_16scan_by_key_implILNS1_25lookback_scan_determinismE0ELb0ES3_PKlN6hipcub16HIPCUB_304000_NS21ConstantInputIteratorIllEEPllNSB_3SumENSB_8EqualityElEE10hipError_tPvRmT2_T3_T4_T5_mT6_T7_P12ihipStream_tbENKUlT_T0_E_clISt17integral_constantIbLb0EESW_IbLb1EEEEDaSS_ST_EUlSS_E_NS1_11comp_targetILNS1_3genE5ELNS1_11target_archE942ELNS1_3gpuE9ELNS1_3repE0EEENS1_30default_config_static_selectorELNS0_4arch9wavefront6targetE0EEEvT1_
    .private_segment_fixed_size: 0
    .sgpr_count:     0
    .sgpr_spill_count: 0
    .symbol:         _ZN7rocprim17ROCPRIM_400000_NS6detail17trampoline_kernelINS0_14default_configENS1_27scan_by_key_config_selectorIllEEZZNS1_16scan_by_key_implILNS1_25lookback_scan_determinismE0ELb0ES3_PKlN6hipcub16HIPCUB_304000_NS21ConstantInputIteratorIllEEPllNSB_3SumENSB_8EqualityElEE10hipError_tPvRmT2_T3_T4_T5_mT6_T7_P12ihipStream_tbENKUlT_T0_E_clISt17integral_constantIbLb0EESW_IbLb1EEEEDaSS_ST_EUlSS_E_NS1_11comp_targetILNS1_3genE5ELNS1_11target_archE942ELNS1_3gpuE9ELNS1_3repE0EEENS1_30default_config_static_selectorELNS0_4arch9wavefront6targetE0EEEvT1_.kd
    .uniform_work_group_size: 1
    .uses_dynamic_stack: false
    .vgpr_count:     0
    .vgpr_spill_count: 0
    .wavefront_size: 32
    .workgroup_processor_mode: 1
  - .args:
      - .offset:         0
        .size:           144
        .value_kind:     by_value
    .group_segment_fixed_size: 0
    .kernarg_segment_align: 8
    .kernarg_segment_size: 144
    .language:       OpenCL C
    .language_version:
      - 2
      - 0
    .max_flat_workgroup_size: 64
    .name:           _ZN7rocprim17ROCPRIM_400000_NS6detail17trampoline_kernelINS0_14default_configENS1_27scan_by_key_config_selectorIllEEZZNS1_16scan_by_key_implILNS1_25lookback_scan_determinismE0ELb0ES3_PKlN6hipcub16HIPCUB_304000_NS21ConstantInputIteratorIllEEPllNSB_3SumENSB_8EqualityElEE10hipError_tPvRmT2_T3_T4_T5_mT6_T7_P12ihipStream_tbENKUlT_T0_E_clISt17integral_constantIbLb0EESW_IbLb1EEEEDaSS_ST_EUlSS_E_NS1_11comp_targetILNS1_3genE4ELNS1_11target_archE910ELNS1_3gpuE8ELNS1_3repE0EEENS1_30default_config_static_selectorELNS0_4arch9wavefront6targetE0EEEvT1_
    .private_segment_fixed_size: 0
    .sgpr_count:     0
    .sgpr_spill_count: 0
    .symbol:         _ZN7rocprim17ROCPRIM_400000_NS6detail17trampoline_kernelINS0_14default_configENS1_27scan_by_key_config_selectorIllEEZZNS1_16scan_by_key_implILNS1_25lookback_scan_determinismE0ELb0ES3_PKlN6hipcub16HIPCUB_304000_NS21ConstantInputIteratorIllEEPllNSB_3SumENSB_8EqualityElEE10hipError_tPvRmT2_T3_T4_T5_mT6_T7_P12ihipStream_tbENKUlT_T0_E_clISt17integral_constantIbLb0EESW_IbLb1EEEEDaSS_ST_EUlSS_E_NS1_11comp_targetILNS1_3genE4ELNS1_11target_archE910ELNS1_3gpuE8ELNS1_3repE0EEENS1_30default_config_static_selectorELNS0_4arch9wavefront6targetE0EEEvT1_.kd
    .uniform_work_group_size: 1
    .uses_dynamic_stack: false
    .vgpr_count:     0
    .vgpr_spill_count: 0
    .wavefront_size: 32
    .workgroup_processor_mode: 1
  - .args:
      - .offset:         0
        .size:           144
        .value_kind:     by_value
    .group_segment_fixed_size: 0
    .kernarg_segment_align: 8
    .kernarg_segment_size: 144
    .language:       OpenCL C
    .language_version:
      - 2
      - 0
    .max_flat_workgroup_size: 256
    .name:           _ZN7rocprim17ROCPRIM_400000_NS6detail17trampoline_kernelINS0_14default_configENS1_27scan_by_key_config_selectorIllEEZZNS1_16scan_by_key_implILNS1_25lookback_scan_determinismE0ELb0ES3_PKlN6hipcub16HIPCUB_304000_NS21ConstantInputIteratorIllEEPllNSB_3SumENSB_8EqualityElEE10hipError_tPvRmT2_T3_T4_T5_mT6_T7_P12ihipStream_tbENKUlT_T0_E_clISt17integral_constantIbLb0EESW_IbLb1EEEEDaSS_ST_EUlSS_E_NS1_11comp_targetILNS1_3genE3ELNS1_11target_archE908ELNS1_3gpuE7ELNS1_3repE0EEENS1_30default_config_static_selectorELNS0_4arch9wavefront6targetE0EEEvT1_
    .private_segment_fixed_size: 0
    .sgpr_count:     0
    .sgpr_spill_count: 0
    .symbol:         _ZN7rocprim17ROCPRIM_400000_NS6detail17trampoline_kernelINS0_14default_configENS1_27scan_by_key_config_selectorIllEEZZNS1_16scan_by_key_implILNS1_25lookback_scan_determinismE0ELb0ES3_PKlN6hipcub16HIPCUB_304000_NS21ConstantInputIteratorIllEEPllNSB_3SumENSB_8EqualityElEE10hipError_tPvRmT2_T3_T4_T5_mT6_T7_P12ihipStream_tbENKUlT_T0_E_clISt17integral_constantIbLb0EESW_IbLb1EEEEDaSS_ST_EUlSS_E_NS1_11comp_targetILNS1_3genE3ELNS1_11target_archE908ELNS1_3gpuE7ELNS1_3repE0EEENS1_30default_config_static_selectorELNS0_4arch9wavefront6targetE0EEEvT1_.kd
    .uniform_work_group_size: 1
    .uses_dynamic_stack: false
    .vgpr_count:     0
    .vgpr_spill_count: 0
    .wavefront_size: 32
    .workgroup_processor_mode: 1
  - .args:
      - .offset:         0
        .size:           144
        .value_kind:     by_value
    .group_segment_fixed_size: 0
    .kernarg_segment_align: 8
    .kernarg_segment_size: 144
    .language:       OpenCL C
    .language_version:
      - 2
      - 0
    .max_flat_workgroup_size: 256
    .name:           _ZN7rocprim17ROCPRIM_400000_NS6detail17trampoline_kernelINS0_14default_configENS1_27scan_by_key_config_selectorIllEEZZNS1_16scan_by_key_implILNS1_25lookback_scan_determinismE0ELb0ES3_PKlN6hipcub16HIPCUB_304000_NS21ConstantInputIteratorIllEEPllNSB_3SumENSB_8EqualityElEE10hipError_tPvRmT2_T3_T4_T5_mT6_T7_P12ihipStream_tbENKUlT_T0_E_clISt17integral_constantIbLb0EESW_IbLb1EEEEDaSS_ST_EUlSS_E_NS1_11comp_targetILNS1_3genE2ELNS1_11target_archE906ELNS1_3gpuE6ELNS1_3repE0EEENS1_30default_config_static_selectorELNS0_4arch9wavefront6targetE0EEEvT1_
    .private_segment_fixed_size: 0
    .sgpr_count:     0
    .sgpr_spill_count: 0
    .symbol:         _ZN7rocprim17ROCPRIM_400000_NS6detail17trampoline_kernelINS0_14default_configENS1_27scan_by_key_config_selectorIllEEZZNS1_16scan_by_key_implILNS1_25lookback_scan_determinismE0ELb0ES3_PKlN6hipcub16HIPCUB_304000_NS21ConstantInputIteratorIllEEPllNSB_3SumENSB_8EqualityElEE10hipError_tPvRmT2_T3_T4_T5_mT6_T7_P12ihipStream_tbENKUlT_T0_E_clISt17integral_constantIbLb0EESW_IbLb1EEEEDaSS_ST_EUlSS_E_NS1_11comp_targetILNS1_3genE2ELNS1_11target_archE906ELNS1_3gpuE6ELNS1_3repE0EEENS1_30default_config_static_selectorELNS0_4arch9wavefront6targetE0EEEvT1_.kd
    .uniform_work_group_size: 1
    .uses_dynamic_stack: false
    .vgpr_count:     0
    .vgpr_spill_count: 0
    .wavefront_size: 32
    .workgroup_processor_mode: 1
  - .args:
      - .offset:         0
        .size:           144
        .value_kind:     by_value
    .group_segment_fixed_size: 0
    .kernarg_segment_align: 8
    .kernarg_segment_size: 144
    .language:       OpenCL C
    .language_version:
      - 2
      - 0
    .max_flat_workgroup_size: 256
    .name:           _ZN7rocprim17ROCPRIM_400000_NS6detail17trampoline_kernelINS0_14default_configENS1_27scan_by_key_config_selectorIllEEZZNS1_16scan_by_key_implILNS1_25lookback_scan_determinismE0ELb0ES3_PKlN6hipcub16HIPCUB_304000_NS21ConstantInputIteratorIllEEPllNSB_3SumENSB_8EqualityElEE10hipError_tPvRmT2_T3_T4_T5_mT6_T7_P12ihipStream_tbENKUlT_T0_E_clISt17integral_constantIbLb0EESW_IbLb1EEEEDaSS_ST_EUlSS_E_NS1_11comp_targetILNS1_3genE10ELNS1_11target_archE1200ELNS1_3gpuE4ELNS1_3repE0EEENS1_30default_config_static_selectorELNS0_4arch9wavefront6targetE0EEEvT1_
    .private_segment_fixed_size: 0
    .sgpr_count:     0
    .sgpr_spill_count: 0
    .symbol:         _ZN7rocprim17ROCPRIM_400000_NS6detail17trampoline_kernelINS0_14default_configENS1_27scan_by_key_config_selectorIllEEZZNS1_16scan_by_key_implILNS1_25lookback_scan_determinismE0ELb0ES3_PKlN6hipcub16HIPCUB_304000_NS21ConstantInputIteratorIllEEPllNSB_3SumENSB_8EqualityElEE10hipError_tPvRmT2_T3_T4_T5_mT6_T7_P12ihipStream_tbENKUlT_T0_E_clISt17integral_constantIbLb0EESW_IbLb1EEEEDaSS_ST_EUlSS_E_NS1_11comp_targetILNS1_3genE10ELNS1_11target_archE1200ELNS1_3gpuE4ELNS1_3repE0EEENS1_30default_config_static_selectorELNS0_4arch9wavefront6targetE0EEEvT1_.kd
    .uniform_work_group_size: 1
    .uses_dynamic_stack: false
    .vgpr_count:     0
    .vgpr_spill_count: 0
    .wavefront_size: 32
    .workgroup_processor_mode: 1
  - .args:
      - .offset:         0
        .size:           144
        .value_kind:     by_value
    .group_segment_fixed_size: 0
    .kernarg_segment_align: 8
    .kernarg_segment_size: 144
    .language:       OpenCL C
    .language_version:
      - 2
      - 0
    .max_flat_workgroup_size: 256
    .name:           _ZN7rocprim17ROCPRIM_400000_NS6detail17trampoline_kernelINS0_14default_configENS1_27scan_by_key_config_selectorIllEEZZNS1_16scan_by_key_implILNS1_25lookback_scan_determinismE0ELb0ES3_PKlN6hipcub16HIPCUB_304000_NS21ConstantInputIteratorIllEEPllNSB_3SumENSB_8EqualityElEE10hipError_tPvRmT2_T3_T4_T5_mT6_T7_P12ihipStream_tbENKUlT_T0_E_clISt17integral_constantIbLb0EESW_IbLb1EEEEDaSS_ST_EUlSS_E_NS1_11comp_targetILNS1_3genE9ELNS1_11target_archE1100ELNS1_3gpuE3ELNS1_3repE0EEENS1_30default_config_static_selectorELNS0_4arch9wavefront6targetE0EEEvT1_
    .private_segment_fixed_size: 0
    .sgpr_count:     0
    .sgpr_spill_count: 0
    .symbol:         _ZN7rocprim17ROCPRIM_400000_NS6detail17trampoline_kernelINS0_14default_configENS1_27scan_by_key_config_selectorIllEEZZNS1_16scan_by_key_implILNS1_25lookback_scan_determinismE0ELb0ES3_PKlN6hipcub16HIPCUB_304000_NS21ConstantInputIteratorIllEEPllNSB_3SumENSB_8EqualityElEE10hipError_tPvRmT2_T3_T4_T5_mT6_T7_P12ihipStream_tbENKUlT_T0_E_clISt17integral_constantIbLb0EESW_IbLb1EEEEDaSS_ST_EUlSS_E_NS1_11comp_targetILNS1_3genE9ELNS1_11target_archE1100ELNS1_3gpuE3ELNS1_3repE0EEENS1_30default_config_static_selectorELNS0_4arch9wavefront6targetE0EEEvT1_.kd
    .uniform_work_group_size: 1
    .uses_dynamic_stack: false
    .vgpr_count:     0
    .vgpr_spill_count: 0
    .wavefront_size: 32
    .workgroup_processor_mode: 1
  - .args:
      - .offset:         0
        .size:           144
        .value_kind:     by_value
    .group_segment_fixed_size: 30720
    .kernarg_segment_align: 8
    .kernarg_segment_size: 144
    .language:       OpenCL C
    .language_version:
      - 2
      - 0
    .max_flat_workgroup_size: 256
    .name:           _ZN7rocprim17ROCPRIM_400000_NS6detail17trampoline_kernelINS0_14default_configENS1_27scan_by_key_config_selectorIllEEZZNS1_16scan_by_key_implILNS1_25lookback_scan_determinismE0ELb0ES3_PKlN6hipcub16HIPCUB_304000_NS21ConstantInputIteratorIllEEPllNSB_3SumENSB_8EqualityElEE10hipError_tPvRmT2_T3_T4_T5_mT6_T7_P12ihipStream_tbENKUlT_T0_E_clISt17integral_constantIbLb0EESW_IbLb1EEEEDaSS_ST_EUlSS_E_NS1_11comp_targetILNS1_3genE8ELNS1_11target_archE1030ELNS1_3gpuE2ELNS1_3repE0EEENS1_30default_config_static_selectorELNS0_4arch9wavefront6targetE0EEEvT1_
    .private_segment_fixed_size: 0
    .sgpr_count:     53
    .sgpr_spill_count: 0
    .symbol:         _ZN7rocprim17ROCPRIM_400000_NS6detail17trampoline_kernelINS0_14default_configENS1_27scan_by_key_config_selectorIllEEZZNS1_16scan_by_key_implILNS1_25lookback_scan_determinismE0ELb0ES3_PKlN6hipcub16HIPCUB_304000_NS21ConstantInputIteratorIllEEPllNSB_3SumENSB_8EqualityElEE10hipError_tPvRmT2_T3_T4_T5_mT6_T7_P12ihipStream_tbENKUlT_T0_E_clISt17integral_constantIbLb0EESW_IbLb1EEEEDaSS_ST_EUlSS_E_NS1_11comp_targetILNS1_3genE8ELNS1_11target_archE1030ELNS1_3gpuE2ELNS1_3repE0EEENS1_30default_config_static_selectorELNS0_4arch9wavefront6targetE0EEEvT1_.kd
    .uniform_work_group_size: 1
    .uses_dynamic_stack: false
    .vgpr_count:     106
    .vgpr_spill_count: 0
    .wavefront_size: 32
    .workgroup_processor_mode: 1
  - .args:
      - .offset:         0
        .size:           24
        .value_kind:     by_value
      - .offset:         24
        .size:           4
        .value_kind:     by_value
      - .offset:         28
        .size:           4
        .value_kind:     by_value
      - .address_space:  global
        .offset:         32
        .size:           8
        .value_kind:     global_buffer
      - .address_space:  global
        .offset:         40
        .size:           8
        .value_kind:     global_buffer
      - .actual_access:  write_only
        .address_space:  global
        .offset:         48
        .size:           8
        .value_kind:     global_buffer
      - .offset:         56
        .size:           8
        .value_kind:     by_value
      - .offset:         64
        .size:           4
        .value_kind:     by_value
      - .offset:         68
        .size:           1
        .value_kind:     by_value
      - .offset:         72
        .size:           4
        .value_kind:     hidden_block_count_x
      - .offset:         76
        .size:           4
        .value_kind:     hidden_block_count_y
      - .offset:         80
        .size:           4
        .value_kind:     hidden_block_count_z
      - .offset:         84
        .size:           2
        .value_kind:     hidden_group_size_x
      - .offset:         86
        .size:           2
        .value_kind:     hidden_group_size_y
      - .offset:         88
        .size:           2
        .value_kind:     hidden_group_size_z
      - .offset:         90
        .size:           2
        .value_kind:     hidden_remainder_x
      - .offset:         92
        .size:           2
        .value_kind:     hidden_remainder_y
      - .offset:         94
        .size:           2
        .value_kind:     hidden_remainder_z
      - .offset:         112
        .size:           8
        .value_kind:     hidden_global_offset_x
      - .offset:         120
        .size:           8
        .value_kind:     hidden_global_offset_y
      - .offset:         128
        .size:           8
        .value_kind:     hidden_global_offset_z
      - .offset:         136
        .size:           2
        .value_kind:     hidden_grid_dims
    .group_segment_fixed_size: 0
    .kernarg_segment_align: 8
    .kernarg_segment_size: 328
    .language:       OpenCL C
    .language_version:
      - 2
      - 0
    .max_flat_workgroup_size: 256
    .name:           _ZN7rocprim17ROCPRIM_400000_NS6detail30init_device_scan_by_key_kernelINS1_19lookback_scan_stateINS0_5tupleIJlbEEELb0ELb0EEEN6thrust23THRUST_200600_302600_NS16reverse_iteratorIPKlEEjNS1_16block_id_wrapperIjLb0EEEEEvT_jjPNSF_10value_typeET0_PNSt15iterator_traitsISI_E10value_typeEmT1_T2_
    .private_segment_fixed_size: 0
    .sgpr_count:     24
    .sgpr_spill_count: 0
    .symbol:         _ZN7rocprim17ROCPRIM_400000_NS6detail30init_device_scan_by_key_kernelINS1_19lookback_scan_stateINS0_5tupleIJlbEEELb0ELb0EEEN6thrust23THRUST_200600_302600_NS16reverse_iteratorIPKlEEjNS1_16block_id_wrapperIjLb0EEEEEvT_jjPNSF_10value_typeET0_PNSt15iterator_traitsISI_E10value_typeEmT1_T2_.kd
    .uniform_work_group_size: 1
    .uses_dynamic_stack: false
    .vgpr_count:     8
    .vgpr_spill_count: 0
    .wavefront_size: 32
    .workgroup_processor_mode: 1
  - .args:
      - .offset:         0
        .size:           136
        .value_kind:     by_value
    .group_segment_fixed_size: 0
    .kernarg_segment_align: 8
    .kernarg_segment_size: 136
    .language:       OpenCL C
    .language_version:
      - 2
      - 0
    .max_flat_workgroup_size: 256
    .name:           _ZN7rocprim17ROCPRIM_400000_NS6detail17trampoline_kernelINS0_14default_configENS1_27scan_by_key_config_selectorIllEEZZNS1_16scan_by_key_implILNS1_25lookback_scan_determinismE0ELb0ES3_N6thrust23THRUST_200600_302600_NS16reverse_iteratorIPKlEESD_NSA_IPlEElN6hipcub16HIPCUB_304000_NS3MaxENSH_8EqualityElEE10hipError_tPvRmT2_T3_T4_T5_mT6_T7_P12ihipStream_tbENKUlT_T0_E_clISt17integral_constantIbLb0EES10_EEDaSV_SW_EUlSV_E_NS1_11comp_targetILNS1_3genE0ELNS1_11target_archE4294967295ELNS1_3gpuE0ELNS1_3repE0EEENS1_30default_config_static_selectorELNS0_4arch9wavefront6targetE0EEEvT1_
    .private_segment_fixed_size: 0
    .sgpr_count:     0
    .sgpr_spill_count: 0
    .symbol:         _ZN7rocprim17ROCPRIM_400000_NS6detail17trampoline_kernelINS0_14default_configENS1_27scan_by_key_config_selectorIllEEZZNS1_16scan_by_key_implILNS1_25lookback_scan_determinismE0ELb0ES3_N6thrust23THRUST_200600_302600_NS16reverse_iteratorIPKlEESD_NSA_IPlEElN6hipcub16HIPCUB_304000_NS3MaxENSH_8EqualityElEE10hipError_tPvRmT2_T3_T4_T5_mT6_T7_P12ihipStream_tbENKUlT_T0_E_clISt17integral_constantIbLb0EES10_EEDaSV_SW_EUlSV_E_NS1_11comp_targetILNS1_3genE0ELNS1_11target_archE4294967295ELNS1_3gpuE0ELNS1_3repE0EEENS1_30default_config_static_selectorELNS0_4arch9wavefront6targetE0EEEvT1_.kd
    .uniform_work_group_size: 1
    .uses_dynamic_stack: false
    .vgpr_count:     0
    .vgpr_spill_count: 0
    .wavefront_size: 32
    .workgroup_processor_mode: 1
  - .args:
      - .offset:         0
        .size:           136
        .value_kind:     by_value
    .group_segment_fixed_size: 0
    .kernarg_segment_align: 8
    .kernarg_segment_size: 136
    .language:       OpenCL C
    .language_version:
      - 2
      - 0
    .max_flat_workgroup_size: 256
    .name:           _ZN7rocprim17ROCPRIM_400000_NS6detail17trampoline_kernelINS0_14default_configENS1_27scan_by_key_config_selectorIllEEZZNS1_16scan_by_key_implILNS1_25lookback_scan_determinismE0ELb0ES3_N6thrust23THRUST_200600_302600_NS16reverse_iteratorIPKlEESD_NSA_IPlEElN6hipcub16HIPCUB_304000_NS3MaxENSH_8EqualityElEE10hipError_tPvRmT2_T3_T4_T5_mT6_T7_P12ihipStream_tbENKUlT_T0_E_clISt17integral_constantIbLb0EES10_EEDaSV_SW_EUlSV_E_NS1_11comp_targetILNS1_3genE10ELNS1_11target_archE1201ELNS1_3gpuE5ELNS1_3repE0EEENS1_30default_config_static_selectorELNS0_4arch9wavefront6targetE0EEEvT1_
    .private_segment_fixed_size: 0
    .sgpr_count:     0
    .sgpr_spill_count: 0
    .symbol:         _ZN7rocprim17ROCPRIM_400000_NS6detail17trampoline_kernelINS0_14default_configENS1_27scan_by_key_config_selectorIllEEZZNS1_16scan_by_key_implILNS1_25lookback_scan_determinismE0ELb0ES3_N6thrust23THRUST_200600_302600_NS16reverse_iteratorIPKlEESD_NSA_IPlEElN6hipcub16HIPCUB_304000_NS3MaxENSH_8EqualityElEE10hipError_tPvRmT2_T3_T4_T5_mT6_T7_P12ihipStream_tbENKUlT_T0_E_clISt17integral_constantIbLb0EES10_EEDaSV_SW_EUlSV_E_NS1_11comp_targetILNS1_3genE10ELNS1_11target_archE1201ELNS1_3gpuE5ELNS1_3repE0EEENS1_30default_config_static_selectorELNS0_4arch9wavefront6targetE0EEEvT1_.kd
    .uniform_work_group_size: 1
    .uses_dynamic_stack: false
    .vgpr_count:     0
    .vgpr_spill_count: 0
    .wavefront_size: 32
    .workgroup_processor_mode: 1
  - .args:
      - .offset:         0
        .size:           136
        .value_kind:     by_value
    .group_segment_fixed_size: 0
    .kernarg_segment_align: 8
    .kernarg_segment_size: 136
    .language:       OpenCL C
    .language_version:
      - 2
      - 0
    .max_flat_workgroup_size: 256
    .name:           _ZN7rocprim17ROCPRIM_400000_NS6detail17trampoline_kernelINS0_14default_configENS1_27scan_by_key_config_selectorIllEEZZNS1_16scan_by_key_implILNS1_25lookback_scan_determinismE0ELb0ES3_N6thrust23THRUST_200600_302600_NS16reverse_iteratorIPKlEESD_NSA_IPlEElN6hipcub16HIPCUB_304000_NS3MaxENSH_8EqualityElEE10hipError_tPvRmT2_T3_T4_T5_mT6_T7_P12ihipStream_tbENKUlT_T0_E_clISt17integral_constantIbLb0EES10_EEDaSV_SW_EUlSV_E_NS1_11comp_targetILNS1_3genE5ELNS1_11target_archE942ELNS1_3gpuE9ELNS1_3repE0EEENS1_30default_config_static_selectorELNS0_4arch9wavefront6targetE0EEEvT1_
    .private_segment_fixed_size: 0
    .sgpr_count:     0
    .sgpr_spill_count: 0
    .symbol:         _ZN7rocprim17ROCPRIM_400000_NS6detail17trampoline_kernelINS0_14default_configENS1_27scan_by_key_config_selectorIllEEZZNS1_16scan_by_key_implILNS1_25lookback_scan_determinismE0ELb0ES3_N6thrust23THRUST_200600_302600_NS16reverse_iteratorIPKlEESD_NSA_IPlEElN6hipcub16HIPCUB_304000_NS3MaxENSH_8EqualityElEE10hipError_tPvRmT2_T3_T4_T5_mT6_T7_P12ihipStream_tbENKUlT_T0_E_clISt17integral_constantIbLb0EES10_EEDaSV_SW_EUlSV_E_NS1_11comp_targetILNS1_3genE5ELNS1_11target_archE942ELNS1_3gpuE9ELNS1_3repE0EEENS1_30default_config_static_selectorELNS0_4arch9wavefront6targetE0EEEvT1_.kd
    .uniform_work_group_size: 1
    .uses_dynamic_stack: false
    .vgpr_count:     0
    .vgpr_spill_count: 0
    .wavefront_size: 32
    .workgroup_processor_mode: 1
  - .args:
      - .offset:         0
        .size:           136
        .value_kind:     by_value
    .group_segment_fixed_size: 0
    .kernarg_segment_align: 8
    .kernarg_segment_size: 136
    .language:       OpenCL C
    .language_version:
      - 2
      - 0
    .max_flat_workgroup_size: 64
    .name:           _ZN7rocprim17ROCPRIM_400000_NS6detail17trampoline_kernelINS0_14default_configENS1_27scan_by_key_config_selectorIllEEZZNS1_16scan_by_key_implILNS1_25lookback_scan_determinismE0ELb0ES3_N6thrust23THRUST_200600_302600_NS16reverse_iteratorIPKlEESD_NSA_IPlEElN6hipcub16HIPCUB_304000_NS3MaxENSH_8EqualityElEE10hipError_tPvRmT2_T3_T4_T5_mT6_T7_P12ihipStream_tbENKUlT_T0_E_clISt17integral_constantIbLb0EES10_EEDaSV_SW_EUlSV_E_NS1_11comp_targetILNS1_3genE4ELNS1_11target_archE910ELNS1_3gpuE8ELNS1_3repE0EEENS1_30default_config_static_selectorELNS0_4arch9wavefront6targetE0EEEvT1_
    .private_segment_fixed_size: 0
    .sgpr_count:     0
    .sgpr_spill_count: 0
    .symbol:         _ZN7rocprim17ROCPRIM_400000_NS6detail17trampoline_kernelINS0_14default_configENS1_27scan_by_key_config_selectorIllEEZZNS1_16scan_by_key_implILNS1_25lookback_scan_determinismE0ELb0ES3_N6thrust23THRUST_200600_302600_NS16reverse_iteratorIPKlEESD_NSA_IPlEElN6hipcub16HIPCUB_304000_NS3MaxENSH_8EqualityElEE10hipError_tPvRmT2_T3_T4_T5_mT6_T7_P12ihipStream_tbENKUlT_T0_E_clISt17integral_constantIbLb0EES10_EEDaSV_SW_EUlSV_E_NS1_11comp_targetILNS1_3genE4ELNS1_11target_archE910ELNS1_3gpuE8ELNS1_3repE0EEENS1_30default_config_static_selectorELNS0_4arch9wavefront6targetE0EEEvT1_.kd
    .uniform_work_group_size: 1
    .uses_dynamic_stack: false
    .vgpr_count:     0
    .vgpr_spill_count: 0
    .wavefront_size: 32
    .workgroup_processor_mode: 1
  - .args:
      - .offset:         0
        .size:           136
        .value_kind:     by_value
    .group_segment_fixed_size: 0
    .kernarg_segment_align: 8
    .kernarg_segment_size: 136
    .language:       OpenCL C
    .language_version:
      - 2
      - 0
    .max_flat_workgroup_size: 256
    .name:           _ZN7rocprim17ROCPRIM_400000_NS6detail17trampoline_kernelINS0_14default_configENS1_27scan_by_key_config_selectorIllEEZZNS1_16scan_by_key_implILNS1_25lookback_scan_determinismE0ELb0ES3_N6thrust23THRUST_200600_302600_NS16reverse_iteratorIPKlEESD_NSA_IPlEElN6hipcub16HIPCUB_304000_NS3MaxENSH_8EqualityElEE10hipError_tPvRmT2_T3_T4_T5_mT6_T7_P12ihipStream_tbENKUlT_T0_E_clISt17integral_constantIbLb0EES10_EEDaSV_SW_EUlSV_E_NS1_11comp_targetILNS1_3genE3ELNS1_11target_archE908ELNS1_3gpuE7ELNS1_3repE0EEENS1_30default_config_static_selectorELNS0_4arch9wavefront6targetE0EEEvT1_
    .private_segment_fixed_size: 0
    .sgpr_count:     0
    .sgpr_spill_count: 0
    .symbol:         _ZN7rocprim17ROCPRIM_400000_NS6detail17trampoline_kernelINS0_14default_configENS1_27scan_by_key_config_selectorIllEEZZNS1_16scan_by_key_implILNS1_25lookback_scan_determinismE0ELb0ES3_N6thrust23THRUST_200600_302600_NS16reverse_iteratorIPKlEESD_NSA_IPlEElN6hipcub16HIPCUB_304000_NS3MaxENSH_8EqualityElEE10hipError_tPvRmT2_T3_T4_T5_mT6_T7_P12ihipStream_tbENKUlT_T0_E_clISt17integral_constantIbLb0EES10_EEDaSV_SW_EUlSV_E_NS1_11comp_targetILNS1_3genE3ELNS1_11target_archE908ELNS1_3gpuE7ELNS1_3repE0EEENS1_30default_config_static_selectorELNS0_4arch9wavefront6targetE0EEEvT1_.kd
    .uniform_work_group_size: 1
    .uses_dynamic_stack: false
    .vgpr_count:     0
    .vgpr_spill_count: 0
    .wavefront_size: 32
    .workgroup_processor_mode: 1
  - .args:
      - .offset:         0
        .size:           136
        .value_kind:     by_value
    .group_segment_fixed_size: 0
    .kernarg_segment_align: 8
    .kernarg_segment_size: 136
    .language:       OpenCL C
    .language_version:
      - 2
      - 0
    .max_flat_workgroup_size: 256
    .name:           _ZN7rocprim17ROCPRIM_400000_NS6detail17trampoline_kernelINS0_14default_configENS1_27scan_by_key_config_selectorIllEEZZNS1_16scan_by_key_implILNS1_25lookback_scan_determinismE0ELb0ES3_N6thrust23THRUST_200600_302600_NS16reverse_iteratorIPKlEESD_NSA_IPlEElN6hipcub16HIPCUB_304000_NS3MaxENSH_8EqualityElEE10hipError_tPvRmT2_T3_T4_T5_mT6_T7_P12ihipStream_tbENKUlT_T0_E_clISt17integral_constantIbLb0EES10_EEDaSV_SW_EUlSV_E_NS1_11comp_targetILNS1_3genE2ELNS1_11target_archE906ELNS1_3gpuE6ELNS1_3repE0EEENS1_30default_config_static_selectorELNS0_4arch9wavefront6targetE0EEEvT1_
    .private_segment_fixed_size: 0
    .sgpr_count:     0
    .sgpr_spill_count: 0
    .symbol:         _ZN7rocprim17ROCPRIM_400000_NS6detail17trampoline_kernelINS0_14default_configENS1_27scan_by_key_config_selectorIllEEZZNS1_16scan_by_key_implILNS1_25lookback_scan_determinismE0ELb0ES3_N6thrust23THRUST_200600_302600_NS16reverse_iteratorIPKlEESD_NSA_IPlEElN6hipcub16HIPCUB_304000_NS3MaxENSH_8EqualityElEE10hipError_tPvRmT2_T3_T4_T5_mT6_T7_P12ihipStream_tbENKUlT_T0_E_clISt17integral_constantIbLb0EES10_EEDaSV_SW_EUlSV_E_NS1_11comp_targetILNS1_3genE2ELNS1_11target_archE906ELNS1_3gpuE6ELNS1_3repE0EEENS1_30default_config_static_selectorELNS0_4arch9wavefront6targetE0EEEvT1_.kd
    .uniform_work_group_size: 1
    .uses_dynamic_stack: false
    .vgpr_count:     0
    .vgpr_spill_count: 0
    .wavefront_size: 32
    .workgroup_processor_mode: 1
  - .args:
      - .offset:         0
        .size:           136
        .value_kind:     by_value
    .group_segment_fixed_size: 0
    .kernarg_segment_align: 8
    .kernarg_segment_size: 136
    .language:       OpenCL C
    .language_version:
      - 2
      - 0
    .max_flat_workgroup_size: 256
    .name:           _ZN7rocprim17ROCPRIM_400000_NS6detail17trampoline_kernelINS0_14default_configENS1_27scan_by_key_config_selectorIllEEZZNS1_16scan_by_key_implILNS1_25lookback_scan_determinismE0ELb0ES3_N6thrust23THRUST_200600_302600_NS16reverse_iteratorIPKlEESD_NSA_IPlEElN6hipcub16HIPCUB_304000_NS3MaxENSH_8EqualityElEE10hipError_tPvRmT2_T3_T4_T5_mT6_T7_P12ihipStream_tbENKUlT_T0_E_clISt17integral_constantIbLb0EES10_EEDaSV_SW_EUlSV_E_NS1_11comp_targetILNS1_3genE10ELNS1_11target_archE1200ELNS1_3gpuE4ELNS1_3repE0EEENS1_30default_config_static_selectorELNS0_4arch9wavefront6targetE0EEEvT1_
    .private_segment_fixed_size: 0
    .sgpr_count:     0
    .sgpr_spill_count: 0
    .symbol:         _ZN7rocprim17ROCPRIM_400000_NS6detail17trampoline_kernelINS0_14default_configENS1_27scan_by_key_config_selectorIllEEZZNS1_16scan_by_key_implILNS1_25lookback_scan_determinismE0ELb0ES3_N6thrust23THRUST_200600_302600_NS16reverse_iteratorIPKlEESD_NSA_IPlEElN6hipcub16HIPCUB_304000_NS3MaxENSH_8EqualityElEE10hipError_tPvRmT2_T3_T4_T5_mT6_T7_P12ihipStream_tbENKUlT_T0_E_clISt17integral_constantIbLb0EES10_EEDaSV_SW_EUlSV_E_NS1_11comp_targetILNS1_3genE10ELNS1_11target_archE1200ELNS1_3gpuE4ELNS1_3repE0EEENS1_30default_config_static_selectorELNS0_4arch9wavefront6targetE0EEEvT1_.kd
    .uniform_work_group_size: 1
    .uses_dynamic_stack: false
    .vgpr_count:     0
    .vgpr_spill_count: 0
    .wavefront_size: 32
    .workgroup_processor_mode: 1
  - .args:
      - .offset:         0
        .size:           136
        .value_kind:     by_value
    .group_segment_fixed_size: 0
    .kernarg_segment_align: 8
    .kernarg_segment_size: 136
    .language:       OpenCL C
    .language_version:
      - 2
      - 0
    .max_flat_workgroup_size: 256
    .name:           _ZN7rocprim17ROCPRIM_400000_NS6detail17trampoline_kernelINS0_14default_configENS1_27scan_by_key_config_selectorIllEEZZNS1_16scan_by_key_implILNS1_25lookback_scan_determinismE0ELb0ES3_N6thrust23THRUST_200600_302600_NS16reverse_iteratorIPKlEESD_NSA_IPlEElN6hipcub16HIPCUB_304000_NS3MaxENSH_8EqualityElEE10hipError_tPvRmT2_T3_T4_T5_mT6_T7_P12ihipStream_tbENKUlT_T0_E_clISt17integral_constantIbLb0EES10_EEDaSV_SW_EUlSV_E_NS1_11comp_targetILNS1_3genE9ELNS1_11target_archE1100ELNS1_3gpuE3ELNS1_3repE0EEENS1_30default_config_static_selectorELNS0_4arch9wavefront6targetE0EEEvT1_
    .private_segment_fixed_size: 0
    .sgpr_count:     0
    .sgpr_spill_count: 0
    .symbol:         _ZN7rocprim17ROCPRIM_400000_NS6detail17trampoline_kernelINS0_14default_configENS1_27scan_by_key_config_selectorIllEEZZNS1_16scan_by_key_implILNS1_25lookback_scan_determinismE0ELb0ES3_N6thrust23THRUST_200600_302600_NS16reverse_iteratorIPKlEESD_NSA_IPlEElN6hipcub16HIPCUB_304000_NS3MaxENSH_8EqualityElEE10hipError_tPvRmT2_T3_T4_T5_mT6_T7_P12ihipStream_tbENKUlT_T0_E_clISt17integral_constantIbLb0EES10_EEDaSV_SW_EUlSV_E_NS1_11comp_targetILNS1_3genE9ELNS1_11target_archE1100ELNS1_3gpuE3ELNS1_3repE0EEENS1_30default_config_static_selectorELNS0_4arch9wavefront6targetE0EEEvT1_.kd
    .uniform_work_group_size: 1
    .uses_dynamic_stack: false
    .vgpr_count:     0
    .vgpr_spill_count: 0
    .wavefront_size: 32
    .workgroup_processor_mode: 1
  - .args:
      - .offset:         0
        .size:           136
        .value_kind:     by_value
    .group_segment_fixed_size: 30720
    .kernarg_segment_align: 8
    .kernarg_segment_size: 136
    .language:       OpenCL C
    .language_version:
      - 2
      - 0
    .max_flat_workgroup_size: 256
    .name:           _ZN7rocprim17ROCPRIM_400000_NS6detail17trampoline_kernelINS0_14default_configENS1_27scan_by_key_config_selectorIllEEZZNS1_16scan_by_key_implILNS1_25lookback_scan_determinismE0ELb0ES3_N6thrust23THRUST_200600_302600_NS16reverse_iteratorIPKlEESD_NSA_IPlEElN6hipcub16HIPCUB_304000_NS3MaxENSH_8EqualityElEE10hipError_tPvRmT2_T3_T4_T5_mT6_T7_P12ihipStream_tbENKUlT_T0_E_clISt17integral_constantIbLb0EES10_EEDaSV_SW_EUlSV_E_NS1_11comp_targetILNS1_3genE8ELNS1_11target_archE1030ELNS1_3gpuE2ELNS1_3repE0EEENS1_30default_config_static_selectorELNS0_4arch9wavefront6targetE0EEEvT1_
    .private_segment_fixed_size: 0
    .sgpr_count:     59
    .sgpr_spill_count: 0
    .symbol:         _ZN7rocprim17ROCPRIM_400000_NS6detail17trampoline_kernelINS0_14default_configENS1_27scan_by_key_config_selectorIllEEZZNS1_16scan_by_key_implILNS1_25lookback_scan_determinismE0ELb0ES3_N6thrust23THRUST_200600_302600_NS16reverse_iteratorIPKlEESD_NSA_IPlEElN6hipcub16HIPCUB_304000_NS3MaxENSH_8EqualityElEE10hipError_tPvRmT2_T3_T4_T5_mT6_T7_P12ihipStream_tbENKUlT_T0_E_clISt17integral_constantIbLb0EES10_EEDaSV_SW_EUlSV_E_NS1_11comp_targetILNS1_3genE8ELNS1_11target_archE1030ELNS1_3gpuE2ELNS1_3repE0EEENS1_30default_config_static_selectorELNS0_4arch9wavefront6targetE0EEEvT1_.kd
    .uniform_work_group_size: 1
    .uses_dynamic_stack: false
    .vgpr_count:     100
    .vgpr_spill_count: 0
    .wavefront_size: 32
    .workgroup_processor_mode: 1
  - .args:
      - .offset:         0
        .size:           24
        .value_kind:     by_value
      - .offset:         24
        .size:           4
        .value_kind:     by_value
      - .offset:         28
        .size:           4
        .value_kind:     by_value
      - .address_space:  global
        .offset:         32
        .size:           8
        .value_kind:     global_buffer
      - .address_space:  global
        .offset:         40
        .size:           8
        .value_kind:     global_buffer
      - .actual_access:  write_only
        .address_space:  global
        .offset:         48
        .size:           8
        .value_kind:     global_buffer
      - .offset:         56
        .size:           8
        .value_kind:     by_value
      - .offset:         64
        .size:           4
        .value_kind:     by_value
      - .address_space:  global
        .offset:         72
        .size:           8
        .value_kind:     global_buffer
      - .offset:         80
        .size:           4
        .value_kind:     hidden_block_count_x
      - .offset:         84
        .size:           4
        .value_kind:     hidden_block_count_y
      - .offset:         88
        .size:           4
        .value_kind:     hidden_block_count_z
      - .offset:         92
        .size:           2
        .value_kind:     hidden_group_size_x
      - .offset:         94
        .size:           2
        .value_kind:     hidden_group_size_y
      - .offset:         96
        .size:           2
        .value_kind:     hidden_group_size_z
      - .offset:         98
        .size:           2
        .value_kind:     hidden_remainder_x
      - .offset:         100
        .size:           2
        .value_kind:     hidden_remainder_y
      - .offset:         102
        .size:           2
        .value_kind:     hidden_remainder_z
      - .offset:         120
        .size:           8
        .value_kind:     hidden_global_offset_x
      - .offset:         128
        .size:           8
        .value_kind:     hidden_global_offset_y
      - .offset:         136
        .size:           8
        .value_kind:     hidden_global_offset_z
      - .offset:         144
        .size:           2
        .value_kind:     hidden_grid_dims
    .group_segment_fixed_size: 0
    .kernarg_segment_align: 8
    .kernarg_segment_size: 336
    .language:       OpenCL C
    .language_version:
      - 2
      - 0
    .max_flat_workgroup_size: 256
    .name:           _ZN7rocprim17ROCPRIM_400000_NS6detail30init_device_scan_by_key_kernelINS1_19lookback_scan_stateINS0_5tupleIJlbEEELb1ELb0EEEN6thrust23THRUST_200600_302600_NS16reverse_iteratorIPKlEEjNS1_16block_id_wrapperIjLb1EEEEEvT_jjPNSF_10value_typeET0_PNSt15iterator_traitsISI_E10value_typeEmT1_T2_
    .private_segment_fixed_size: 0
    .sgpr_count:     25
    .sgpr_spill_count: 0
    .symbol:         _ZN7rocprim17ROCPRIM_400000_NS6detail30init_device_scan_by_key_kernelINS1_19lookback_scan_stateINS0_5tupleIJlbEEELb1ELb0EEEN6thrust23THRUST_200600_302600_NS16reverse_iteratorIPKlEEjNS1_16block_id_wrapperIjLb1EEEEEvT_jjPNSF_10value_typeET0_PNSt15iterator_traitsISI_E10value_typeEmT1_T2_.kd
    .uniform_work_group_size: 1
    .uses_dynamic_stack: false
    .vgpr_count:     8
    .vgpr_spill_count: 0
    .wavefront_size: 32
    .workgroup_processor_mode: 1
  - .args:
      - .offset:         0
        .size:           136
        .value_kind:     by_value
    .group_segment_fixed_size: 0
    .kernarg_segment_align: 8
    .kernarg_segment_size: 136
    .language:       OpenCL C
    .language_version:
      - 2
      - 0
    .max_flat_workgroup_size: 256
    .name:           _ZN7rocprim17ROCPRIM_400000_NS6detail17trampoline_kernelINS0_14default_configENS1_27scan_by_key_config_selectorIllEEZZNS1_16scan_by_key_implILNS1_25lookback_scan_determinismE0ELb0ES3_N6thrust23THRUST_200600_302600_NS16reverse_iteratorIPKlEESD_NSA_IPlEElN6hipcub16HIPCUB_304000_NS3MaxENSH_8EqualityElEE10hipError_tPvRmT2_T3_T4_T5_mT6_T7_P12ihipStream_tbENKUlT_T0_E_clISt17integral_constantIbLb1EES10_EEDaSV_SW_EUlSV_E_NS1_11comp_targetILNS1_3genE0ELNS1_11target_archE4294967295ELNS1_3gpuE0ELNS1_3repE0EEENS1_30default_config_static_selectorELNS0_4arch9wavefront6targetE0EEEvT1_
    .private_segment_fixed_size: 0
    .sgpr_count:     0
    .sgpr_spill_count: 0
    .symbol:         _ZN7rocprim17ROCPRIM_400000_NS6detail17trampoline_kernelINS0_14default_configENS1_27scan_by_key_config_selectorIllEEZZNS1_16scan_by_key_implILNS1_25lookback_scan_determinismE0ELb0ES3_N6thrust23THRUST_200600_302600_NS16reverse_iteratorIPKlEESD_NSA_IPlEElN6hipcub16HIPCUB_304000_NS3MaxENSH_8EqualityElEE10hipError_tPvRmT2_T3_T4_T5_mT6_T7_P12ihipStream_tbENKUlT_T0_E_clISt17integral_constantIbLb1EES10_EEDaSV_SW_EUlSV_E_NS1_11comp_targetILNS1_3genE0ELNS1_11target_archE4294967295ELNS1_3gpuE0ELNS1_3repE0EEENS1_30default_config_static_selectorELNS0_4arch9wavefront6targetE0EEEvT1_.kd
    .uniform_work_group_size: 1
    .uses_dynamic_stack: false
    .vgpr_count:     0
    .vgpr_spill_count: 0
    .wavefront_size: 32
    .workgroup_processor_mode: 1
  - .args:
      - .offset:         0
        .size:           136
        .value_kind:     by_value
    .group_segment_fixed_size: 0
    .kernarg_segment_align: 8
    .kernarg_segment_size: 136
    .language:       OpenCL C
    .language_version:
      - 2
      - 0
    .max_flat_workgroup_size: 256
    .name:           _ZN7rocprim17ROCPRIM_400000_NS6detail17trampoline_kernelINS0_14default_configENS1_27scan_by_key_config_selectorIllEEZZNS1_16scan_by_key_implILNS1_25lookback_scan_determinismE0ELb0ES3_N6thrust23THRUST_200600_302600_NS16reverse_iteratorIPKlEESD_NSA_IPlEElN6hipcub16HIPCUB_304000_NS3MaxENSH_8EqualityElEE10hipError_tPvRmT2_T3_T4_T5_mT6_T7_P12ihipStream_tbENKUlT_T0_E_clISt17integral_constantIbLb1EES10_EEDaSV_SW_EUlSV_E_NS1_11comp_targetILNS1_3genE10ELNS1_11target_archE1201ELNS1_3gpuE5ELNS1_3repE0EEENS1_30default_config_static_selectorELNS0_4arch9wavefront6targetE0EEEvT1_
    .private_segment_fixed_size: 0
    .sgpr_count:     0
    .sgpr_spill_count: 0
    .symbol:         _ZN7rocprim17ROCPRIM_400000_NS6detail17trampoline_kernelINS0_14default_configENS1_27scan_by_key_config_selectorIllEEZZNS1_16scan_by_key_implILNS1_25lookback_scan_determinismE0ELb0ES3_N6thrust23THRUST_200600_302600_NS16reverse_iteratorIPKlEESD_NSA_IPlEElN6hipcub16HIPCUB_304000_NS3MaxENSH_8EqualityElEE10hipError_tPvRmT2_T3_T4_T5_mT6_T7_P12ihipStream_tbENKUlT_T0_E_clISt17integral_constantIbLb1EES10_EEDaSV_SW_EUlSV_E_NS1_11comp_targetILNS1_3genE10ELNS1_11target_archE1201ELNS1_3gpuE5ELNS1_3repE0EEENS1_30default_config_static_selectorELNS0_4arch9wavefront6targetE0EEEvT1_.kd
    .uniform_work_group_size: 1
    .uses_dynamic_stack: false
    .vgpr_count:     0
    .vgpr_spill_count: 0
    .wavefront_size: 32
    .workgroup_processor_mode: 1
  - .args:
      - .offset:         0
        .size:           136
        .value_kind:     by_value
    .group_segment_fixed_size: 0
    .kernarg_segment_align: 8
    .kernarg_segment_size: 136
    .language:       OpenCL C
    .language_version:
      - 2
      - 0
    .max_flat_workgroup_size: 256
    .name:           _ZN7rocprim17ROCPRIM_400000_NS6detail17trampoline_kernelINS0_14default_configENS1_27scan_by_key_config_selectorIllEEZZNS1_16scan_by_key_implILNS1_25lookback_scan_determinismE0ELb0ES3_N6thrust23THRUST_200600_302600_NS16reverse_iteratorIPKlEESD_NSA_IPlEElN6hipcub16HIPCUB_304000_NS3MaxENSH_8EqualityElEE10hipError_tPvRmT2_T3_T4_T5_mT6_T7_P12ihipStream_tbENKUlT_T0_E_clISt17integral_constantIbLb1EES10_EEDaSV_SW_EUlSV_E_NS1_11comp_targetILNS1_3genE5ELNS1_11target_archE942ELNS1_3gpuE9ELNS1_3repE0EEENS1_30default_config_static_selectorELNS0_4arch9wavefront6targetE0EEEvT1_
    .private_segment_fixed_size: 0
    .sgpr_count:     0
    .sgpr_spill_count: 0
    .symbol:         _ZN7rocprim17ROCPRIM_400000_NS6detail17trampoline_kernelINS0_14default_configENS1_27scan_by_key_config_selectorIllEEZZNS1_16scan_by_key_implILNS1_25lookback_scan_determinismE0ELb0ES3_N6thrust23THRUST_200600_302600_NS16reverse_iteratorIPKlEESD_NSA_IPlEElN6hipcub16HIPCUB_304000_NS3MaxENSH_8EqualityElEE10hipError_tPvRmT2_T3_T4_T5_mT6_T7_P12ihipStream_tbENKUlT_T0_E_clISt17integral_constantIbLb1EES10_EEDaSV_SW_EUlSV_E_NS1_11comp_targetILNS1_3genE5ELNS1_11target_archE942ELNS1_3gpuE9ELNS1_3repE0EEENS1_30default_config_static_selectorELNS0_4arch9wavefront6targetE0EEEvT1_.kd
    .uniform_work_group_size: 1
    .uses_dynamic_stack: false
    .vgpr_count:     0
    .vgpr_spill_count: 0
    .wavefront_size: 32
    .workgroup_processor_mode: 1
  - .args:
      - .offset:         0
        .size:           136
        .value_kind:     by_value
    .group_segment_fixed_size: 0
    .kernarg_segment_align: 8
    .kernarg_segment_size: 136
    .language:       OpenCL C
    .language_version:
      - 2
      - 0
    .max_flat_workgroup_size: 64
    .name:           _ZN7rocprim17ROCPRIM_400000_NS6detail17trampoline_kernelINS0_14default_configENS1_27scan_by_key_config_selectorIllEEZZNS1_16scan_by_key_implILNS1_25lookback_scan_determinismE0ELb0ES3_N6thrust23THRUST_200600_302600_NS16reverse_iteratorIPKlEESD_NSA_IPlEElN6hipcub16HIPCUB_304000_NS3MaxENSH_8EqualityElEE10hipError_tPvRmT2_T3_T4_T5_mT6_T7_P12ihipStream_tbENKUlT_T0_E_clISt17integral_constantIbLb1EES10_EEDaSV_SW_EUlSV_E_NS1_11comp_targetILNS1_3genE4ELNS1_11target_archE910ELNS1_3gpuE8ELNS1_3repE0EEENS1_30default_config_static_selectorELNS0_4arch9wavefront6targetE0EEEvT1_
    .private_segment_fixed_size: 0
    .sgpr_count:     0
    .sgpr_spill_count: 0
    .symbol:         _ZN7rocprim17ROCPRIM_400000_NS6detail17trampoline_kernelINS0_14default_configENS1_27scan_by_key_config_selectorIllEEZZNS1_16scan_by_key_implILNS1_25lookback_scan_determinismE0ELb0ES3_N6thrust23THRUST_200600_302600_NS16reverse_iteratorIPKlEESD_NSA_IPlEElN6hipcub16HIPCUB_304000_NS3MaxENSH_8EqualityElEE10hipError_tPvRmT2_T3_T4_T5_mT6_T7_P12ihipStream_tbENKUlT_T0_E_clISt17integral_constantIbLb1EES10_EEDaSV_SW_EUlSV_E_NS1_11comp_targetILNS1_3genE4ELNS1_11target_archE910ELNS1_3gpuE8ELNS1_3repE0EEENS1_30default_config_static_selectorELNS0_4arch9wavefront6targetE0EEEvT1_.kd
    .uniform_work_group_size: 1
    .uses_dynamic_stack: false
    .vgpr_count:     0
    .vgpr_spill_count: 0
    .wavefront_size: 32
    .workgroup_processor_mode: 1
  - .args:
      - .offset:         0
        .size:           136
        .value_kind:     by_value
    .group_segment_fixed_size: 0
    .kernarg_segment_align: 8
    .kernarg_segment_size: 136
    .language:       OpenCL C
    .language_version:
      - 2
      - 0
    .max_flat_workgroup_size: 256
    .name:           _ZN7rocprim17ROCPRIM_400000_NS6detail17trampoline_kernelINS0_14default_configENS1_27scan_by_key_config_selectorIllEEZZNS1_16scan_by_key_implILNS1_25lookback_scan_determinismE0ELb0ES3_N6thrust23THRUST_200600_302600_NS16reverse_iteratorIPKlEESD_NSA_IPlEElN6hipcub16HIPCUB_304000_NS3MaxENSH_8EqualityElEE10hipError_tPvRmT2_T3_T4_T5_mT6_T7_P12ihipStream_tbENKUlT_T0_E_clISt17integral_constantIbLb1EES10_EEDaSV_SW_EUlSV_E_NS1_11comp_targetILNS1_3genE3ELNS1_11target_archE908ELNS1_3gpuE7ELNS1_3repE0EEENS1_30default_config_static_selectorELNS0_4arch9wavefront6targetE0EEEvT1_
    .private_segment_fixed_size: 0
    .sgpr_count:     0
    .sgpr_spill_count: 0
    .symbol:         _ZN7rocprim17ROCPRIM_400000_NS6detail17trampoline_kernelINS0_14default_configENS1_27scan_by_key_config_selectorIllEEZZNS1_16scan_by_key_implILNS1_25lookback_scan_determinismE0ELb0ES3_N6thrust23THRUST_200600_302600_NS16reverse_iteratorIPKlEESD_NSA_IPlEElN6hipcub16HIPCUB_304000_NS3MaxENSH_8EqualityElEE10hipError_tPvRmT2_T3_T4_T5_mT6_T7_P12ihipStream_tbENKUlT_T0_E_clISt17integral_constantIbLb1EES10_EEDaSV_SW_EUlSV_E_NS1_11comp_targetILNS1_3genE3ELNS1_11target_archE908ELNS1_3gpuE7ELNS1_3repE0EEENS1_30default_config_static_selectorELNS0_4arch9wavefront6targetE0EEEvT1_.kd
    .uniform_work_group_size: 1
    .uses_dynamic_stack: false
    .vgpr_count:     0
    .vgpr_spill_count: 0
    .wavefront_size: 32
    .workgroup_processor_mode: 1
  - .args:
      - .offset:         0
        .size:           136
        .value_kind:     by_value
    .group_segment_fixed_size: 0
    .kernarg_segment_align: 8
    .kernarg_segment_size: 136
    .language:       OpenCL C
    .language_version:
      - 2
      - 0
    .max_flat_workgroup_size: 256
    .name:           _ZN7rocprim17ROCPRIM_400000_NS6detail17trampoline_kernelINS0_14default_configENS1_27scan_by_key_config_selectorIllEEZZNS1_16scan_by_key_implILNS1_25lookback_scan_determinismE0ELb0ES3_N6thrust23THRUST_200600_302600_NS16reverse_iteratorIPKlEESD_NSA_IPlEElN6hipcub16HIPCUB_304000_NS3MaxENSH_8EqualityElEE10hipError_tPvRmT2_T3_T4_T5_mT6_T7_P12ihipStream_tbENKUlT_T0_E_clISt17integral_constantIbLb1EES10_EEDaSV_SW_EUlSV_E_NS1_11comp_targetILNS1_3genE2ELNS1_11target_archE906ELNS1_3gpuE6ELNS1_3repE0EEENS1_30default_config_static_selectorELNS0_4arch9wavefront6targetE0EEEvT1_
    .private_segment_fixed_size: 0
    .sgpr_count:     0
    .sgpr_spill_count: 0
    .symbol:         _ZN7rocprim17ROCPRIM_400000_NS6detail17trampoline_kernelINS0_14default_configENS1_27scan_by_key_config_selectorIllEEZZNS1_16scan_by_key_implILNS1_25lookback_scan_determinismE0ELb0ES3_N6thrust23THRUST_200600_302600_NS16reverse_iteratorIPKlEESD_NSA_IPlEElN6hipcub16HIPCUB_304000_NS3MaxENSH_8EqualityElEE10hipError_tPvRmT2_T3_T4_T5_mT6_T7_P12ihipStream_tbENKUlT_T0_E_clISt17integral_constantIbLb1EES10_EEDaSV_SW_EUlSV_E_NS1_11comp_targetILNS1_3genE2ELNS1_11target_archE906ELNS1_3gpuE6ELNS1_3repE0EEENS1_30default_config_static_selectorELNS0_4arch9wavefront6targetE0EEEvT1_.kd
    .uniform_work_group_size: 1
    .uses_dynamic_stack: false
    .vgpr_count:     0
    .vgpr_spill_count: 0
    .wavefront_size: 32
    .workgroup_processor_mode: 1
  - .args:
      - .offset:         0
        .size:           136
        .value_kind:     by_value
    .group_segment_fixed_size: 0
    .kernarg_segment_align: 8
    .kernarg_segment_size: 136
    .language:       OpenCL C
    .language_version:
      - 2
      - 0
    .max_flat_workgroup_size: 256
    .name:           _ZN7rocprim17ROCPRIM_400000_NS6detail17trampoline_kernelINS0_14default_configENS1_27scan_by_key_config_selectorIllEEZZNS1_16scan_by_key_implILNS1_25lookback_scan_determinismE0ELb0ES3_N6thrust23THRUST_200600_302600_NS16reverse_iteratorIPKlEESD_NSA_IPlEElN6hipcub16HIPCUB_304000_NS3MaxENSH_8EqualityElEE10hipError_tPvRmT2_T3_T4_T5_mT6_T7_P12ihipStream_tbENKUlT_T0_E_clISt17integral_constantIbLb1EES10_EEDaSV_SW_EUlSV_E_NS1_11comp_targetILNS1_3genE10ELNS1_11target_archE1200ELNS1_3gpuE4ELNS1_3repE0EEENS1_30default_config_static_selectorELNS0_4arch9wavefront6targetE0EEEvT1_
    .private_segment_fixed_size: 0
    .sgpr_count:     0
    .sgpr_spill_count: 0
    .symbol:         _ZN7rocprim17ROCPRIM_400000_NS6detail17trampoline_kernelINS0_14default_configENS1_27scan_by_key_config_selectorIllEEZZNS1_16scan_by_key_implILNS1_25lookback_scan_determinismE0ELb0ES3_N6thrust23THRUST_200600_302600_NS16reverse_iteratorIPKlEESD_NSA_IPlEElN6hipcub16HIPCUB_304000_NS3MaxENSH_8EqualityElEE10hipError_tPvRmT2_T3_T4_T5_mT6_T7_P12ihipStream_tbENKUlT_T0_E_clISt17integral_constantIbLb1EES10_EEDaSV_SW_EUlSV_E_NS1_11comp_targetILNS1_3genE10ELNS1_11target_archE1200ELNS1_3gpuE4ELNS1_3repE0EEENS1_30default_config_static_selectorELNS0_4arch9wavefront6targetE0EEEvT1_.kd
    .uniform_work_group_size: 1
    .uses_dynamic_stack: false
    .vgpr_count:     0
    .vgpr_spill_count: 0
    .wavefront_size: 32
    .workgroup_processor_mode: 1
  - .args:
      - .offset:         0
        .size:           136
        .value_kind:     by_value
    .group_segment_fixed_size: 0
    .kernarg_segment_align: 8
    .kernarg_segment_size: 136
    .language:       OpenCL C
    .language_version:
      - 2
      - 0
    .max_flat_workgroup_size: 256
    .name:           _ZN7rocprim17ROCPRIM_400000_NS6detail17trampoline_kernelINS0_14default_configENS1_27scan_by_key_config_selectorIllEEZZNS1_16scan_by_key_implILNS1_25lookback_scan_determinismE0ELb0ES3_N6thrust23THRUST_200600_302600_NS16reverse_iteratorIPKlEESD_NSA_IPlEElN6hipcub16HIPCUB_304000_NS3MaxENSH_8EqualityElEE10hipError_tPvRmT2_T3_T4_T5_mT6_T7_P12ihipStream_tbENKUlT_T0_E_clISt17integral_constantIbLb1EES10_EEDaSV_SW_EUlSV_E_NS1_11comp_targetILNS1_3genE9ELNS1_11target_archE1100ELNS1_3gpuE3ELNS1_3repE0EEENS1_30default_config_static_selectorELNS0_4arch9wavefront6targetE0EEEvT1_
    .private_segment_fixed_size: 0
    .sgpr_count:     0
    .sgpr_spill_count: 0
    .symbol:         _ZN7rocprim17ROCPRIM_400000_NS6detail17trampoline_kernelINS0_14default_configENS1_27scan_by_key_config_selectorIllEEZZNS1_16scan_by_key_implILNS1_25lookback_scan_determinismE0ELb0ES3_N6thrust23THRUST_200600_302600_NS16reverse_iteratorIPKlEESD_NSA_IPlEElN6hipcub16HIPCUB_304000_NS3MaxENSH_8EqualityElEE10hipError_tPvRmT2_T3_T4_T5_mT6_T7_P12ihipStream_tbENKUlT_T0_E_clISt17integral_constantIbLb1EES10_EEDaSV_SW_EUlSV_E_NS1_11comp_targetILNS1_3genE9ELNS1_11target_archE1100ELNS1_3gpuE3ELNS1_3repE0EEENS1_30default_config_static_selectorELNS0_4arch9wavefront6targetE0EEEvT1_.kd
    .uniform_work_group_size: 1
    .uses_dynamic_stack: false
    .vgpr_count:     0
    .vgpr_spill_count: 0
    .wavefront_size: 32
    .workgroup_processor_mode: 1
  - .args:
      - .offset:         0
        .size:           136
        .value_kind:     by_value
    .group_segment_fixed_size: 0
    .kernarg_segment_align: 8
    .kernarg_segment_size: 136
    .language:       OpenCL C
    .language_version:
      - 2
      - 0
    .max_flat_workgroup_size: 256
    .name:           _ZN7rocprim17ROCPRIM_400000_NS6detail17trampoline_kernelINS0_14default_configENS1_27scan_by_key_config_selectorIllEEZZNS1_16scan_by_key_implILNS1_25lookback_scan_determinismE0ELb0ES3_N6thrust23THRUST_200600_302600_NS16reverse_iteratorIPKlEESD_NSA_IPlEElN6hipcub16HIPCUB_304000_NS3MaxENSH_8EqualityElEE10hipError_tPvRmT2_T3_T4_T5_mT6_T7_P12ihipStream_tbENKUlT_T0_E_clISt17integral_constantIbLb1EES10_EEDaSV_SW_EUlSV_E_NS1_11comp_targetILNS1_3genE8ELNS1_11target_archE1030ELNS1_3gpuE2ELNS1_3repE0EEENS1_30default_config_static_selectorELNS0_4arch9wavefront6targetE0EEEvT1_
    .private_segment_fixed_size: 0
    .sgpr_count:     0
    .sgpr_spill_count: 0
    .symbol:         _ZN7rocprim17ROCPRIM_400000_NS6detail17trampoline_kernelINS0_14default_configENS1_27scan_by_key_config_selectorIllEEZZNS1_16scan_by_key_implILNS1_25lookback_scan_determinismE0ELb0ES3_N6thrust23THRUST_200600_302600_NS16reverse_iteratorIPKlEESD_NSA_IPlEElN6hipcub16HIPCUB_304000_NS3MaxENSH_8EqualityElEE10hipError_tPvRmT2_T3_T4_T5_mT6_T7_P12ihipStream_tbENKUlT_T0_E_clISt17integral_constantIbLb1EES10_EEDaSV_SW_EUlSV_E_NS1_11comp_targetILNS1_3genE8ELNS1_11target_archE1030ELNS1_3gpuE2ELNS1_3repE0EEENS1_30default_config_static_selectorELNS0_4arch9wavefront6targetE0EEEvT1_.kd
    .uniform_work_group_size: 1
    .uses_dynamic_stack: false
    .vgpr_count:     0
    .vgpr_spill_count: 0
    .wavefront_size: 32
    .workgroup_processor_mode: 1
  - .args:
      - .offset:         0
        .size:           24
        .value_kind:     by_value
      - .offset:         24
        .size:           4
        .value_kind:     by_value
      - .offset:         28
        .size:           4
        .value_kind:     by_value
      - .address_space:  global
        .offset:         32
        .size:           8
        .value_kind:     global_buffer
      - .address_space:  global
        .offset:         40
        .size:           8
        .value_kind:     global_buffer
      - .actual_access:  write_only
        .address_space:  global
        .offset:         48
        .size:           8
        .value_kind:     global_buffer
      - .offset:         56
        .size:           8
        .value_kind:     by_value
      - .offset:         64
        .size:           4
        .value_kind:     by_value
      - .offset:         68
        .size:           1
        .value_kind:     by_value
      - .offset:         72
        .size:           4
        .value_kind:     hidden_block_count_x
      - .offset:         76
        .size:           4
        .value_kind:     hidden_block_count_y
      - .offset:         80
        .size:           4
        .value_kind:     hidden_block_count_z
      - .offset:         84
        .size:           2
        .value_kind:     hidden_group_size_x
      - .offset:         86
        .size:           2
        .value_kind:     hidden_group_size_y
      - .offset:         88
        .size:           2
        .value_kind:     hidden_group_size_z
      - .offset:         90
        .size:           2
        .value_kind:     hidden_remainder_x
      - .offset:         92
        .size:           2
        .value_kind:     hidden_remainder_y
      - .offset:         94
        .size:           2
        .value_kind:     hidden_remainder_z
      - .offset:         112
        .size:           8
        .value_kind:     hidden_global_offset_x
      - .offset:         120
        .size:           8
        .value_kind:     hidden_global_offset_y
      - .offset:         128
        .size:           8
        .value_kind:     hidden_global_offset_z
      - .offset:         136
        .size:           2
        .value_kind:     hidden_grid_dims
    .group_segment_fixed_size: 0
    .kernarg_segment_align: 8
    .kernarg_segment_size: 328
    .language:       OpenCL C
    .language_version:
      - 2
      - 0
    .max_flat_workgroup_size: 256
    .name:           _ZN7rocprim17ROCPRIM_400000_NS6detail30init_device_scan_by_key_kernelINS1_19lookback_scan_stateINS0_5tupleIJlbEEELb1ELb0EEEN6thrust23THRUST_200600_302600_NS16reverse_iteratorIPKlEEjNS1_16block_id_wrapperIjLb0EEEEEvT_jjPNSF_10value_typeET0_PNSt15iterator_traitsISI_E10value_typeEmT1_T2_
    .private_segment_fixed_size: 0
    .sgpr_count:     25
    .sgpr_spill_count: 0
    .symbol:         _ZN7rocprim17ROCPRIM_400000_NS6detail30init_device_scan_by_key_kernelINS1_19lookback_scan_stateINS0_5tupleIJlbEEELb1ELb0EEEN6thrust23THRUST_200600_302600_NS16reverse_iteratorIPKlEEjNS1_16block_id_wrapperIjLb0EEEEEvT_jjPNSF_10value_typeET0_PNSt15iterator_traitsISI_E10value_typeEmT1_T2_.kd
    .uniform_work_group_size: 1
    .uses_dynamic_stack: false
    .vgpr_count:     8
    .vgpr_spill_count: 0
    .wavefront_size: 32
    .workgroup_processor_mode: 1
  - .args:
      - .offset:         0
        .size:           136
        .value_kind:     by_value
    .group_segment_fixed_size: 0
    .kernarg_segment_align: 8
    .kernarg_segment_size: 136
    .language:       OpenCL C
    .language_version:
      - 2
      - 0
    .max_flat_workgroup_size: 256
    .name:           _ZN7rocprim17ROCPRIM_400000_NS6detail17trampoline_kernelINS0_14default_configENS1_27scan_by_key_config_selectorIllEEZZNS1_16scan_by_key_implILNS1_25lookback_scan_determinismE0ELb0ES3_N6thrust23THRUST_200600_302600_NS16reverse_iteratorIPKlEESD_NSA_IPlEElN6hipcub16HIPCUB_304000_NS3MaxENSH_8EqualityElEE10hipError_tPvRmT2_T3_T4_T5_mT6_T7_P12ihipStream_tbENKUlT_T0_E_clISt17integral_constantIbLb1EESZ_IbLb0EEEEDaSV_SW_EUlSV_E_NS1_11comp_targetILNS1_3genE0ELNS1_11target_archE4294967295ELNS1_3gpuE0ELNS1_3repE0EEENS1_30default_config_static_selectorELNS0_4arch9wavefront6targetE0EEEvT1_
    .private_segment_fixed_size: 0
    .sgpr_count:     0
    .sgpr_spill_count: 0
    .symbol:         _ZN7rocprim17ROCPRIM_400000_NS6detail17trampoline_kernelINS0_14default_configENS1_27scan_by_key_config_selectorIllEEZZNS1_16scan_by_key_implILNS1_25lookback_scan_determinismE0ELb0ES3_N6thrust23THRUST_200600_302600_NS16reverse_iteratorIPKlEESD_NSA_IPlEElN6hipcub16HIPCUB_304000_NS3MaxENSH_8EqualityElEE10hipError_tPvRmT2_T3_T4_T5_mT6_T7_P12ihipStream_tbENKUlT_T0_E_clISt17integral_constantIbLb1EESZ_IbLb0EEEEDaSV_SW_EUlSV_E_NS1_11comp_targetILNS1_3genE0ELNS1_11target_archE4294967295ELNS1_3gpuE0ELNS1_3repE0EEENS1_30default_config_static_selectorELNS0_4arch9wavefront6targetE0EEEvT1_.kd
    .uniform_work_group_size: 1
    .uses_dynamic_stack: false
    .vgpr_count:     0
    .vgpr_spill_count: 0
    .wavefront_size: 32
    .workgroup_processor_mode: 1
  - .args:
      - .offset:         0
        .size:           136
        .value_kind:     by_value
    .group_segment_fixed_size: 0
    .kernarg_segment_align: 8
    .kernarg_segment_size: 136
    .language:       OpenCL C
    .language_version:
      - 2
      - 0
    .max_flat_workgroup_size: 256
    .name:           _ZN7rocprim17ROCPRIM_400000_NS6detail17trampoline_kernelINS0_14default_configENS1_27scan_by_key_config_selectorIllEEZZNS1_16scan_by_key_implILNS1_25lookback_scan_determinismE0ELb0ES3_N6thrust23THRUST_200600_302600_NS16reverse_iteratorIPKlEESD_NSA_IPlEElN6hipcub16HIPCUB_304000_NS3MaxENSH_8EqualityElEE10hipError_tPvRmT2_T3_T4_T5_mT6_T7_P12ihipStream_tbENKUlT_T0_E_clISt17integral_constantIbLb1EESZ_IbLb0EEEEDaSV_SW_EUlSV_E_NS1_11comp_targetILNS1_3genE10ELNS1_11target_archE1201ELNS1_3gpuE5ELNS1_3repE0EEENS1_30default_config_static_selectorELNS0_4arch9wavefront6targetE0EEEvT1_
    .private_segment_fixed_size: 0
    .sgpr_count:     0
    .sgpr_spill_count: 0
    .symbol:         _ZN7rocprim17ROCPRIM_400000_NS6detail17trampoline_kernelINS0_14default_configENS1_27scan_by_key_config_selectorIllEEZZNS1_16scan_by_key_implILNS1_25lookback_scan_determinismE0ELb0ES3_N6thrust23THRUST_200600_302600_NS16reverse_iteratorIPKlEESD_NSA_IPlEElN6hipcub16HIPCUB_304000_NS3MaxENSH_8EqualityElEE10hipError_tPvRmT2_T3_T4_T5_mT6_T7_P12ihipStream_tbENKUlT_T0_E_clISt17integral_constantIbLb1EESZ_IbLb0EEEEDaSV_SW_EUlSV_E_NS1_11comp_targetILNS1_3genE10ELNS1_11target_archE1201ELNS1_3gpuE5ELNS1_3repE0EEENS1_30default_config_static_selectorELNS0_4arch9wavefront6targetE0EEEvT1_.kd
    .uniform_work_group_size: 1
    .uses_dynamic_stack: false
    .vgpr_count:     0
    .vgpr_spill_count: 0
    .wavefront_size: 32
    .workgroup_processor_mode: 1
  - .args:
      - .offset:         0
        .size:           136
        .value_kind:     by_value
    .group_segment_fixed_size: 0
    .kernarg_segment_align: 8
    .kernarg_segment_size: 136
    .language:       OpenCL C
    .language_version:
      - 2
      - 0
    .max_flat_workgroup_size: 256
    .name:           _ZN7rocprim17ROCPRIM_400000_NS6detail17trampoline_kernelINS0_14default_configENS1_27scan_by_key_config_selectorIllEEZZNS1_16scan_by_key_implILNS1_25lookback_scan_determinismE0ELb0ES3_N6thrust23THRUST_200600_302600_NS16reverse_iteratorIPKlEESD_NSA_IPlEElN6hipcub16HIPCUB_304000_NS3MaxENSH_8EqualityElEE10hipError_tPvRmT2_T3_T4_T5_mT6_T7_P12ihipStream_tbENKUlT_T0_E_clISt17integral_constantIbLb1EESZ_IbLb0EEEEDaSV_SW_EUlSV_E_NS1_11comp_targetILNS1_3genE5ELNS1_11target_archE942ELNS1_3gpuE9ELNS1_3repE0EEENS1_30default_config_static_selectorELNS0_4arch9wavefront6targetE0EEEvT1_
    .private_segment_fixed_size: 0
    .sgpr_count:     0
    .sgpr_spill_count: 0
    .symbol:         _ZN7rocprim17ROCPRIM_400000_NS6detail17trampoline_kernelINS0_14default_configENS1_27scan_by_key_config_selectorIllEEZZNS1_16scan_by_key_implILNS1_25lookback_scan_determinismE0ELb0ES3_N6thrust23THRUST_200600_302600_NS16reverse_iteratorIPKlEESD_NSA_IPlEElN6hipcub16HIPCUB_304000_NS3MaxENSH_8EqualityElEE10hipError_tPvRmT2_T3_T4_T5_mT6_T7_P12ihipStream_tbENKUlT_T0_E_clISt17integral_constantIbLb1EESZ_IbLb0EEEEDaSV_SW_EUlSV_E_NS1_11comp_targetILNS1_3genE5ELNS1_11target_archE942ELNS1_3gpuE9ELNS1_3repE0EEENS1_30default_config_static_selectorELNS0_4arch9wavefront6targetE0EEEvT1_.kd
    .uniform_work_group_size: 1
    .uses_dynamic_stack: false
    .vgpr_count:     0
    .vgpr_spill_count: 0
    .wavefront_size: 32
    .workgroup_processor_mode: 1
  - .args:
      - .offset:         0
        .size:           136
        .value_kind:     by_value
    .group_segment_fixed_size: 0
    .kernarg_segment_align: 8
    .kernarg_segment_size: 136
    .language:       OpenCL C
    .language_version:
      - 2
      - 0
    .max_flat_workgroup_size: 64
    .name:           _ZN7rocprim17ROCPRIM_400000_NS6detail17trampoline_kernelINS0_14default_configENS1_27scan_by_key_config_selectorIllEEZZNS1_16scan_by_key_implILNS1_25lookback_scan_determinismE0ELb0ES3_N6thrust23THRUST_200600_302600_NS16reverse_iteratorIPKlEESD_NSA_IPlEElN6hipcub16HIPCUB_304000_NS3MaxENSH_8EqualityElEE10hipError_tPvRmT2_T3_T4_T5_mT6_T7_P12ihipStream_tbENKUlT_T0_E_clISt17integral_constantIbLb1EESZ_IbLb0EEEEDaSV_SW_EUlSV_E_NS1_11comp_targetILNS1_3genE4ELNS1_11target_archE910ELNS1_3gpuE8ELNS1_3repE0EEENS1_30default_config_static_selectorELNS0_4arch9wavefront6targetE0EEEvT1_
    .private_segment_fixed_size: 0
    .sgpr_count:     0
    .sgpr_spill_count: 0
    .symbol:         _ZN7rocprim17ROCPRIM_400000_NS6detail17trampoline_kernelINS0_14default_configENS1_27scan_by_key_config_selectorIllEEZZNS1_16scan_by_key_implILNS1_25lookback_scan_determinismE0ELb0ES3_N6thrust23THRUST_200600_302600_NS16reverse_iteratorIPKlEESD_NSA_IPlEElN6hipcub16HIPCUB_304000_NS3MaxENSH_8EqualityElEE10hipError_tPvRmT2_T3_T4_T5_mT6_T7_P12ihipStream_tbENKUlT_T0_E_clISt17integral_constantIbLb1EESZ_IbLb0EEEEDaSV_SW_EUlSV_E_NS1_11comp_targetILNS1_3genE4ELNS1_11target_archE910ELNS1_3gpuE8ELNS1_3repE0EEENS1_30default_config_static_selectorELNS0_4arch9wavefront6targetE0EEEvT1_.kd
    .uniform_work_group_size: 1
    .uses_dynamic_stack: false
    .vgpr_count:     0
    .vgpr_spill_count: 0
    .wavefront_size: 32
    .workgroup_processor_mode: 1
  - .args:
      - .offset:         0
        .size:           136
        .value_kind:     by_value
    .group_segment_fixed_size: 0
    .kernarg_segment_align: 8
    .kernarg_segment_size: 136
    .language:       OpenCL C
    .language_version:
      - 2
      - 0
    .max_flat_workgroup_size: 256
    .name:           _ZN7rocprim17ROCPRIM_400000_NS6detail17trampoline_kernelINS0_14default_configENS1_27scan_by_key_config_selectorIllEEZZNS1_16scan_by_key_implILNS1_25lookback_scan_determinismE0ELb0ES3_N6thrust23THRUST_200600_302600_NS16reverse_iteratorIPKlEESD_NSA_IPlEElN6hipcub16HIPCUB_304000_NS3MaxENSH_8EqualityElEE10hipError_tPvRmT2_T3_T4_T5_mT6_T7_P12ihipStream_tbENKUlT_T0_E_clISt17integral_constantIbLb1EESZ_IbLb0EEEEDaSV_SW_EUlSV_E_NS1_11comp_targetILNS1_3genE3ELNS1_11target_archE908ELNS1_3gpuE7ELNS1_3repE0EEENS1_30default_config_static_selectorELNS0_4arch9wavefront6targetE0EEEvT1_
    .private_segment_fixed_size: 0
    .sgpr_count:     0
    .sgpr_spill_count: 0
    .symbol:         _ZN7rocprim17ROCPRIM_400000_NS6detail17trampoline_kernelINS0_14default_configENS1_27scan_by_key_config_selectorIllEEZZNS1_16scan_by_key_implILNS1_25lookback_scan_determinismE0ELb0ES3_N6thrust23THRUST_200600_302600_NS16reverse_iteratorIPKlEESD_NSA_IPlEElN6hipcub16HIPCUB_304000_NS3MaxENSH_8EqualityElEE10hipError_tPvRmT2_T3_T4_T5_mT6_T7_P12ihipStream_tbENKUlT_T0_E_clISt17integral_constantIbLb1EESZ_IbLb0EEEEDaSV_SW_EUlSV_E_NS1_11comp_targetILNS1_3genE3ELNS1_11target_archE908ELNS1_3gpuE7ELNS1_3repE0EEENS1_30default_config_static_selectorELNS0_4arch9wavefront6targetE0EEEvT1_.kd
    .uniform_work_group_size: 1
    .uses_dynamic_stack: false
    .vgpr_count:     0
    .vgpr_spill_count: 0
    .wavefront_size: 32
    .workgroup_processor_mode: 1
  - .args:
      - .offset:         0
        .size:           136
        .value_kind:     by_value
    .group_segment_fixed_size: 0
    .kernarg_segment_align: 8
    .kernarg_segment_size: 136
    .language:       OpenCL C
    .language_version:
      - 2
      - 0
    .max_flat_workgroup_size: 256
    .name:           _ZN7rocprim17ROCPRIM_400000_NS6detail17trampoline_kernelINS0_14default_configENS1_27scan_by_key_config_selectorIllEEZZNS1_16scan_by_key_implILNS1_25lookback_scan_determinismE0ELb0ES3_N6thrust23THRUST_200600_302600_NS16reverse_iteratorIPKlEESD_NSA_IPlEElN6hipcub16HIPCUB_304000_NS3MaxENSH_8EqualityElEE10hipError_tPvRmT2_T3_T4_T5_mT6_T7_P12ihipStream_tbENKUlT_T0_E_clISt17integral_constantIbLb1EESZ_IbLb0EEEEDaSV_SW_EUlSV_E_NS1_11comp_targetILNS1_3genE2ELNS1_11target_archE906ELNS1_3gpuE6ELNS1_3repE0EEENS1_30default_config_static_selectorELNS0_4arch9wavefront6targetE0EEEvT1_
    .private_segment_fixed_size: 0
    .sgpr_count:     0
    .sgpr_spill_count: 0
    .symbol:         _ZN7rocprim17ROCPRIM_400000_NS6detail17trampoline_kernelINS0_14default_configENS1_27scan_by_key_config_selectorIllEEZZNS1_16scan_by_key_implILNS1_25lookback_scan_determinismE0ELb0ES3_N6thrust23THRUST_200600_302600_NS16reverse_iteratorIPKlEESD_NSA_IPlEElN6hipcub16HIPCUB_304000_NS3MaxENSH_8EqualityElEE10hipError_tPvRmT2_T3_T4_T5_mT6_T7_P12ihipStream_tbENKUlT_T0_E_clISt17integral_constantIbLb1EESZ_IbLb0EEEEDaSV_SW_EUlSV_E_NS1_11comp_targetILNS1_3genE2ELNS1_11target_archE906ELNS1_3gpuE6ELNS1_3repE0EEENS1_30default_config_static_selectorELNS0_4arch9wavefront6targetE0EEEvT1_.kd
    .uniform_work_group_size: 1
    .uses_dynamic_stack: false
    .vgpr_count:     0
    .vgpr_spill_count: 0
    .wavefront_size: 32
    .workgroup_processor_mode: 1
  - .args:
      - .offset:         0
        .size:           136
        .value_kind:     by_value
    .group_segment_fixed_size: 0
    .kernarg_segment_align: 8
    .kernarg_segment_size: 136
    .language:       OpenCL C
    .language_version:
      - 2
      - 0
    .max_flat_workgroup_size: 256
    .name:           _ZN7rocprim17ROCPRIM_400000_NS6detail17trampoline_kernelINS0_14default_configENS1_27scan_by_key_config_selectorIllEEZZNS1_16scan_by_key_implILNS1_25lookback_scan_determinismE0ELb0ES3_N6thrust23THRUST_200600_302600_NS16reverse_iteratorIPKlEESD_NSA_IPlEElN6hipcub16HIPCUB_304000_NS3MaxENSH_8EqualityElEE10hipError_tPvRmT2_T3_T4_T5_mT6_T7_P12ihipStream_tbENKUlT_T0_E_clISt17integral_constantIbLb1EESZ_IbLb0EEEEDaSV_SW_EUlSV_E_NS1_11comp_targetILNS1_3genE10ELNS1_11target_archE1200ELNS1_3gpuE4ELNS1_3repE0EEENS1_30default_config_static_selectorELNS0_4arch9wavefront6targetE0EEEvT1_
    .private_segment_fixed_size: 0
    .sgpr_count:     0
    .sgpr_spill_count: 0
    .symbol:         _ZN7rocprim17ROCPRIM_400000_NS6detail17trampoline_kernelINS0_14default_configENS1_27scan_by_key_config_selectorIllEEZZNS1_16scan_by_key_implILNS1_25lookback_scan_determinismE0ELb0ES3_N6thrust23THRUST_200600_302600_NS16reverse_iteratorIPKlEESD_NSA_IPlEElN6hipcub16HIPCUB_304000_NS3MaxENSH_8EqualityElEE10hipError_tPvRmT2_T3_T4_T5_mT6_T7_P12ihipStream_tbENKUlT_T0_E_clISt17integral_constantIbLb1EESZ_IbLb0EEEEDaSV_SW_EUlSV_E_NS1_11comp_targetILNS1_3genE10ELNS1_11target_archE1200ELNS1_3gpuE4ELNS1_3repE0EEENS1_30default_config_static_selectorELNS0_4arch9wavefront6targetE0EEEvT1_.kd
    .uniform_work_group_size: 1
    .uses_dynamic_stack: false
    .vgpr_count:     0
    .vgpr_spill_count: 0
    .wavefront_size: 32
    .workgroup_processor_mode: 1
  - .args:
      - .offset:         0
        .size:           136
        .value_kind:     by_value
    .group_segment_fixed_size: 0
    .kernarg_segment_align: 8
    .kernarg_segment_size: 136
    .language:       OpenCL C
    .language_version:
      - 2
      - 0
    .max_flat_workgroup_size: 256
    .name:           _ZN7rocprim17ROCPRIM_400000_NS6detail17trampoline_kernelINS0_14default_configENS1_27scan_by_key_config_selectorIllEEZZNS1_16scan_by_key_implILNS1_25lookback_scan_determinismE0ELb0ES3_N6thrust23THRUST_200600_302600_NS16reverse_iteratorIPKlEESD_NSA_IPlEElN6hipcub16HIPCUB_304000_NS3MaxENSH_8EqualityElEE10hipError_tPvRmT2_T3_T4_T5_mT6_T7_P12ihipStream_tbENKUlT_T0_E_clISt17integral_constantIbLb1EESZ_IbLb0EEEEDaSV_SW_EUlSV_E_NS1_11comp_targetILNS1_3genE9ELNS1_11target_archE1100ELNS1_3gpuE3ELNS1_3repE0EEENS1_30default_config_static_selectorELNS0_4arch9wavefront6targetE0EEEvT1_
    .private_segment_fixed_size: 0
    .sgpr_count:     0
    .sgpr_spill_count: 0
    .symbol:         _ZN7rocprim17ROCPRIM_400000_NS6detail17trampoline_kernelINS0_14default_configENS1_27scan_by_key_config_selectorIllEEZZNS1_16scan_by_key_implILNS1_25lookback_scan_determinismE0ELb0ES3_N6thrust23THRUST_200600_302600_NS16reverse_iteratorIPKlEESD_NSA_IPlEElN6hipcub16HIPCUB_304000_NS3MaxENSH_8EqualityElEE10hipError_tPvRmT2_T3_T4_T5_mT6_T7_P12ihipStream_tbENKUlT_T0_E_clISt17integral_constantIbLb1EESZ_IbLb0EEEEDaSV_SW_EUlSV_E_NS1_11comp_targetILNS1_3genE9ELNS1_11target_archE1100ELNS1_3gpuE3ELNS1_3repE0EEENS1_30default_config_static_selectorELNS0_4arch9wavefront6targetE0EEEvT1_.kd
    .uniform_work_group_size: 1
    .uses_dynamic_stack: false
    .vgpr_count:     0
    .vgpr_spill_count: 0
    .wavefront_size: 32
    .workgroup_processor_mode: 1
  - .args:
      - .offset:         0
        .size:           136
        .value_kind:     by_value
    .group_segment_fixed_size: 0
    .kernarg_segment_align: 8
    .kernarg_segment_size: 136
    .language:       OpenCL C
    .language_version:
      - 2
      - 0
    .max_flat_workgroup_size: 256
    .name:           _ZN7rocprim17ROCPRIM_400000_NS6detail17trampoline_kernelINS0_14default_configENS1_27scan_by_key_config_selectorIllEEZZNS1_16scan_by_key_implILNS1_25lookback_scan_determinismE0ELb0ES3_N6thrust23THRUST_200600_302600_NS16reverse_iteratorIPKlEESD_NSA_IPlEElN6hipcub16HIPCUB_304000_NS3MaxENSH_8EqualityElEE10hipError_tPvRmT2_T3_T4_T5_mT6_T7_P12ihipStream_tbENKUlT_T0_E_clISt17integral_constantIbLb1EESZ_IbLb0EEEEDaSV_SW_EUlSV_E_NS1_11comp_targetILNS1_3genE8ELNS1_11target_archE1030ELNS1_3gpuE2ELNS1_3repE0EEENS1_30default_config_static_selectorELNS0_4arch9wavefront6targetE0EEEvT1_
    .private_segment_fixed_size: 0
    .sgpr_count:     0
    .sgpr_spill_count: 0
    .symbol:         _ZN7rocprim17ROCPRIM_400000_NS6detail17trampoline_kernelINS0_14default_configENS1_27scan_by_key_config_selectorIllEEZZNS1_16scan_by_key_implILNS1_25lookback_scan_determinismE0ELb0ES3_N6thrust23THRUST_200600_302600_NS16reverse_iteratorIPKlEESD_NSA_IPlEElN6hipcub16HIPCUB_304000_NS3MaxENSH_8EqualityElEE10hipError_tPvRmT2_T3_T4_T5_mT6_T7_P12ihipStream_tbENKUlT_T0_E_clISt17integral_constantIbLb1EESZ_IbLb0EEEEDaSV_SW_EUlSV_E_NS1_11comp_targetILNS1_3genE8ELNS1_11target_archE1030ELNS1_3gpuE2ELNS1_3repE0EEENS1_30default_config_static_selectorELNS0_4arch9wavefront6targetE0EEEvT1_.kd
    .uniform_work_group_size: 1
    .uses_dynamic_stack: false
    .vgpr_count:     0
    .vgpr_spill_count: 0
    .wavefront_size: 32
    .workgroup_processor_mode: 1
  - .args:
      - .offset:         0
        .size:           24
        .value_kind:     by_value
      - .offset:         24
        .size:           4
        .value_kind:     by_value
      - .offset:         28
        .size:           4
        .value_kind:     by_value
      - .address_space:  global
        .offset:         32
        .size:           8
        .value_kind:     global_buffer
      - .address_space:  global
        .offset:         40
        .size:           8
        .value_kind:     global_buffer
      - .actual_access:  write_only
        .address_space:  global
        .offset:         48
        .size:           8
        .value_kind:     global_buffer
      - .offset:         56
        .size:           8
        .value_kind:     by_value
      - .offset:         64
        .size:           4
        .value_kind:     by_value
      - .address_space:  global
        .offset:         72
        .size:           8
        .value_kind:     global_buffer
      - .offset:         80
        .size:           4
        .value_kind:     hidden_block_count_x
      - .offset:         84
        .size:           4
        .value_kind:     hidden_block_count_y
      - .offset:         88
        .size:           4
        .value_kind:     hidden_block_count_z
      - .offset:         92
        .size:           2
        .value_kind:     hidden_group_size_x
      - .offset:         94
        .size:           2
        .value_kind:     hidden_group_size_y
      - .offset:         96
        .size:           2
        .value_kind:     hidden_group_size_z
      - .offset:         98
        .size:           2
        .value_kind:     hidden_remainder_x
      - .offset:         100
        .size:           2
        .value_kind:     hidden_remainder_y
      - .offset:         102
        .size:           2
        .value_kind:     hidden_remainder_z
      - .offset:         120
        .size:           8
        .value_kind:     hidden_global_offset_x
      - .offset:         128
        .size:           8
        .value_kind:     hidden_global_offset_y
      - .offset:         136
        .size:           8
        .value_kind:     hidden_global_offset_z
      - .offset:         144
        .size:           2
        .value_kind:     hidden_grid_dims
    .group_segment_fixed_size: 0
    .kernarg_segment_align: 8
    .kernarg_segment_size: 336
    .language:       OpenCL C
    .language_version:
      - 2
      - 0
    .max_flat_workgroup_size: 256
    .name:           _ZN7rocprim17ROCPRIM_400000_NS6detail30init_device_scan_by_key_kernelINS1_19lookback_scan_stateINS0_5tupleIJlbEEELb0ELb0EEEN6thrust23THRUST_200600_302600_NS16reverse_iteratorIPKlEEjNS1_16block_id_wrapperIjLb1EEEEEvT_jjPNSF_10value_typeET0_PNSt15iterator_traitsISI_E10value_typeEmT1_T2_
    .private_segment_fixed_size: 0
    .sgpr_count:     24
    .sgpr_spill_count: 0
    .symbol:         _ZN7rocprim17ROCPRIM_400000_NS6detail30init_device_scan_by_key_kernelINS1_19lookback_scan_stateINS0_5tupleIJlbEEELb0ELb0EEEN6thrust23THRUST_200600_302600_NS16reverse_iteratorIPKlEEjNS1_16block_id_wrapperIjLb1EEEEEvT_jjPNSF_10value_typeET0_PNSt15iterator_traitsISI_E10value_typeEmT1_T2_.kd
    .uniform_work_group_size: 1
    .uses_dynamic_stack: false
    .vgpr_count:     8
    .vgpr_spill_count: 0
    .wavefront_size: 32
    .workgroup_processor_mode: 1
  - .args:
      - .offset:         0
        .size:           136
        .value_kind:     by_value
    .group_segment_fixed_size: 0
    .kernarg_segment_align: 8
    .kernarg_segment_size: 136
    .language:       OpenCL C
    .language_version:
      - 2
      - 0
    .max_flat_workgroup_size: 256
    .name:           _ZN7rocprim17ROCPRIM_400000_NS6detail17trampoline_kernelINS0_14default_configENS1_27scan_by_key_config_selectorIllEEZZNS1_16scan_by_key_implILNS1_25lookback_scan_determinismE0ELb0ES3_N6thrust23THRUST_200600_302600_NS16reverse_iteratorIPKlEESD_NSA_IPlEElN6hipcub16HIPCUB_304000_NS3MaxENSH_8EqualityElEE10hipError_tPvRmT2_T3_T4_T5_mT6_T7_P12ihipStream_tbENKUlT_T0_E_clISt17integral_constantIbLb0EESZ_IbLb1EEEEDaSV_SW_EUlSV_E_NS1_11comp_targetILNS1_3genE0ELNS1_11target_archE4294967295ELNS1_3gpuE0ELNS1_3repE0EEENS1_30default_config_static_selectorELNS0_4arch9wavefront6targetE0EEEvT1_
    .private_segment_fixed_size: 0
    .sgpr_count:     0
    .sgpr_spill_count: 0
    .symbol:         _ZN7rocprim17ROCPRIM_400000_NS6detail17trampoline_kernelINS0_14default_configENS1_27scan_by_key_config_selectorIllEEZZNS1_16scan_by_key_implILNS1_25lookback_scan_determinismE0ELb0ES3_N6thrust23THRUST_200600_302600_NS16reverse_iteratorIPKlEESD_NSA_IPlEElN6hipcub16HIPCUB_304000_NS3MaxENSH_8EqualityElEE10hipError_tPvRmT2_T3_T4_T5_mT6_T7_P12ihipStream_tbENKUlT_T0_E_clISt17integral_constantIbLb0EESZ_IbLb1EEEEDaSV_SW_EUlSV_E_NS1_11comp_targetILNS1_3genE0ELNS1_11target_archE4294967295ELNS1_3gpuE0ELNS1_3repE0EEENS1_30default_config_static_selectorELNS0_4arch9wavefront6targetE0EEEvT1_.kd
    .uniform_work_group_size: 1
    .uses_dynamic_stack: false
    .vgpr_count:     0
    .vgpr_spill_count: 0
    .wavefront_size: 32
    .workgroup_processor_mode: 1
  - .args:
      - .offset:         0
        .size:           136
        .value_kind:     by_value
    .group_segment_fixed_size: 0
    .kernarg_segment_align: 8
    .kernarg_segment_size: 136
    .language:       OpenCL C
    .language_version:
      - 2
      - 0
    .max_flat_workgroup_size: 256
    .name:           _ZN7rocprim17ROCPRIM_400000_NS6detail17trampoline_kernelINS0_14default_configENS1_27scan_by_key_config_selectorIllEEZZNS1_16scan_by_key_implILNS1_25lookback_scan_determinismE0ELb0ES3_N6thrust23THRUST_200600_302600_NS16reverse_iteratorIPKlEESD_NSA_IPlEElN6hipcub16HIPCUB_304000_NS3MaxENSH_8EqualityElEE10hipError_tPvRmT2_T3_T4_T5_mT6_T7_P12ihipStream_tbENKUlT_T0_E_clISt17integral_constantIbLb0EESZ_IbLb1EEEEDaSV_SW_EUlSV_E_NS1_11comp_targetILNS1_3genE10ELNS1_11target_archE1201ELNS1_3gpuE5ELNS1_3repE0EEENS1_30default_config_static_selectorELNS0_4arch9wavefront6targetE0EEEvT1_
    .private_segment_fixed_size: 0
    .sgpr_count:     0
    .sgpr_spill_count: 0
    .symbol:         _ZN7rocprim17ROCPRIM_400000_NS6detail17trampoline_kernelINS0_14default_configENS1_27scan_by_key_config_selectorIllEEZZNS1_16scan_by_key_implILNS1_25lookback_scan_determinismE0ELb0ES3_N6thrust23THRUST_200600_302600_NS16reverse_iteratorIPKlEESD_NSA_IPlEElN6hipcub16HIPCUB_304000_NS3MaxENSH_8EqualityElEE10hipError_tPvRmT2_T3_T4_T5_mT6_T7_P12ihipStream_tbENKUlT_T0_E_clISt17integral_constantIbLb0EESZ_IbLb1EEEEDaSV_SW_EUlSV_E_NS1_11comp_targetILNS1_3genE10ELNS1_11target_archE1201ELNS1_3gpuE5ELNS1_3repE0EEENS1_30default_config_static_selectorELNS0_4arch9wavefront6targetE0EEEvT1_.kd
    .uniform_work_group_size: 1
    .uses_dynamic_stack: false
    .vgpr_count:     0
    .vgpr_spill_count: 0
    .wavefront_size: 32
    .workgroup_processor_mode: 1
  - .args:
      - .offset:         0
        .size:           136
        .value_kind:     by_value
    .group_segment_fixed_size: 0
    .kernarg_segment_align: 8
    .kernarg_segment_size: 136
    .language:       OpenCL C
    .language_version:
      - 2
      - 0
    .max_flat_workgroup_size: 256
    .name:           _ZN7rocprim17ROCPRIM_400000_NS6detail17trampoline_kernelINS0_14default_configENS1_27scan_by_key_config_selectorIllEEZZNS1_16scan_by_key_implILNS1_25lookback_scan_determinismE0ELb0ES3_N6thrust23THRUST_200600_302600_NS16reverse_iteratorIPKlEESD_NSA_IPlEElN6hipcub16HIPCUB_304000_NS3MaxENSH_8EqualityElEE10hipError_tPvRmT2_T3_T4_T5_mT6_T7_P12ihipStream_tbENKUlT_T0_E_clISt17integral_constantIbLb0EESZ_IbLb1EEEEDaSV_SW_EUlSV_E_NS1_11comp_targetILNS1_3genE5ELNS1_11target_archE942ELNS1_3gpuE9ELNS1_3repE0EEENS1_30default_config_static_selectorELNS0_4arch9wavefront6targetE0EEEvT1_
    .private_segment_fixed_size: 0
    .sgpr_count:     0
    .sgpr_spill_count: 0
    .symbol:         _ZN7rocprim17ROCPRIM_400000_NS6detail17trampoline_kernelINS0_14default_configENS1_27scan_by_key_config_selectorIllEEZZNS1_16scan_by_key_implILNS1_25lookback_scan_determinismE0ELb0ES3_N6thrust23THRUST_200600_302600_NS16reverse_iteratorIPKlEESD_NSA_IPlEElN6hipcub16HIPCUB_304000_NS3MaxENSH_8EqualityElEE10hipError_tPvRmT2_T3_T4_T5_mT6_T7_P12ihipStream_tbENKUlT_T0_E_clISt17integral_constantIbLb0EESZ_IbLb1EEEEDaSV_SW_EUlSV_E_NS1_11comp_targetILNS1_3genE5ELNS1_11target_archE942ELNS1_3gpuE9ELNS1_3repE0EEENS1_30default_config_static_selectorELNS0_4arch9wavefront6targetE0EEEvT1_.kd
    .uniform_work_group_size: 1
    .uses_dynamic_stack: false
    .vgpr_count:     0
    .vgpr_spill_count: 0
    .wavefront_size: 32
    .workgroup_processor_mode: 1
  - .args:
      - .offset:         0
        .size:           136
        .value_kind:     by_value
    .group_segment_fixed_size: 0
    .kernarg_segment_align: 8
    .kernarg_segment_size: 136
    .language:       OpenCL C
    .language_version:
      - 2
      - 0
    .max_flat_workgroup_size: 64
    .name:           _ZN7rocprim17ROCPRIM_400000_NS6detail17trampoline_kernelINS0_14default_configENS1_27scan_by_key_config_selectorIllEEZZNS1_16scan_by_key_implILNS1_25lookback_scan_determinismE0ELb0ES3_N6thrust23THRUST_200600_302600_NS16reverse_iteratorIPKlEESD_NSA_IPlEElN6hipcub16HIPCUB_304000_NS3MaxENSH_8EqualityElEE10hipError_tPvRmT2_T3_T4_T5_mT6_T7_P12ihipStream_tbENKUlT_T0_E_clISt17integral_constantIbLb0EESZ_IbLb1EEEEDaSV_SW_EUlSV_E_NS1_11comp_targetILNS1_3genE4ELNS1_11target_archE910ELNS1_3gpuE8ELNS1_3repE0EEENS1_30default_config_static_selectorELNS0_4arch9wavefront6targetE0EEEvT1_
    .private_segment_fixed_size: 0
    .sgpr_count:     0
    .sgpr_spill_count: 0
    .symbol:         _ZN7rocprim17ROCPRIM_400000_NS6detail17trampoline_kernelINS0_14default_configENS1_27scan_by_key_config_selectorIllEEZZNS1_16scan_by_key_implILNS1_25lookback_scan_determinismE0ELb0ES3_N6thrust23THRUST_200600_302600_NS16reverse_iteratorIPKlEESD_NSA_IPlEElN6hipcub16HIPCUB_304000_NS3MaxENSH_8EqualityElEE10hipError_tPvRmT2_T3_T4_T5_mT6_T7_P12ihipStream_tbENKUlT_T0_E_clISt17integral_constantIbLb0EESZ_IbLb1EEEEDaSV_SW_EUlSV_E_NS1_11comp_targetILNS1_3genE4ELNS1_11target_archE910ELNS1_3gpuE8ELNS1_3repE0EEENS1_30default_config_static_selectorELNS0_4arch9wavefront6targetE0EEEvT1_.kd
    .uniform_work_group_size: 1
    .uses_dynamic_stack: false
    .vgpr_count:     0
    .vgpr_spill_count: 0
    .wavefront_size: 32
    .workgroup_processor_mode: 1
  - .args:
      - .offset:         0
        .size:           136
        .value_kind:     by_value
    .group_segment_fixed_size: 0
    .kernarg_segment_align: 8
    .kernarg_segment_size: 136
    .language:       OpenCL C
    .language_version:
      - 2
      - 0
    .max_flat_workgroup_size: 256
    .name:           _ZN7rocprim17ROCPRIM_400000_NS6detail17trampoline_kernelINS0_14default_configENS1_27scan_by_key_config_selectorIllEEZZNS1_16scan_by_key_implILNS1_25lookback_scan_determinismE0ELb0ES3_N6thrust23THRUST_200600_302600_NS16reverse_iteratorIPKlEESD_NSA_IPlEElN6hipcub16HIPCUB_304000_NS3MaxENSH_8EqualityElEE10hipError_tPvRmT2_T3_T4_T5_mT6_T7_P12ihipStream_tbENKUlT_T0_E_clISt17integral_constantIbLb0EESZ_IbLb1EEEEDaSV_SW_EUlSV_E_NS1_11comp_targetILNS1_3genE3ELNS1_11target_archE908ELNS1_3gpuE7ELNS1_3repE0EEENS1_30default_config_static_selectorELNS0_4arch9wavefront6targetE0EEEvT1_
    .private_segment_fixed_size: 0
    .sgpr_count:     0
    .sgpr_spill_count: 0
    .symbol:         _ZN7rocprim17ROCPRIM_400000_NS6detail17trampoline_kernelINS0_14default_configENS1_27scan_by_key_config_selectorIllEEZZNS1_16scan_by_key_implILNS1_25lookback_scan_determinismE0ELb0ES3_N6thrust23THRUST_200600_302600_NS16reverse_iteratorIPKlEESD_NSA_IPlEElN6hipcub16HIPCUB_304000_NS3MaxENSH_8EqualityElEE10hipError_tPvRmT2_T3_T4_T5_mT6_T7_P12ihipStream_tbENKUlT_T0_E_clISt17integral_constantIbLb0EESZ_IbLb1EEEEDaSV_SW_EUlSV_E_NS1_11comp_targetILNS1_3genE3ELNS1_11target_archE908ELNS1_3gpuE7ELNS1_3repE0EEENS1_30default_config_static_selectorELNS0_4arch9wavefront6targetE0EEEvT1_.kd
    .uniform_work_group_size: 1
    .uses_dynamic_stack: false
    .vgpr_count:     0
    .vgpr_spill_count: 0
    .wavefront_size: 32
    .workgroup_processor_mode: 1
  - .args:
      - .offset:         0
        .size:           136
        .value_kind:     by_value
    .group_segment_fixed_size: 0
    .kernarg_segment_align: 8
    .kernarg_segment_size: 136
    .language:       OpenCL C
    .language_version:
      - 2
      - 0
    .max_flat_workgroup_size: 256
    .name:           _ZN7rocprim17ROCPRIM_400000_NS6detail17trampoline_kernelINS0_14default_configENS1_27scan_by_key_config_selectorIllEEZZNS1_16scan_by_key_implILNS1_25lookback_scan_determinismE0ELb0ES3_N6thrust23THRUST_200600_302600_NS16reverse_iteratorIPKlEESD_NSA_IPlEElN6hipcub16HIPCUB_304000_NS3MaxENSH_8EqualityElEE10hipError_tPvRmT2_T3_T4_T5_mT6_T7_P12ihipStream_tbENKUlT_T0_E_clISt17integral_constantIbLb0EESZ_IbLb1EEEEDaSV_SW_EUlSV_E_NS1_11comp_targetILNS1_3genE2ELNS1_11target_archE906ELNS1_3gpuE6ELNS1_3repE0EEENS1_30default_config_static_selectorELNS0_4arch9wavefront6targetE0EEEvT1_
    .private_segment_fixed_size: 0
    .sgpr_count:     0
    .sgpr_spill_count: 0
    .symbol:         _ZN7rocprim17ROCPRIM_400000_NS6detail17trampoline_kernelINS0_14default_configENS1_27scan_by_key_config_selectorIllEEZZNS1_16scan_by_key_implILNS1_25lookback_scan_determinismE0ELb0ES3_N6thrust23THRUST_200600_302600_NS16reverse_iteratorIPKlEESD_NSA_IPlEElN6hipcub16HIPCUB_304000_NS3MaxENSH_8EqualityElEE10hipError_tPvRmT2_T3_T4_T5_mT6_T7_P12ihipStream_tbENKUlT_T0_E_clISt17integral_constantIbLb0EESZ_IbLb1EEEEDaSV_SW_EUlSV_E_NS1_11comp_targetILNS1_3genE2ELNS1_11target_archE906ELNS1_3gpuE6ELNS1_3repE0EEENS1_30default_config_static_selectorELNS0_4arch9wavefront6targetE0EEEvT1_.kd
    .uniform_work_group_size: 1
    .uses_dynamic_stack: false
    .vgpr_count:     0
    .vgpr_spill_count: 0
    .wavefront_size: 32
    .workgroup_processor_mode: 1
  - .args:
      - .offset:         0
        .size:           136
        .value_kind:     by_value
    .group_segment_fixed_size: 0
    .kernarg_segment_align: 8
    .kernarg_segment_size: 136
    .language:       OpenCL C
    .language_version:
      - 2
      - 0
    .max_flat_workgroup_size: 256
    .name:           _ZN7rocprim17ROCPRIM_400000_NS6detail17trampoline_kernelINS0_14default_configENS1_27scan_by_key_config_selectorIllEEZZNS1_16scan_by_key_implILNS1_25lookback_scan_determinismE0ELb0ES3_N6thrust23THRUST_200600_302600_NS16reverse_iteratorIPKlEESD_NSA_IPlEElN6hipcub16HIPCUB_304000_NS3MaxENSH_8EqualityElEE10hipError_tPvRmT2_T3_T4_T5_mT6_T7_P12ihipStream_tbENKUlT_T0_E_clISt17integral_constantIbLb0EESZ_IbLb1EEEEDaSV_SW_EUlSV_E_NS1_11comp_targetILNS1_3genE10ELNS1_11target_archE1200ELNS1_3gpuE4ELNS1_3repE0EEENS1_30default_config_static_selectorELNS0_4arch9wavefront6targetE0EEEvT1_
    .private_segment_fixed_size: 0
    .sgpr_count:     0
    .sgpr_spill_count: 0
    .symbol:         _ZN7rocprim17ROCPRIM_400000_NS6detail17trampoline_kernelINS0_14default_configENS1_27scan_by_key_config_selectorIllEEZZNS1_16scan_by_key_implILNS1_25lookback_scan_determinismE0ELb0ES3_N6thrust23THRUST_200600_302600_NS16reverse_iteratorIPKlEESD_NSA_IPlEElN6hipcub16HIPCUB_304000_NS3MaxENSH_8EqualityElEE10hipError_tPvRmT2_T3_T4_T5_mT6_T7_P12ihipStream_tbENKUlT_T0_E_clISt17integral_constantIbLb0EESZ_IbLb1EEEEDaSV_SW_EUlSV_E_NS1_11comp_targetILNS1_3genE10ELNS1_11target_archE1200ELNS1_3gpuE4ELNS1_3repE0EEENS1_30default_config_static_selectorELNS0_4arch9wavefront6targetE0EEEvT1_.kd
    .uniform_work_group_size: 1
    .uses_dynamic_stack: false
    .vgpr_count:     0
    .vgpr_spill_count: 0
    .wavefront_size: 32
    .workgroup_processor_mode: 1
  - .args:
      - .offset:         0
        .size:           136
        .value_kind:     by_value
    .group_segment_fixed_size: 0
    .kernarg_segment_align: 8
    .kernarg_segment_size: 136
    .language:       OpenCL C
    .language_version:
      - 2
      - 0
    .max_flat_workgroup_size: 256
    .name:           _ZN7rocprim17ROCPRIM_400000_NS6detail17trampoline_kernelINS0_14default_configENS1_27scan_by_key_config_selectorIllEEZZNS1_16scan_by_key_implILNS1_25lookback_scan_determinismE0ELb0ES3_N6thrust23THRUST_200600_302600_NS16reverse_iteratorIPKlEESD_NSA_IPlEElN6hipcub16HIPCUB_304000_NS3MaxENSH_8EqualityElEE10hipError_tPvRmT2_T3_T4_T5_mT6_T7_P12ihipStream_tbENKUlT_T0_E_clISt17integral_constantIbLb0EESZ_IbLb1EEEEDaSV_SW_EUlSV_E_NS1_11comp_targetILNS1_3genE9ELNS1_11target_archE1100ELNS1_3gpuE3ELNS1_3repE0EEENS1_30default_config_static_selectorELNS0_4arch9wavefront6targetE0EEEvT1_
    .private_segment_fixed_size: 0
    .sgpr_count:     0
    .sgpr_spill_count: 0
    .symbol:         _ZN7rocprim17ROCPRIM_400000_NS6detail17trampoline_kernelINS0_14default_configENS1_27scan_by_key_config_selectorIllEEZZNS1_16scan_by_key_implILNS1_25lookback_scan_determinismE0ELb0ES3_N6thrust23THRUST_200600_302600_NS16reverse_iteratorIPKlEESD_NSA_IPlEElN6hipcub16HIPCUB_304000_NS3MaxENSH_8EqualityElEE10hipError_tPvRmT2_T3_T4_T5_mT6_T7_P12ihipStream_tbENKUlT_T0_E_clISt17integral_constantIbLb0EESZ_IbLb1EEEEDaSV_SW_EUlSV_E_NS1_11comp_targetILNS1_3genE9ELNS1_11target_archE1100ELNS1_3gpuE3ELNS1_3repE0EEENS1_30default_config_static_selectorELNS0_4arch9wavefront6targetE0EEEvT1_.kd
    .uniform_work_group_size: 1
    .uses_dynamic_stack: false
    .vgpr_count:     0
    .vgpr_spill_count: 0
    .wavefront_size: 32
    .workgroup_processor_mode: 1
  - .args:
      - .offset:         0
        .size:           136
        .value_kind:     by_value
    .group_segment_fixed_size: 30720
    .kernarg_segment_align: 8
    .kernarg_segment_size: 136
    .language:       OpenCL C
    .language_version:
      - 2
      - 0
    .max_flat_workgroup_size: 256
    .name:           _ZN7rocprim17ROCPRIM_400000_NS6detail17trampoline_kernelINS0_14default_configENS1_27scan_by_key_config_selectorIllEEZZNS1_16scan_by_key_implILNS1_25lookback_scan_determinismE0ELb0ES3_N6thrust23THRUST_200600_302600_NS16reverse_iteratorIPKlEESD_NSA_IPlEElN6hipcub16HIPCUB_304000_NS3MaxENSH_8EqualityElEE10hipError_tPvRmT2_T3_T4_T5_mT6_T7_P12ihipStream_tbENKUlT_T0_E_clISt17integral_constantIbLb0EESZ_IbLb1EEEEDaSV_SW_EUlSV_E_NS1_11comp_targetILNS1_3genE8ELNS1_11target_archE1030ELNS1_3gpuE2ELNS1_3repE0EEENS1_30default_config_static_selectorELNS0_4arch9wavefront6targetE0EEEvT1_
    .private_segment_fixed_size: 0
    .sgpr_count:     61
    .sgpr_spill_count: 0
    .symbol:         _ZN7rocprim17ROCPRIM_400000_NS6detail17trampoline_kernelINS0_14default_configENS1_27scan_by_key_config_selectorIllEEZZNS1_16scan_by_key_implILNS1_25lookback_scan_determinismE0ELb0ES3_N6thrust23THRUST_200600_302600_NS16reverse_iteratorIPKlEESD_NSA_IPlEElN6hipcub16HIPCUB_304000_NS3MaxENSH_8EqualityElEE10hipError_tPvRmT2_T3_T4_T5_mT6_T7_P12ihipStream_tbENKUlT_T0_E_clISt17integral_constantIbLb0EESZ_IbLb1EEEEDaSV_SW_EUlSV_E_NS1_11comp_targetILNS1_3genE8ELNS1_11target_archE1030ELNS1_3gpuE2ELNS1_3repE0EEENS1_30default_config_static_selectorELNS0_4arch9wavefront6targetE0EEEvT1_.kd
    .uniform_work_group_size: 1
    .uses_dynamic_stack: false
    .vgpr_count:     100
    .vgpr_spill_count: 0
    .wavefront_size: 32
    .workgroup_processor_mode: 1
  - .args:
      - .address_space:  global
        .offset:         0
        .size:           8
        .value_kind:     global_buffer
      - .address_space:  global
        .offset:         8
        .size:           8
        .value_kind:     global_buffer
      - .offset:         16
        .size:           8
        .value_kind:     by_value
      - .offset:         24
        .size:           8
        .value_kind:     by_value
      - .offset:         32
        .size:           4
        .value_kind:     hidden_block_count_x
      - .offset:         36
        .size:           4
        .value_kind:     hidden_block_count_y
      - .offset:         40
        .size:           4
        .value_kind:     hidden_block_count_z
      - .offset:         44
        .size:           2
        .value_kind:     hidden_group_size_x
      - .offset:         46
        .size:           2
        .value_kind:     hidden_group_size_y
      - .offset:         48
        .size:           2
        .value_kind:     hidden_group_size_z
      - .offset:         50
        .size:           2
        .value_kind:     hidden_remainder_x
      - .offset:         52
        .size:           2
        .value_kind:     hidden_remainder_y
      - .offset:         54
        .size:           2
        .value_kind:     hidden_remainder_z
      - .offset:         72
        .size:           8
        .value_kind:     hidden_global_offset_x
      - .offset:         80
        .size:           8
        .value_kind:     hidden_global_offset_y
      - .offset:         88
        .size:           8
        .value_kind:     hidden_global_offset_z
      - .offset:         96
        .size:           2
        .value_kind:     hidden_grid_dims
    .group_segment_fixed_size: 0
    .kernarg_segment_align: 8
    .kernarg_segment_size: 288
    .language:       OpenCL C
    .language_version:
      - 2
      - 0
    .max_flat_workgroup_size: 1024
    .name:           _ZN2at6native12_GLOBAL__N_136embedding_renorm_wrap_indices_kernelIiEEvPKT_PS3_ll
    .private_segment_fixed_size: 0
    .sgpr_count:     18
    .sgpr_spill_count: 0
    .symbol:         _ZN2at6native12_GLOBAL__N_136embedding_renorm_wrap_indices_kernelIiEEvPKT_PS3_ll.kd
    .uniform_work_group_size: 1
    .uses_dynamic_stack: false
    .vgpr_count:     4
    .vgpr_spill_count: 0
    .wavefront_size: 32
    .workgroup_processor_mode: 1
  - .args:
      - .address_space:  global
        .offset:         0
        .size:           8
        .value_kind:     global_buffer
      - .offset:         8
        .size:           4
        .value_kind:     by_value
      - .offset:         12
        .size:           1
        .value_kind:     by_value
      - .offset:         16
        .size:           4
        .value_kind:     by_value
      - .address_space:  global
        .offset:         24
        .size:           8
        .value_kind:     global_buffer
      - .offset:         32
        .size:           4
        .value_kind:     hidden_block_count_x
      - .offset:         36
        .size:           4
        .value_kind:     hidden_block_count_y
      - .offset:         40
        .size:           4
        .value_kind:     hidden_block_count_z
      - .offset:         44
        .size:           2
        .value_kind:     hidden_group_size_x
      - .offset:         46
        .size:           2
        .value_kind:     hidden_group_size_y
      - .offset:         48
        .size:           2
        .value_kind:     hidden_group_size_z
      - .offset:         50
        .size:           2
        .value_kind:     hidden_remainder_x
      - .offset:         52
        .size:           2
        .value_kind:     hidden_remainder_y
      - .offset:         54
        .size:           2
        .value_kind:     hidden_remainder_z
      - .offset:         72
        .size:           8
        .value_kind:     hidden_global_offset_x
      - .offset:         80
        .size:           8
        .value_kind:     hidden_global_offset_y
      - .offset:         88
        .size:           8
        .value_kind:     hidden_global_offset_z
      - .offset:         96
        .size:           2
        .value_kind:     hidden_grid_dims
    .group_segment_fixed_size: 0
    .kernarg_segment_align: 8
    .kernarg_segment_size: 288
    .language:       OpenCL C
    .language_version:
      - 2
      - 0
    .max_flat_workgroup_size: 256
    .name:           _ZN7rocprim17ROCPRIM_400000_NS6detail31init_lookback_scan_state_kernelINS1_19lookback_scan_stateIjLb0ELb1EEENS1_16block_id_wrapperIjLb0EEEEEvT_jT0_jPNS7_10value_typeE
    .private_segment_fixed_size: 0
    .sgpr_count:     11
    .sgpr_spill_count: 0
    .symbol:         _ZN7rocprim17ROCPRIM_400000_NS6detail31init_lookback_scan_state_kernelINS1_19lookback_scan_stateIjLb0ELb1EEENS1_16block_id_wrapperIjLb0EEEEEvT_jT0_jPNS7_10value_typeE.kd
    .uniform_work_group_size: 1
    .uses_dynamic_stack: false
    .vgpr_count:     7
    .vgpr_spill_count: 0
    .wavefront_size: 32
    .workgroup_processor_mode: 1
  - .args:
      - .offset:         0
        .size:           112
        .value_kind:     by_value
    .group_segment_fixed_size: 0
    .kernarg_segment_align: 8
    .kernarg_segment_size: 112
    .language:       OpenCL C
    .language_version:
      - 2
      - 0
    .max_flat_workgroup_size: 512
    .name:           _ZN7rocprim17ROCPRIM_400000_NS6detail17trampoline_kernelINS0_14default_configENS1_25partition_config_selectorILNS1_17partition_subalgoE8EiNS0_10empty_typeEbEEZZNS1_14partition_implILS5_8ELb0ES3_jPKiPS6_PKS6_NS0_5tupleIJPiS6_EEENSE_IJSB_SB_EEENS0_18inequality_wrapperIN6hipcub16HIPCUB_304000_NS8EqualityEEEPlJS6_EEE10hipError_tPvRmT3_T4_T5_T6_T7_T9_mT8_P12ihipStream_tbDpT10_ENKUlT_T0_E_clISt17integral_constantIbLb0EES17_EEDaS12_S13_EUlS12_E_NS1_11comp_targetILNS1_3genE0ELNS1_11target_archE4294967295ELNS1_3gpuE0ELNS1_3repE0EEENS1_30default_config_static_selectorELNS0_4arch9wavefront6targetE0EEEvT1_
    .private_segment_fixed_size: 0
    .sgpr_count:     0
    .sgpr_spill_count: 0
    .symbol:         _ZN7rocprim17ROCPRIM_400000_NS6detail17trampoline_kernelINS0_14default_configENS1_25partition_config_selectorILNS1_17partition_subalgoE8EiNS0_10empty_typeEbEEZZNS1_14partition_implILS5_8ELb0ES3_jPKiPS6_PKS6_NS0_5tupleIJPiS6_EEENSE_IJSB_SB_EEENS0_18inequality_wrapperIN6hipcub16HIPCUB_304000_NS8EqualityEEEPlJS6_EEE10hipError_tPvRmT3_T4_T5_T6_T7_T9_mT8_P12ihipStream_tbDpT10_ENKUlT_T0_E_clISt17integral_constantIbLb0EES17_EEDaS12_S13_EUlS12_E_NS1_11comp_targetILNS1_3genE0ELNS1_11target_archE4294967295ELNS1_3gpuE0ELNS1_3repE0EEENS1_30default_config_static_selectorELNS0_4arch9wavefront6targetE0EEEvT1_.kd
    .uniform_work_group_size: 1
    .uses_dynamic_stack: false
    .vgpr_count:     0
    .vgpr_spill_count: 0
    .wavefront_size: 32
    .workgroup_processor_mode: 1
  - .args:
      - .offset:         0
        .size:           112
        .value_kind:     by_value
    .group_segment_fixed_size: 0
    .kernarg_segment_align: 8
    .kernarg_segment_size: 112
    .language:       OpenCL C
    .language_version:
      - 2
      - 0
    .max_flat_workgroup_size: 512
    .name:           _ZN7rocprim17ROCPRIM_400000_NS6detail17trampoline_kernelINS0_14default_configENS1_25partition_config_selectorILNS1_17partition_subalgoE8EiNS0_10empty_typeEbEEZZNS1_14partition_implILS5_8ELb0ES3_jPKiPS6_PKS6_NS0_5tupleIJPiS6_EEENSE_IJSB_SB_EEENS0_18inequality_wrapperIN6hipcub16HIPCUB_304000_NS8EqualityEEEPlJS6_EEE10hipError_tPvRmT3_T4_T5_T6_T7_T9_mT8_P12ihipStream_tbDpT10_ENKUlT_T0_E_clISt17integral_constantIbLb0EES17_EEDaS12_S13_EUlS12_E_NS1_11comp_targetILNS1_3genE5ELNS1_11target_archE942ELNS1_3gpuE9ELNS1_3repE0EEENS1_30default_config_static_selectorELNS0_4arch9wavefront6targetE0EEEvT1_
    .private_segment_fixed_size: 0
    .sgpr_count:     0
    .sgpr_spill_count: 0
    .symbol:         _ZN7rocprim17ROCPRIM_400000_NS6detail17trampoline_kernelINS0_14default_configENS1_25partition_config_selectorILNS1_17partition_subalgoE8EiNS0_10empty_typeEbEEZZNS1_14partition_implILS5_8ELb0ES3_jPKiPS6_PKS6_NS0_5tupleIJPiS6_EEENSE_IJSB_SB_EEENS0_18inequality_wrapperIN6hipcub16HIPCUB_304000_NS8EqualityEEEPlJS6_EEE10hipError_tPvRmT3_T4_T5_T6_T7_T9_mT8_P12ihipStream_tbDpT10_ENKUlT_T0_E_clISt17integral_constantIbLb0EES17_EEDaS12_S13_EUlS12_E_NS1_11comp_targetILNS1_3genE5ELNS1_11target_archE942ELNS1_3gpuE9ELNS1_3repE0EEENS1_30default_config_static_selectorELNS0_4arch9wavefront6targetE0EEEvT1_.kd
    .uniform_work_group_size: 1
    .uses_dynamic_stack: false
    .vgpr_count:     0
    .vgpr_spill_count: 0
    .wavefront_size: 32
    .workgroup_processor_mode: 1
  - .args:
      - .offset:         0
        .size:           112
        .value_kind:     by_value
    .group_segment_fixed_size: 0
    .kernarg_segment_align: 8
    .kernarg_segment_size: 112
    .language:       OpenCL C
    .language_version:
      - 2
      - 0
    .max_flat_workgroup_size: 256
    .name:           _ZN7rocprim17ROCPRIM_400000_NS6detail17trampoline_kernelINS0_14default_configENS1_25partition_config_selectorILNS1_17partition_subalgoE8EiNS0_10empty_typeEbEEZZNS1_14partition_implILS5_8ELb0ES3_jPKiPS6_PKS6_NS0_5tupleIJPiS6_EEENSE_IJSB_SB_EEENS0_18inequality_wrapperIN6hipcub16HIPCUB_304000_NS8EqualityEEEPlJS6_EEE10hipError_tPvRmT3_T4_T5_T6_T7_T9_mT8_P12ihipStream_tbDpT10_ENKUlT_T0_E_clISt17integral_constantIbLb0EES17_EEDaS12_S13_EUlS12_E_NS1_11comp_targetILNS1_3genE4ELNS1_11target_archE910ELNS1_3gpuE8ELNS1_3repE0EEENS1_30default_config_static_selectorELNS0_4arch9wavefront6targetE0EEEvT1_
    .private_segment_fixed_size: 0
    .sgpr_count:     0
    .sgpr_spill_count: 0
    .symbol:         _ZN7rocprim17ROCPRIM_400000_NS6detail17trampoline_kernelINS0_14default_configENS1_25partition_config_selectorILNS1_17partition_subalgoE8EiNS0_10empty_typeEbEEZZNS1_14partition_implILS5_8ELb0ES3_jPKiPS6_PKS6_NS0_5tupleIJPiS6_EEENSE_IJSB_SB_EEENS0_18inequality_wrapperIN6hipcub16HIPCUB_304000_NS8EqualityEEEPlJS6_EEE10hipError_tPvRmT3_T4_T5_T6_T7_T9_mT8_P12ihipStream_tbDpT10_ENKUlT_T0_E_clISt17integral_constantIbLb0EES17_EEDaS12_S13_EUlS12_E_NS1_11comp_targetILNS1_3genE4ELNS1_11target_archE910ELNS1_3gpuE8ELNS1_3repE0EEENS1_30default_config_static_selectorELNS0_4arch9wavefront6targetE0EEEvT1_.kd
    .uniform_work_group_size: 1
    .uses_dynamic_stack: false
    .vgpr_count:     0
    .vgpr_spill_count: 0
    .wavefront_size: 32
    .workgroup_processor_mode: 1
  - .args:
      - .offset:         0
        .size:           112
        .value_kind:     by_value
    .group_segment_fixed_size: 0
    .kernarg_segment_align: 8
    .kernarg_segment_size: 112
    .language:       OpenCL C
    .language_version:
      - 2
      - 0
    .max_flat_workgroup_size: 512
    .name:           _ZN7rocprim17ROCPRIM_400000_NS6detail17trampoline_kernelINS0_14default_configENS1_25partition_config_selectorILNS1_17partition_subalgoE8EiNS0_10empty_typeEbEEZZNS1_14partition_implILS5_8ELb0ES3_jPKiPS6_PKS6_NS0_5tupleIJPiS6_EEENSE_IJSB_SB_EEENS0_18inequality_wrapperIN6hipcub16HIPCUB_304000_NS8EqualityEEEPlJS6_EEE10hipError_tPvRmT3_T4_T5_T6_T7_T9_mT8_P12ihipStream_tbDpT10_ENKUlT_T0_E_clISt17integral_constantIbLb0EES17_EEDaS12_S13_EUlS12_E_NS1_11comp_targetILNS1_3genE3ELNS1_11target_archE908ELNS1_3gpuE7ELNS1_3repE0EEENS1_30default_config_static_selectorELNS0_4arch9wavefront6targetE0EEEvT1_
    .private_segment_fixed_size: 0
    .sgpr_count:     0
    .sgpr_spill_count: 0
    .symbol:         _ZN7rocprim17ROCPRIM_400000_NS6detail17trampoline_kernelINS0_14default_configENS1_25partition_config_selectorILNS1_17partition_subalgoE8EiNS0_10empty_typeEbEEZZNS1_14partition_implILS5_8ELb0ES3_jPKiPS6_PKS6_NS0_5tupleIJPiS6_EEENSE_IJSB_SB_EEENS0_18inequality_wrapperIN6hipcub16HIPCUB_304000_NS8EqualityEEEPlJS6_EEE10hipError_tPvRmT3_T4_T5_T6_T7_T9_mT8_P12ihipStream_tbDpT10_ENKUlT_T0_E_clISt17integral_constantIbLb0EES17_EEDaS12_S13_EUlS12_E_NS1_11comp_targetILNS1_3genE3ELNS1_11target_archE908ELNS1_3gpuE7ELNS1_3repE0EEENS1_30default_config_static_selectorELNS0_4arch9wavefront6targetE0EEEvT1_.kd
    .uniform_work_group_size: 1
    .uses_dynamic_stack: false
    .vgpr_count:     0
    .vgpr_spill_count: 0
    .wavefront_size: 32
    .workgroup_processor_mode: 1
  - .args:
      - .offset:         0
        .size:           112
        .value_kind:     by_value
    .group_segment_fixed_size: 0
    .kernarg_segment_align: 8
    .kernarg_segment_size: 112
    .language:       OpenCL C
    .language_version:
      - 2
      - 0
    .max_flat_workgroup_size: 256
    .name:           _ZN7rocprim17ROCPRIM_400000_NS6detail17trampoline_kernelINS0_14default_configENS1_25partition_config_selectorILNS1_17partition_subalgoE8EiNS0_10empty_typeEbEEZZNS1_14partition_implILS5_8ELb0ES3_jPKiPS6_PKS6_NS0_5tupleIJPiS6_EEENSE_IJSB_SB_EEENS0_18inequality_wrapperIN6hipcub16HIPCUB_304000_NS8EqualityEEEPlJS6_EEE10hipError_tPvRmT3_T4_T5_T6_T7_T9_mT8_P12ihipStream_tbDpT10_ENKUlT_T0_E_clISt17integral_constantIbLb0EES17_EEDaS12_S13_EUlS12_E_NS1_11comp_targetILNS1_3genE2ELNS1_11target_archE906ELNS1_3gpuE6ELNS1_3repE0EEENS1_30default_config_static_selectorELNS0_4arch9wavefront6targetE0EEEvT1_
    .private_segment_fixed_size: 0
    .sgpr_count:     0
    .sgpr_spill_count: 0
    .symbol:         _ZN7rocprim17ROCPRIM_400000_NS6detail17trampoline_kernelINS0_14default_configENS1_25partition_config_selectorILNS1_17partition_subalgoE8EiNS0_10empty_typeEbEEZZNS1_14partition_implILS5_8ELb0ES3_jPKiPS6_PKS6_NS0_5tupleIJPiS6_EEENSE_IJSB_SB_EEENS0_18inequality_wrapperIN6hipcub16HIPCUB_304000_NS8EqualityEEEPlJS6_EEE10hipError_tPvRmT3_T4_T5_T6_T7_T9_mT8_P12ihipStream_tbDpT10_ENKUlT_T0_E_clISt17integral_constantIbLb0EES17_EEDaS12_S13_EUlS12_E_NS1_11comp_targetILNS1_3genE2ELNS1_11target_archE906ELNS1_3gpuE6ELNS1_3repE0EEENS1_30default_config_static_selectorELNS0_4arch9wavefront6targetE0EEEvT1_.kd
    .uniform_work_group_size: 1
    .uses_dynamic_stack: false
    .vgpr_count:     0
    .vgpr_spill_count: 0
    .wavefront_size: 32
    .workgroup_processor_mode: 1
  - .args:
      - .offset:         0
        .size:           112
        .value_kind:     by_value
    .group_segment_fixed_size: 0
    .kernarg_segment_align: 8
    .kernarg_segment_size: 112
    .language:       OpenCL C
    .language_version:
      - 2
      - 0
    .max_flat_workgroup_size: 384
    .name:           _ZN7rocprim17ROCPRIM_400000_NS6detail17trampoline_kernelINS0_14default_configENS1_25partition_config_selectorILNS1_17partition_subalgoE8EiNS0_10empty_typeEbEEZZNS1_14partition_implILS5_8ELb0ES3_jPKiPS6_PKS6_NS0_5tupleIJPiS6_EEENSE_IJSB_SB_EEENS0_18inequality_wrapperIN6hipcub16HIPCUB_304000_NS8EqualityEEEPlJS6_EEE10hipError_tPvRmT3_T4_T5_T6_T7_T9_mT8_P12ihipStream_tbDpT10_ENKUlT_T0_E_clISt17integral_constantIbLb0EES17_EEDaS12_S13_EUlS12_E_NS1_11comp_targetILNS1_3genE10ELNS1_11target_archE1200ELNS1_3gpuE4ELNS1_3repE0EEENS1_30default_config_static_selectorELNS0_4arch9wavefront6targetE0EEEvT1_
    .private_segment_fixed_size: 0
    .sgpr_count:     0
    .sgpr_spill_count: 0
    .symbol:         _ZN7rocprim17ROCPRIM_400000_NS6detail17trampoline_kernelINS0_14default_configENS1_25partition_config_selectorILNS1_17partition_subalgoE8EiNS0_10empty_typeEbEEZZNS1_14partition_implILS5_8ELb0ES3_jPKiPS6_PKS6_NS0_5tupleIJPiS6_EEENSE_IJSB_SB_EEENS0_18inequality_wrapperIN6hipcub16HIPCUB_304000_NS8EqualityEEEPlJS6_EEE10hipError_tPvRmT3_T4_T5_T6_T7_T9_mT8_P12ihipStream_tbDpT10_ENKUlT_T0_E_clISt17integral_constantIbLb0EES17_EEDaS12_S13_EUlS12_E_NS1_11comp_targetILNS1_3genE10ELNS1_11target_archE1200ELNS1_3gpuE4ELNS1_3repE0EEENS1_30default_config_static_selectorELNS0_4arch9wavefront6targetE0EEEvT1_.kd
    .uniform_work_group_size: 1
    .uses_dynamic_stack: false
    .vgpr_count:     0
    .vgpr_spill_count: 0
    .wavefront_size: 32
    .workgroup_processor_mode: 1
  - .args:
      - .offset:         0
        .size:           112
        .value_kind:     by_value
    .group_segment_fixed_size: 0
    .kernarg_segment_align: 8
    .kernarg_segment_size: 112
    .language:       OpenCL C
    .language_version:
      - 2
      - 0
    .max_flat_workgroup_size: 384
    .name:           _ZN7rocprim17ROCPRIM_400000_NS6detail17trampoline_kernelINS0_14default_configENS1_25partition_config_selectorILNS1_17partition_subalgoE8EiNS0_10empty_typeEbEEZZNS1_14partition_implILS5_8ELb0ES3_jPKiPS6_PKS6_NS0_5tupleIJPiS6_EEENSE_IJSB_SB_EEENS0_18inequality_wrapperIN6hipcub16HIPCUB_304000_NS8EqualityEEEPlJS6_EEE10hipError_tPvRmT3_T4_T5_T6_T7_T9_mT8_P12ihipStream_tbDpT10_ENKUlT_T0_E_clISt17integral_constantIbLb0EES17_EEDaS12_S13_EUlS12_E_NS1_11comp_targetILNS1_3genE9ELNS1_11target_archE1100ELNS1_3gpuE3ELNS1_3repE0EEENS1_30default_config_static_selectorELNS0_4arch9wavefront6targetE0EEEvT1_
    .private_segment_fixed_size: 0
    .sgpr_count:     0
    .sgpr_spill_count: 0
    .symbol:         _ZN7rocprim17ROCPRIM_400000_NS6detail17trampoline_kernelINS0_14default_configENS1_25partition_config_selectorILNS1_17partition_subalgoE8EiNS0_10empty_typeEbEEZZNS1_14partition_implILS5_8ELb0ES3_jPKiPS6_PKS6_NS0_5tupleIJPiS6_EEENSE_IJSB_SB_EEENS0_18inequality_wrapperIN6hipcub16HIPCUB_304000_NS8EqualityEEEPlJS6_EEE10hipError_tPvRmT3_T4_T5_T6_T7_T9_mT8_P12ihipStream_tbDpT10_ENKUlT_T0_E_clISt17integral_constantIbLb0EES17_EEDaS12_S13_EUlS12_E_NS1_11comp_targetILNS1_3genE9ELNS1_11target_archE1100ELNS1_3gpuE3ELNS1_3repE0EEENS1_30default_config_static_selectorELNS0_4arch9wavefront6targetE0EEEvT1_.kd
    .uniform_work_group_size: 1
    .uses_dynamic_stack: false
    .vgpr_count:     0
    .vgpr_spill_count: 0
    .wavefront_size: 32
    .workgroup_processor_mode: 1
  - .args:
      - .offset:         0
        .size:           112
        .value_kind:     by_value
    .group_segment_fixed_size: 16904
    .kernarg_segment_align: 8
    .kernarg_segment_size: 112
    .language:       OpenCL C
    .language_version:
      - 2
      - 0
    .max_flat_workgroup_size: 512
    .name:           _ZN7rocprim17ROCPRIM_400000_NS6detail17trampoline_kernelINS0_14default_configENS1_25partition_config_selectorILNS1_17partition_subalgoE8EiNS0_10empty_typeEbEEZZNS1_14partition_implILS5_8ELb0ES3_jPKiPS6_PKS6_NS0_5tupleIJPiS6_EEENSE_IJSB_SB_EEENS0_18inequality_wrapperIN6hipcub16HIPCUB_304000_NS8EqualityEEEPlJS6_EEE10hipError_tPvRmT3_T4_T5_T6_T7_T9_mT8_P12ihipStream_tbDpT10_ENKUlT_T0_E_clISt17integral_constantIbLb0EES17_EEDaS12_S13_EUlS12_E_NS1_11comp_targetILNS1_3genE8ELNS1_11target_archE1030ELNS1_3gpuE2ELNS1_3repE0EEENS1_30default_config_static_selectorELNS0_4arch9wavefront6targetE0EEEvT1_
    .private_segment_fixed_size: 0
    .sgpr_count:     24
    .sgpr_spill_count: 0
    .symbol:         _ZN7rocprim17ROCPRIM_400000_NS6detail17trampoline_kernelINS0_14default_configENS1_25partition_config_selectorILNS1_17partition_subalgoE8EiNS0_10empty_typeEbEEZZNS1_14partition_implILS5_8ELb0ES3_jPKiPS6_PKS6_NS0_5tupleIJPiS6_EEENSE_IJSB_SB_EEENS0_18inequality_wrapperIN6hipcub16HIPCUB_304000_NS8EqualityEEEPlJS6_EEE10hipError_tPvRmT3_T4_T5_T6_T7_T9_mT8_P12ihipStream_tbDpT10_ENKUlT_T0_E_clISt17integral_constantIbLb0EES17_EEDaS12_S13_EUlS12_E_NS1_11comp_targetILNS1_3genE8ELNS1_11target_archE1030ELNS1_3gpuE2ELNS1_3repE0EEENS1_30default_config_static_selectorELNS0_4arch9wavefront6targetE0EEEvT1_.kd
    .uniform_work_group_size: 1
    .uses_dynamic_stack: false
    .vgpr_count:     46
    .vgpr_spill_count: 0
    .wavefront_size: 32
    .workgroup_processor_mode: 1
  - .args:
      - .offset:         0
        .size:           40
        .value_kind:     by_value
    .group_segment_fixed_size: 0
    .kernarg_segment_align: 8
    .kernarg_segment_size: 40
    .language:       OpenCL C
    .language_version:
      - 2
      - 0
    .max_flat_workgroup_size: 128
    .name:           _ZN7rocprim17ROCPRIM_400000_NS6detail17trampoline_kernelINS0_14default_configENS1_25transform_config_selectorImLb1EEEZNS1_14transform_implILb1ES3_S5_PmPlNS0_8identityIvEEEE10hipError_tT2_T3_mT4_P12ihipStream_tbEUlT_E_NS1_11comp_targetILNS1_3genE0ELNS1_11target_archE4294967295ELNS1_3gpuE0ELNS1_3repE0EEENS1_30default_config_static_selectorELNS0_4arch9wavefront6targetE0EEEvT1_
    .private_segment_fixed_size: 0
    .sgpr_count:     0
    .sgpr_spill_count: 0
    .symbol:         _ZN7rocprim17ROCPRIM_400000_NS6detail17trampoline_kernelINS0_14default_configENS1_25transform_config_selectorImLb1EEEZNS1_14transform_implILb1ES3_S5_PmPlNS0_8identityIvEEEE10hipError_tT2_T3_mT4_P12ihipStream_tbEUlT_E_NS1_11comp_targetILNS1_3genE0ELNS1_11target_archE4294967295ELNS1_3gpuE0ELNS1_3repE0EEENS1_30default_config_static_selectorELNS0_4arch9wavefront6targetE0EEEvT1_.kd
    .uniform_work_group_size: 1
    .uses_dynamic_stack: false
    .vgpr_count:     0
    .vgpr_spill_count: 0
    .wavefront_size: 32
    .workgroup_processor_mode: 1
  - .args:
      - .offset:         0
        .size:           40
        .value_kind:     by_value
    .group_segment_fixed_size: 0
    .kernarg_segment_align: 8
    .kernarg_segment_size: 40
    .language:       OpenCL C
    .language_version:
      - 2
      - 0
    .max_flat_workgroup_size: 1024
    .name:           _ZN7rocprim17ROCPRIM_400000_NS6detail17trampoline_kernelINS0_14default_configENS1_25transform_config_selectorImLb1EEEZNS1_14transform_implILb1ES3_S5_PmPlNS0_8identityIvEEEE10hipError_tT2_T3_mT4_P12ihipStream_tbEUlT_E_NS1_11comp_targetILNS1_3genE10ELNS1_11target_archE1201ELNS1_3gpuE5ELNS1_3repE0EEENS1_30default_config_static_selectorELNS0_4arch9wavefront6targetE0EEEvT1_
    .private_segment_fixed_size: 0
    .sgpr_count:     0
    .sgpr_spill_count: 0
    .symbol:         _ZN7rocprim17ROCPRIM_400000_NS6detail17trampoline_kernelINS0_14default_configENS1_25transform_config_selectorImLb1EEEZNS1_14transform_implILb1ES3_S5_PmPlNS0_8identityIvEEEE10hipError_tT2_T3_mT4_P12ihipStream_tbEUlT_E_NS1_11comp_targetILNS1_3genE10ELNS1_11target_archE1201ELNS1_3gpuE5ELNS1_3repE0EEENS1_30default_config_static_selectorELNS0_4arch9wavefront6targetE0EEEvT1_.kd
    .uniform_work_group_size: 1
    .uses_dynamic_stack: false
    .vgpr_count:     0
    .vgpr_spill_count: 0
    .wavefront_size: 32
    .workgroup_processor_mode: 1
  - .args:
      - .offset:         0
        .size:           40
        .value_kind:     by_value
    .group_segment_fixed_size: 0
    .kernarg_segment_align: 8
    .kernarg_segment_size: 40
    .language:       OpenCL C
    .language_version:
      - 2
      - 0
    .max_flat_workgroup_size: 512
    .name:           _ZN7rocprim17ROCPRIM_400000_NS6detail17trampoline_kernelINS0_14default_configENS1_25transform_config_selectorImLb1EEEZNS1_14transform_implILb1ES3_S5_PmPlNS0_8identityIvEEEE10hipError_tT2_T3_mT4_P12ihipStream_tbEUlT_E_NS1_11comp_targetILNS1_3genE5ELNS1_11target_archE942ELNS1_3gpuE9ELNS1_3repE0EEENS1_30default_config_static_selectorELNS0_4arch9wavefront6targetE0EEEvT1_
    .private_segment_fixed_size: 0
    .sgpr_count:     0
    .sgpr_spill_count: 0
    .symbol:         _ZN7rocprim17ROCPRIM_400000_NS6detail17trampoline_kernelINS0_14default_configENS1_25transform_config_selectorImLb1EEEZNS1_14transform_implILb1ES3_S5_PmPlNS0_8identityIvEEEE10hipError_tT2_T3_mT4_P12ihipStream_tbEUlT_E_NS1_11comp_targetILNS1_3genE5ELNS1_11target_archE942ELNS1_3gpuE9ELNS1_3repE0EEENS1_30default_config_static_selectorELNS0_4arch9wavefront6targetE0EEEvT1_.kd
    .uniform_work_group_size: 1
    .uses_dynamic_stack: false
    .vgpr_count:     0
    .vgpr_spill_count: 0
    .wavefront_size: 32
    .workgroup_processor_mode: 1
  - .args:
      - .offset:         0
        .size:           40
        .value_kind:     by_value
    .group_segment_fixed_size: 0
    .kernarg_segment_align: 8
    .kernarg_segment_size: 40
    .language:       OpenCL C
    .language_version:
      - 2
      - 0
    .max_flat_workgroup_size: 1024
    .name:           _ZN7rocprim17ROCPRIM_400000_NS6detail17trampoline_kernelINS0_14default_configENS1_25transform_config_selectorImLb1EEEZNS1_14transform_implILb1ES3_S5_PmPlNS0_8identityIvEEEE10hipError_tT2_T3_mT4_P12ihipStream_tbEUlT_E_NS1_11comp_targetILNS1_3genE4ELNS1_11target_archE910ELNS1_3gpuE8ELNS1_3repE0EEENS1_30default_config_static_selectorELNS0_4arch9wavefront6targetE0EEEvT1_
    .private_segment_fixed_size: 0
    .sgpr_count:     0
    .sgpr_spill_count: 0
    .symbol:         _ZN7rocprim17ROCPRIM_400000_NS6detail17trampoline_kernelINS0_14default_configENS1_25transform_config_selectorImLb1EEEZNS1_14transform_implILb1ES3_S5_PmPlNS0_8identityIvEEEE10hipError_tT2_T3_mT4_P12ihipStream_tbEUlT_E_NS1_11comp_targetILNS1_3genE4ELNS1_11target_archE910ELNS1_3gpuE8ELNS1_3repE0EEENS1_30default_config_static_selectorELNS0_4arch9wavefront6targetE0EEEvT1_.kd
    .uniform_work_group_size: 1
    .uses_dynamic_stack: false
    .vgpr_count:     0
    .vgpr_spill_count: 0
    .wavefront_size: 32
    .workgroup_processor_mode: 1
  - .args:
      - .offset:         0
        .size:           40
        .value_kind:     by_value
    .group_segment_fixed_size: 0
    .kernarg_segment_align: 8
    .kernarg_segment_size: 40
    .language:       OpenCL C
    .language_version:
      - 2
      - 0
    .max_flat_workgroup_size: 128
    .name:           _ZN7rocprim17ROCPRIM_400000_NS6detail17trampoline_kernelINS0_14default_configENS1_25transform_config_selectorImLb1EEEZNS1_14transform_implILb1ES3_S5_PmPlNS0_8identityIvEEEE10hipError_tT2_T3_mT4_P12ihipStream_tbEUlT_E_NS1_11comp_targetILNS1_3genE3ELNS1_11target_archE908ELNS1_3gpuE7ELNS1_3repE0EEENS1_30default_config_static_selectorELNS0_4arch9wavefront6targetE0EEEvT1_
    .private_segment_fixed_size: 0
    .sgpr_count:     0
    .sgpr_spill_count: 0
    .symbol:         _ZN7rocprim17ROCPRIM_400000_NS6detail17trampoline_kernelINS0_14default_configENS1_25transform_config_selectorImLb1EEEZNS1_14transform_implILb1ES3_S5_PmPlNS0_8identityIvEEEE10hipError_tT2_T3_mT4_P12ihipStream_tbEUlT_E_NS1_11comp_targetILNS1_3genE3ELNS1_11target_archE908ELNS1_3gpuE7ELNS1_3repE0EEENS1_30default_config_static_selectorELNS0_4arch9wavefront6targetE0EEEvT1_.kd
    .uniform_work_group_size: 1
    .uses_dynamic_stack: false
    .vgpr_count:     0
    .vgpr_spill_count: 0
    .wavefront_size: 32
    .workgroup_processor_mode: 1
  - .args:
      - .offset:         0
        .size:           40
        .value_kind:     by_value
    .group_segment_fixed_size: 0
    .kernarg_segment_align: 8
    .kernarg_segment_size: 40
    .language:       OpenCL C
    .language_version:
      - 2
      - 0
    .max_flat_workgroup_size: 512
    .name:           _ZN7rocprim17ROCPRIM_400000_NS6detail17trampoline_kernelINS0_14default_configENS1_25transform_config_selectorImLb1EEEZNS1_14transform_implILb1ES3_S5_PmPlNS0_8identityIvEEEE10hipError_tT2_T3_mT4_P12ihipStream_tbEUlT_E_NS1_11comp_targetILNS1_3genE2ELNS1_11target_archE906ELNS1_3gpuE6ELNS1_3repE0EEENS1_30default_config_static_selectorELNS0_4arch9wavefront6targetE0EEEvT1_
    .private_segment_fixed_size: 0
    .sgpr_count:     0
    .sgpr_spill_count: 0
    .symbol:         _ZN7rocprim17ROCPRIM_400000_NS6detail17trampoline_kernelINS0_14default_configENS1_25transform_config_selectorImLb1EEEZNS1_14transform_implILb1ES3_S5_PmPlNS0_8identityIvEEEE10hipError_tT2_T3_mT4_P12ihipStream_tbEUlT_E_NS1_11comp_targetILNS1_3genE2ELNS1_11target_archE906ELNS1_3gpuE6ELNS1_3repE0EEENS1_30default_config_static_selectorELNS0_4arch9wavefront6targetE0EEEvT1_.kd
    .uniform_work_group_size: 1
    .uses_dynamic_stack: false
    .vgpr_count:     0
    .vgpr_spill_count: 0
    .wavefront_size: 32
    .workgroup_processor_mode: 1
  - .args:
      - .offset:         0
        .size:           40
        .value_kind:     by_value
    .group_segment_fixed_size: 0
    .kernarg_segment_align: 8
    .kernarg_segment_size: 40
    .language:       OpenCL C
    .language_version:
      - 2
      - 0
    .max_flat_workgroup_size: 1024
    .name:           _ZN7rocprim17ROCPRIM_400000_NS6detail17trampoline_kernelINS0_14default_configENS1_25transform_config_selectorImLb1EEEZNS1_14transform_implILb1ES3_S5_PmPlNS0_8identityIvEEEE10hipError_tT2_T3_mT4_P12ihipStream_tbEUlT_E_NS1_11comp_targetILNS1_3genE9ELNS1_11target_archE1100ELNS1_3gpuE3ELNS1_3repE0EEENS1_30default_config_static_selectorELNS0_4arch9wavefront6targetE0EEEvT1_
    .private_segment_fixed_size: 0
    .sgpr_count:     0
    .sgpr_spill_count: 0
    .symbol:         _ZN7rocprim17ROCPRIM_400000_NS6detail17trampoline_kernelINS0_14default_configENS1_25transform_config_selectorImLb1EEEZNS1_14transform_implILb1ES3_S5_PmPlNS0_8identityIvEEEE10hipError_tT2_T3_mT4_P12ihipStream_tbEUlT_E_NS1_11comp_targetILNS1_3genE9ELNS1_11target_archE1100ELNS1_3gpuE3ELNS1_3repE0EEENS1_30default_config_static_selectorELNS0_4arch9wavefront6targetE0EEEvT1_.kd
    .uniform_work_group_size: 1
    .uses_dynamic_stack: false
    .vgpr_count:     0
    .vgpr_spill_count: 0
    .wavefront_size: 32
    .workgroup_processor_mode: 1
  - .args:
      - .offset:         0
        .size:           40
        .value_kind:     by_value
      - .offset:         40
        .size:           4
        .value_kind:     hidden_block_count_x
      - .offset:         44
        .size:           4
        .value_kind:     hidden_block_count_y
      - .offset:         48
        .size:           4
        .value_kind:     hidden_block_count_z
      - .offset:         52
        .size:           2
        .value_kind:     hidden_group_size_x
      - .offset:         54
        .size:           2
        .value_kind:     hidden_group_size_y
      - .offset:         56
        .size:           2
        .value_kind:     hidden_group_size_z
      - .offset:         58
        .size:           2
        .value_kind:     hidden_remainder_x
      - .offset:         60
        .size:           2
        .value_kind:     hidden_remainder_y
      - .offset:         62
        .size:           2
        .value_kind:     hidden_remainder_z
      - .offset:         80
        .size:           8
        .value_kind:     hidden_global_offset_x
      - .offset:         88
        .size:           8
        .value_kind:     hidden_global_offset_y
      - .offset:         96
        .size:           8
        .value_kind:     hidden_global_offset_z
      - .offset:         104
        .size:           2
        .value_kind:     hidden_grid_dims
    .group_segment_fixed_size: 0
    .kernarg_segment_align: 8
    .kernarg_segment_size: 296
    .language:       OpenCL C
    .language_version:
      - 2
      - 0
    .max_flat_workgroup_size: 1024
    .name:           _ZN7rocprim17ROCPRIM_400000_NS6detail17trampoline_kernelINS0_14default_configENS1_25transform_config_selectorImLb1EEEZNS1_14transform_implILb1ES3_S5_PmPlNS0_8identityIvEEEE10hipError_tT2_T3_mT4_P12ihipStream_tbEUlT_E_NS1_11comp_targetILNS1_3genE8ELNS1_11target_archE1030ELNS1_3gpuE2ELNS1_3repE0EEENS1_30default_config_static_selectorELNS0_4arch9wavefront6targetE0EEEvT1_
    .private_segment_fixed_size: 0
    .sgpr_count:     14
    .sgpr_spill_count: 0
    .symbol:         _ZN7rocprim17ROCPRIM_400000_NS6detail17trampoline_kernelINS0_14default_configENS1_25transform_config_selectorImLb1EEEZNS1_14transform_implILb1ES3_S5_PmPlNS0_8identityIvEEEE10hipError_tT2_T3_mT4_P12ihipStream_tbEUlT_E_NS1_11comp_targetILNS1_3genE8ELNS1_11target_archE1030ELNS1_3gpuE2ELNS1_3repE0EEENS1_30default_config_static_selectorELNS0_4arch9wavefront6targetE0EEEvT1_.kd
    .uniform_work_group_size: 1
    .uses_dynamic_stack: false
    .vgpr_count:     3
    .vgpr_spill_count: 0
    .wavefront_size: 32
    .workgroup_processor_mode: 1
  - .args:
      - .address_space:  global
        .offset:         0
        .size:           8
        .value_kind:     global_buffer
      - .offset:         8
        .size:           4
        .value_kind:     by_value
      - .address_space:  global
        .offset:         16
        .size:           8
        .value_kind:     global_buffer
      - .offset:         24
        .size:           4
        .value_kind:     by_value
      - .address_space:  global
        .offset:         32
        .size:           8
        .value_kind:     global_buffer
      - .offset:         40
        .size:           4
        .value_kind:     hidden_block_count_x
      - .offset:         44
        .size:           4
        .value_kind:     hidden_block_count_y
      - .offset:         48
        .size:           4
        .value_kind:     hidden_block_count_z
      - .offset:         52
        .size:           2
        .value_kind:     hidden_group_size_x
      - .offset:         54
        .size:           2
        .value_kind:     hidden_group_size_y
      - .offset:         56
        .size:           2
        .value_kind:     hidden_group_size_z
      - .offset:         58
        .size:           2
        .value_kind:     hidden_remainder_x
      - .offset:         60
        .size:           2
        .value_kind:     hidden_remainder_y
      - .offset:         62
        .size:           2
        .value_kind:     hidden_remainder_z
      - .offset:         80
        .size:           8
        .value_kind:     hidden_global_offset_x
      - .offset:         88
        .size:           8
        .value_kind:     hidden_global_offset_y
      - .offset:         96
        .size:           8
        .value_kind:     hidden_global_offset_z
      - .offset:         104
        .size:           2
        .value_kind:     hidden_grid_dims
    .group_segment_fixed_size: 0
    .kernarg_segment_align: 8
    .kernarg_segment_size: 296
    .language:       OpenCL C
    .language_version:
      - 2
      - 0
    .max_flat_workgroup_size: 256
    .name:           _ZN7rocprim17ROCPRIM_400000_NS6detail31init_lookback_scan_state_kernelINS1_19lookback_scan_stateIjLb1ELb1EEENS1_16block_id_wrapperIjLb1EEEEEvT_jT0_jPNS7_10value_typeE
    .private_segment_fixed_size: 0
    .sgpr_count:     14
    .sgpr_spill_count: 0
    .symbol:         _ZN7rocprim17ROCPRIM_400000_NS6detail31init_lookback_scan_state_kernelINS1_19lookback_scan_stateIjLb1ELb1EEENS1_16block_id_wrapperIjLb1EEEEEvT_jT0_jPNS7_10value_typeE.kd
    .uniform_work_group_size: 1
    .uses_dynamic_stack: false
    .vgpr_count:     7
    .vgpr_spill_count: 0
    .wavefront_size: 32
    .workgroup_processor_mode: 1
  - .args:
      - .offset:         0
        .size:           128
        .value_kind:     by_value
    .group_segment_fixed_size: 0
    .kernarg_segment_align: 8
    .kernarg_segment_size: 128
    .language:       OpenCL C
    .language_version:
      - 2
      - 0
    .max_flat_workgroup_size: 512
    .name:           _ZN7rocprim17ROCPRIM_400000_NS6detail17trampoline_kernelINS0_14default_configENS1_25partition_config_selectorILNS1_17partition_subalgoE8EiNS0_10empty_typeEbEEZZNS1_14partition_implILS5_8ELb0ES3_jPKiPS6_PKS6_NS0_5tupleIJPiS6_EEENSE_IJSB_SB_EEENS0_18inequality_wrapperIN6hipcub16HIPCUB_304000_NS8EqualityEEEPlJS6_EEE10hipError_tPvRmT3_T4_T5_T6_T7_T9_mT8_P12ihipStream_tbDpT10_ENKUlT_T0_E_clISt17integral_constantIbLb1EES17_EEDaS12_S13_EUlS12_E_NS1_11comp_targetILNS1_3genE0ELNS1_11target_archE4294967295ELNS1_3gpuE0ELNS1_3repE0EEENS1_30default_config_static_selectorELNS0_4arch9wavefront6targetE0EEEvT1_
    .private_segment_fixed_size: 0
    .sgpr_count:     0
    .sgpr_spill_count: 0
    .symbol:         _ZN7rocprim17ROCPRIM_400000_NS6detail17trampoline_kernelINS0_14default_configENS1_25partition_config_selectorILNS1_17partition_subalgoE8EiNS0_10empty_typeEbEEZZNS1_14partition_implILS5_8ELb0ES3_jPKiPS6_PKS6_NS0_5tupleIJPiS6_EEENSE_IJSB_SB_EEENS0_18inequality_wrapperIN6hipcub16HIPCUB_304000_NS8EqualityEEEPlJS6_EEE10hipError_tPvRmT3_T4_T5_T6_T7_T9_mT8_P12ihipStream_tbDpT10_ENKUlT_T0_E_clISt17integral_constantIbLb1EES17_EEDaS12_S13_EUlS12_E_NS1_11comp_targetILNS1_3genE0ELNS1_11target_archE4294967295ELNS1_3gpuE0ELNS1_3repE0EEENS1_30default_config_static_selectorELNS0_4arch9wavefront6targetE0EEEvT1_.kd
    .uniform_work_group_size: 1
    .uses_dynamic_stack: false
    .vgpr_count:     0
    .vgpr_spill_count: 0
    .wavefront_size: 32
    .workgroup_processor_mode: 1
  - .args:
      - .offset:         0
        .size:           128
        .value_kind:     by_value
    .group_segment_fixed_size: 0
    .kernarg_segment_align: 8
    .kernarg_segment_size: 128
    .language:       OpenCL C
    .language_version:
      - 2
      - 0
    .max_flat_workgroup_size: 512
    .name:           _ZN7rocprim17ROCPRIM_400000_NS6detail17trampoline_kernelINS0_14default_configENS1_25partition_config_selectorILNS1_17partition_subalgoE8EiNS0_10empty_typeEbEEZZNS1_14partition_implILS5_8ELb0ES3_jPKiPS6_PKS6_NS0_5tupleIJPiS6_EEENSE_IJSB_SB_EEENS0_18inequality_wrapperIN6hipcub16HIPCUB_304000_NS8EqualityEEEPlJS6_EEE10hipError_tPvRmT3_T4_T5_T6_T7_T9_mT8_P12ihipStream_tbDpT10_ENKUlT_T0_E_clISt17integral_constantIbLb1EES17_EEDaS12_S13_EUlS12_E_NS1_11comp_targetILNS1_3genE5ELNS1_11target_archE942ELNS1_3gpuE9ELNS1_3repE0EEENS1_30default_config_static_selectorELNS0_4arch9wavefront6targetE0EEEvT1_
    .private_segment_fixed_size: 0
    .sgpr_count:     0
    .sgpr_spill_count: 0
    .symbol:         _ZN7rocprim17ROCPRIM_400000_NS6detail17trampoline_kernelINS0_14default_configENS1_25partition_config_selectorILNS1_17partition_subalgoE8EiNS0_10empty_typeEbEEZZNS1_14partition_implILS5_8ELb0ES3_jPKiPS6_PKS6_NS0_5tupleIJPiS6_EEENSE_IJSB_SB_EEENS0_18inequality_wrapperIN6hipcub16HIPCUB_304000_NS8EqualityEEEPlJS6_EEE10hipError_tPvRmT3_T4_T5_T6_T7_T9_mT8_P12ihipStream_tbDpT10_ENKUlT_T0_E_clISt17integral_constantIbLb1EES17_EEDaS12_S13_EUlS12_E_NS1_11comp_targetILNS1_3genE5ELNS1_11target_archE942ELNS1_3gpuE9ELNS1_3repE0EEENS1_30default_config_static_selectorELNS0_4arch9wavefront6targetE0EEEvT1_.kd
    .uniform_work_group_size: 1
    .uses_dynamic_stack: false
    .vgpr_count:     0
    .vgpr_spill_count: 0
    .wavefront_size: 32
    .workgroup_processor_mode: 1
  - .args:
      - .offset:         0
        .size:           128
        .value_kind:     by_value
    .group_segment_fixed_size: 0
    .kernarg_segment_align: 8
    .kernarg_segment_size: 128
    .language:       OpenCL C
    .language_version:
      - 2
      - 0
    .max_flat_workgroup_size: 256
    .name:           _ZN7rocprim17ROCPRIM_400000_NS6detail17trampoline_kernelINS0_14default_configENS1_25partition_config_selectorILNS1_17partition_subalgoE8EiNS0_10empty_typeEbEEZZNS1_14partition_implILS5_8ELb0ES3_jPKiPS6_PKS6_NS0_5tupleIJPiS6_EEENSE_IJSB_SB_EEENS0_18inequality_wrapperIN6hipcub16HIPCUB_304000_NS8EqualityEEEPlJS6_EEE10hipError_tPvRmT3_T4_T5_T6_T7_T9_mT8_P12ihipStream_tbDpT10_ENKUlT_T0_E_clISt17integral_constantIbLb1EES17_EEDaS12_S13_EUlS12_E_NS1_11comp_targetILNS1_3genE4ELNS1_11target_archE910ELNS1_3gpuE8ELNS1_3repE0EEENS1_30default_config_static_selectorELNS0_4arch9wavefront6targetE0EEEvT1_
    .private_segment_fixed_size: 0
    .sgpr_count:     0
    .sgpr_spill_count: 0
    .symbol:         _ZN7rocprim17ROCPRIM_400000_NS6detail17trampoline_kernelINS0_14default_configENS1_25partition_config_selectorILNS1_17partition_subalgoE8EiNS0_10empty_typeEbEEZZNS1_14partition_implILS5_8ELb0ES3_jPKiPS6_PKS6_NS0_5tupleIJPiS6_EEENSE_IJSB_SB_EEENS0_18inequality_wrapperIN6hipcub16HIPCUB_304000_NS8EqualityEEEPlJS6_EEE10hipError_tPvRmT3_T4_T5_T6_T7_T9_mT8_P12ihipStream_tbDpT10_ENKUlT_T0_E_clISt17integral_constantIbLb1EES17_EEDaS12_S13_EUlS12_E_NS1_11comp_targetILNS1_3genE4ELNS1_11target_archE910ELNS1_3gpuE8ELNS1_3repE0EEENS1_30default_config_static_selectorELNS0_4arch9wavefront6targetE0EEEvT1_.kd
    .uniform_work_group_size: 1
    .uses_dynamic_stack: false
    .vgpr_count:     0
    .vgpr_spill_count: 0
    .wavefront_size: 32
    .workgroup_processor_mode: 1
  - .args:
      - .offset:         0
        .size:           128
        .value_kind:     by_value
    .group_segment_fixed_size: 0
    .kernarg_segment_align: 8
    .kernarg_segment_size: 128
    .language:       OpenCL C
    .language_version:
      - 2
      - 0
    .max_flat_workgroup_size: 512
    .name:           _ZN7rocprim17ROCPRIM_400000_NS6detail17trampoline_kernelINS0_14default_configENS1_25partition_config_selectorILNS1_17partition_subalgoE8EiNS0_10empty_typeEbEEZZNS1_14partition_implILS5_8ELb0ES3_jPKiPS6_PKS6_NS0_5tupleIJPiS6_EEENSE_IJSB_SB_EEENS0_18inequality_wrapperIN6hipcub16HIPCUB_304000_NS8EqualityEEEPlJS6_EEE10hipError_tPvRmT3_T4_T5_T6_T7_T9_mT8_P12ihipStream_tbDpT10_ENKUlT_T0_E_clISt17integral_constantIbLb1EES17_EEDaS12_S13_EUlS12_E_NS1_11comp_targetILNS1_3genE3ELNS1_11target_archE908ELNS1_3gpuE7ELNS1_3repE0EEENS1_30default_config_static_selectorELNS0_4arch9wavefront6targetE0EEEvT1_
    .private_segment_fixed_size: 0
    .sgpr_count:     0
    .sgpr_spill_count: 0
    .symbol:         _ZN7rocprim17ROCPRIM_400000_NS6detail17trampoline_kernelINS0_14default_configENS1_25partition_config_selectorILNS1_17partition_subalgoE8EiNS0_10empty_typeEbEEZZNS1_14partition_implILS5_8ELb0ES3_jPKiPS6_PKS6_NS0_5tupleIJPiS6_EEENSE_IJSB_SB_EEENS0_18inequality_wrapperIN6hipcub16HIPCUB_304000_NS8EqualityEEEPlJS6_EEE10hipError_tPvRmT3_T4_T5_T6_T7_T9_mT8_P12ihipStream_tbDpT10_ENKUlT_T0_E_clISt17integral_constantIbLb1EES17_EEDaS12_S13_EUlS12_E_NS1_11comp_targetILNS1_3genE3ELNS1_11target_archE908ELNS1_3gpuE7ELNS1_3repE0EEENS1_30default_config_static_selectorELNS0_4arch9wavefront6targetE0EEEvT1_.kd
    .uniform_work_group_size: 1
    .uses_dynamic_stack: false
    .vgpr_count:     0
    .vgpr_spill_count: 0
    .wavefront_size: 32
    .workgroup_processor_mode: 1
  - .args:
      - .offset:         0
        .size:           128
        .value_kind:     by_value
    .group_segment_fixed_size: 0
    .kernarg_segment_align: 8
    .kernarg_segment_size: 128
    .language:       OpenCL C
    .language_version:
      - 2
      - 0
    .max_flat_workgroup_size: 256
    .name:           _ZN7rocprim17ROCPRIM_400000_NS6detail17trampoline_kernelINS0_14default_configENS1_25partition_config_selectorILNS1_17partition_subalgoE8EiNS0_10empty_typeEbEEZZNS1_14partition_implILS5_8ELb0ES3_jPKiPS6_PKS6_NS0_5tupleIJPiS6_EEENSE_IJSB_SB_EEENS0_18inequality_wrapperIN6hipcub16HIPCUB_304000_NS8EqualityEEEPlJS6_EEE10hipError_tPvRmT3_T4_T5_T6_T7_T9_mT8_P12ihipStream_tbDpT10_ENKUlT_T0_E_clISt17integral_constantIbLb1EES17_EEDaS12_S13_EUlS12_E_NS1_11comp_targetILNS1_3genE2ELNS1_11target_archE906ELNS1_3gpuE6ELNS1_3repE0EEENS1_30default_config_static_selectorELNS0_4arch9wavefront6targetE0EEEvT1_
    .private_segment_fixed_size: 0
    .sgpr_count:     0
    .sgpr_spill_count: 0
    .symbol:         _ZN7rocprim17ROCPRIM_400000_NS6detail17trampoline_kernelINS0_14default_configENS1_25partition_config_selectorILNS1_17partition_subalgoE8EiNS0_10empty_typeEbEEZZNS1_14partition_implILS5_8ELb0ES3_jPKiPS6_PKS6_NS0_5tupleIJPiS6_EEENSE_IJSB_SB_EEENS0_18inequality_wrapperIN6hipcub16HIPCUB_304000_NS8EqualityEEEPlJS6_EEE10hipError_tPvRmT3_T4_T5_T6_T7_T9_mT8_P12ihipStream_tbDpT10_ENKUlT_T0_E_clISt17integral_constantIbLb1EES17_EEDaS12_S13_EUlS12_E_NS1_11comp_targetILNS1_3genE2ELNS1_11target_archE906ELNS1_3gpuE6ELNS1_3repE0EEENS1_30default_config_static_selectorELNS0_4arch9wavefront6targetE0EEEvT1_.kd
    .uniform_work_group_size: 1
    .uses_dynamic_stack: false
    .vgpr_count:     0
    .vgpr_spill_count: 0
    .wavefront_size: 32
    .workgroup_processor_mode: 1
  - .args:
      - .offset:         0
        .size:           128
        .value_kind:     by_value
    .group_segment_fixed_size: 0
    .kernarg_segment_align: 8
    .kernarg_segment_size: 128
    .language:       OpenCL C
    .language_version:
      - 2
      - 0
    .max_flat_workgroup_size: 384
    .name:           _ZN7rocprim17ROCPRIM_400000_NS6detail17trampoline_kernelINS0_14default_configENS1_25partition_config_selectorILNS1_17partition_subalgoE8EiNS0_10empty_typeEbEEZZNS1_14partition_implILS5_8ELb0ES3_jPKiPS6_PKS6_NS0_5tupleIJPiS6_EEENSE_IJSB_SB_EEENS0_18inequality_wrapperIN6hipcub16HIPCUB_304000_NS8EqualityEEEPlJS6_EEE10hipError_tPvRmT3_T4_T5_T6_T7_T9_mT8_P12ihipStream_tbDpT10_ENKUlT_T0_E_clISt17integral_constantIbLb1EES17_EEDaS12_S13_EUlS12_E_NS1_11comp_targetILNS1_3genE10ELNS1_11target_archE1200ELNS1_3gpuE4ELNS1_3repE0EEENS1_30default_config_static_selectorELNS0_4arch9wavefront6targetE0EEEvT1_
    .private_segment_fixed_size: 0
    .sgpr_count:     0
    .sgpr_spill_count: 0
    .symbol:         _ZN7rocprim17ROCPRIM_400000_NS6detail17trampoline_kernelINS0_14default_configENS1_25partition_config_selectorILNS1_17partition_subalgoE8EiNS0_10empty_typeEbEEZZNS1_14partition_implILS5_8ELb0ES3_jPKiPS6_PKS6_NS0_5tupleIJPiS6_EEENSE_IJSB_SB_EEENS0_18inequality_wrapperIN6hipcub16HIPCUB_304000_NS8EqualityEEEPlJS6_EEE10hipError_tPvRmT3_T4_T5_T6_T7_T9_mT8_P12ihipStream_tbDpT10_ENKUlT_T0_E_clISt17integral_constantIbLb1EES17_EEDaS12_S13_EUlS12_E_NS1_11comp_targetILNS1_3genE10ELNS1_11target_archE1200ELNS1_3gpuE4ELNS1_3repE0EEENS1_30default_config_static_selectorELNS0_4arch9wavefront6targetE0EEEvT1_.kd
    .uniform_work_group_size: 1
    .uses_dynamic_stack: false
    .vgpr_count:     0
    .vgpr_spill_count: 0
    .wavefront_size: 32
    .workgroup_processor_mode: 1
  - .args:
      - .offset:         0
        .size:           128
        .value_kind:     by_value
    .group_segment_fixed_size: 0
    .kernarg_segment_align: 8
    .kernarg_segment_size: 128
    .language:       OpenCL C
    .language_version:
      - 2
      - 0
    .max_flat_workgroup_size: 384
    .name:           _ZN7rocprim17ROCPRIM_400000_NS6detail17trampoline_kernelINS0_14default_configENS1_25partition_config_selectorILNS1_17partition_subalgoE8EiNS0_10empty_typeEbEEZZNS1_14partition_implILS5_8ELb0ES3_jPKiPS6_PKS6_NS0_5tupleIJPiS6_EEENSE_IJSB_SB_EEENS0_18inequality_wrapperIN6hipcub16HIPCUB_304000_NS8EqualityEEEPlJS6_EEE10hipError_tPvRmT3_T4_T5_T6_T7_T9_mT8_P12ihipStream_tbDpT10_ENKUlT_T0_E_clISt17integral_constantIbLb1EES17_EEDaS12_S13_EUlS12_E_NS1_11comp_targetILNS1_3genE9ELNS1_11target_archE1100ELNS1_3gpuE3ELNS1_3repE0EEENS1_30default_config_static_selectorELNS0_4arch9wavefront6targetE0EEEvT1_
    .private_segment_fixed_size: 0
    .sgpr_count:     0
    .sgpr_spill_count: 0
    .symbol:         _ZN7rocprim17ROCPRIM_400000_NS6detail17trampoline_kernelINS0_14default_configENS1_25partition_config_selectorILNS1_17partition_subalgoE8EiNS0_10empty_typeEbEEZZNS1_14partition_implILS5_8ELb0ES3_jPKiPS6_PKS6_NS0_5tupleIJPiS6_EEENSE_IJSB_SB_EEENS0_18inequality_wrapperIN6hipcub16HIPCUB_304000_NS8EqualityEEEPlJS6_EEE10hipError_tPvRmT3_T4_T5_T6_T7_T9_mT8_P12ihipStream_tbDpT10_ENKUlT_T0_E_clISt17integral_constantIbLb1EES17_EEDaS12_S13_EUlS12_E_NS1_11comp_targetILNS1_3genE9ELNS1_11target_archE1100ELNS1_3gpuE3ELNS1_3repE0EEENS1_30default_config_static_selectorELNS0_4arch9wavefront6targetE0EEEvT1_.kd
    .uniform_work_group_size: 1
    .uses_dynamic_stack: false
    .vgpr_count:     0
    .vgpr_spill_count: 0
    .wavefront_size: 32
    .workgroup_processor_mode: 1
  - .args:
      - .offset:         0
        .size:           128
        .value_kind:     by_value
    .group_segment_fixed_size: 0
    .kernarg_segment_align: 8
    .kernarg_segment_size: 128
    .language:       OpenCL C
    .language_version:
      - 2
      - 0
    .max_flat_workgroup_size: 512
    .name:           _ZN7rocprim17ROCPRIM_400000_NS6detail17trampoline_kernelINS0_14default_configENS1_25partition_config_selectorILNS1_17partition_subalgoE8EiNS0_10empty_typeEbEEZZNS1_14partition_implILS5_8ELb0ES3_jPKiPS6_PKS6_NS0_5tupleIJPiS6_EEENSE_IJSB_SB_EEENS0_18inequality_wrapperIN6hipcub16HIPCUB_304000_NS8EqualityEEEPlJS6_EEE10hipError_tPvRmT3_T4_T5_T6_T7_T9_mT8_P12ihipStream_tbDpT10_ENKUlT_T0_E_clISt17integral_constantIbLb1EES17_EEDaS12_S13_EUlS12_E_NS1_11comp_targetILNS1_3genE8ELNS1_11target_archE1030ELNS1_3gpuE2ELNS1_3repE0EEENS1_30default_config_static_selectorELNS0_4arch9wavefront6targetE0EEEvT1_
    .private_segment_fixed_size: 0
    .sgpr_count:     0
    .sgpr_spill_count: 0
    .symbol:         _ZN7rocprim17ROCPRIM_400000_NS6detail17trampoline_kernelINS0_14default_configENS1_25partition_config_selectorILNS1_17partition_subalgoE8EiNS0_10empty_typeEbEEZZNS1_14partition_implILS5_8ELb0ES3_jPKiPS6_PKS6_NS0_5tupleIJPiS6_EEENSE_IJSB_SB_EEENS0_18inequality_wrapperIN6hipcub16HIPCUB_304000_NS8EqualityEEEPlJS6_EEE10hipError_tPvRmT3_T4_T5_T6_T7_T9_mT8_P12ihipStream_tbDpT10_ENKUlT_T0_E_clISt17integral_constantIbLb1EES17_EEDaS12_S13_EUlS12_E_NS1_11comp_targetILNS1_3genE8ELNS1_11target_archE1030ELNS1_3gpuE2ELNS1_3repE0EEENS1_30default_config_static_selectorELNS0_4arch9wavefront6targetE0EEEvT1_.kd
    .uniform_work_group_size: 1
    .uses_dynamic_stack: false
    .vgpr_count:     0
    .vgpr_spill_count: 0
    .wavefront_size: 32
    .workgroup_processor_mode: 1
  - .args:
      - .address_space:  global
        .offset:         0
        .size:           8
        .value_kind:     global_buffer
      - .offset:         8
        .size:           4
        .value_kind:     by_value
      - .offset:         12
        .size:           1
        .value_kind:     by_value
      - .offset:         16
        .size:           4
        .value_kind:     by_value
      - .address_space:  global
        .offset:         24
        .size:           8
        .value_kind:     global_buffer
      - .offset:         32
        .size:           4
        .value_kind:     hidden_block_count_x
      - .offset:         36
        .size:           4
        .value_kind:     hidden_block_count_y
      - .offset:         40
        .size:           4
        .value_kind:     hidden_block_count_z
      - .offset:         44
        .size:           2
        .value_kind:     hidden_group_size_x
      - .offset:         46
        .size:           2
        .value_kind:     hidden_group_size_y
      - .offset:         48
        .size:           2
        .value_kind:     hidden_group_size_z
      - .offset:         50
        .size:           2
        .value_kind:     hidden_remainder_x
      - .offset:         52
        .size:           2
        .value_kind:     hidden_remainder_y
      - .offset:         54
        .size:           2
        .value_kind:     hidden_remainder_z
      - .offset:         72
        .size:           8
        .value_kind:     hidden_global_offset_x
      - .offset:         80
        .size:           8
        .value_kind:     hidden_global_offset_y
      - .offset:         88
        .size:           8
        .value_kind:     hidden_global_offset_z
      - .offset:         96
        .size:           2
        .value_kind:     hidden_grid_dims
    .group_segment_fixed_size: 0
    .kernarg_segment_align: 8
    .kernarg_segment_size: 288
    .language:       OpenCL C
    .language_version:
      - 2
      - 0
    .max_flat_workgroup_size: 256
    .name:           _ZN7rocprim17ROCPRIM_400000_NS6detail31init_lookback_scan_state_kernelINS1_19lookback_scan_stateIjLb1ELb1EEENS1_16block_id_wrapperIjLb0EEEEEvT_jT0_jPNS7_10value_typeE
    .private_segment_fixed_size: 0
    .sgpr_count:     12
    .sgpr_spill_count: 0
    .symbol:         _ZN7rocprim17ROCPRIM_400000_NS6detail31init_lookback_scan_state_kernelINS1_19lookback_scan_stateIjLb1ELb1EEENS1_16block_id_wrapperIjLb0EEEEEvT_jT0_jPNS7_10value_typeE.kd
    .uniform_work_group_size: 1
    .uses_dynamic_stack: false
    .vgpr_count:     7
    .vgpr_spill_count: 0
    .wavefront_size: 32
    .workgroup_processor_mode: 1
  - .args:
      - .offset:         0
        .size:           112
        .value_kind:     by_value
    .group_segment_fixed_size: 0
    .kernarg_segment_align: 8
    .kernarg_segment_size: 112
    .language:       OpenCL C
    .language_version:
      - 2
      - 0
    .max_flat_workgroup_size: 512
    .name:           _ZN7rocprim17ROCPRIM_400000_NS6detail17trampoline_kernelINS0_14default_configENS1_25partition_config_selectorILNS1_17partition_subalgoE8EiNS0_10empty_typeEbEEZZNS1_14partition_implILS5_8ELb0ES3_jPKiPS6_PKS6_NS0_5tupleIJPiS6_EEENSE_IJSB_SB_EEENS0_18inequality_wrapperIN6hipcub16HIPCUB_304000_NS8EqualityEEEPlJS6_EEE10hipError_tPvRmT3_T4_T5_T6_T7_T9_mT8_P12ihipStream_tbDpT10_ENKUlT_T0_E_clISt17integral_constantIbLb1EES16_IbLb0EEEEDaS12_S13_EUlS12_E_NS1_11comp_targetILNS1_3genE0ELNS1_11target_archE4294967295ELNS1_3gpuE0ELNS1_3repE0EEENS1_30default_config_static_selectorELNS0_4arch9wavefront6targetE0EEEvT1_
    .private_segment_fixed_size: 0
    .sgpr_count:     0
    .sgpr_spill_count: 0
    .symbol:         _ZN7rocprim17ROCPRIM_400000_NS6detail17trampoline_kernelINS0_14default_configENS1_25partition_config_selectorILNS1_17partition_subalgoE8EiNS0_10empty_typeEbEEZZNS1_14partition_implILS5_8ELb0ES3_jPKiPS6_PKS6_NS0_5tupleIJPiS6_EEENSE_IJSB_SB_EEENS0_18inequality_wrapperIN6hipcub16HIPCUB_304000_NS8EqualityEEEPlJS6_EEE10hipError_tPvRmT3_T4_T5_T6_T7_T9_mT8_P12ihipStream_tbDpT10_ENKUlT_T0_E_clISt17integral_constantIbLb1EES16_IbLb0EEEEDaS12_S13_EUlS12_E_NS1_11comp_targetILNS1_3genE0ELNS1_11target_archE4294967295ELNS1_3gpuE0ELNS1_3repE0EEENS1_30default_config_static_selectorELNS0_4arch9wavefront6targetE0EEEvT1_.kd
    .uniform_work_group_size: 1
    .uses_dynamic_stack: false
    .vgpr_count:     0
    .vgpr_spill_count: 0
    .wavefront_size: 32
    .workgroup_processor_mode: 1
  - .args:
      - .offset:         0
        .size:           112
        .value_kind:     by_value
    .group_segment_fixed_size: 0
    .kernarg_segment_align: 8
    .kernarg_segment_size: 112
    .language:       OpenCL C
    .language_version:
      - 2
      - 0
    .max_flat_workgroup_size: 512
    .name:           _ZN7rocprim17ROCPRIM_400000_NS6detail17trampoline_kernelINS0_14default_configENS1_25partition_config_selectorILNS1_17partition_subalgoE8EiNS0_10empty_typeEbEEZZNS1_14partition_implILS5_8ELb0ES3_jPKiPS6_PKS6_NS0_5tupleIJPiS6_EEENSE_IJSB_SB_EEENS0_18inequality_wrapperIN6hipcub16HIPCUB_304000_NS8EqualityEEEPlJS6_EEE10hipError_tPvRmT3_T4_T5_T6_T7_T9_mT8_P12ihipStream_tbDpT10_ENKUlT_T0_E_clISt17integral_constantIbLb1EES16_IbLb0EEEEDaS12_S13_EUlS12_E_NS1_11comp_targetILNS1_3genE5ELNS1_11target_archE942ELNS1_3gpuE9ELNS1_3repE0EEENS1_30default_config_static_selectorELNS0_4arch9wavefront6targetE0EEEvT1_
    .private_segment_fixed_size: 0
    .sgpr_count:     0
    .sgpr_spill_count: 0
    .symbol:         _ZN7rocprim17ROCPRIM_400000_NS6detail17trampoline_kernelINS0_14default_configENS1_25partition_config_selectorILNS1_17partition_subalgoE8EiNS0_10empty_typeEbEEZZNS1_14partition_implILS5_8ELb0ES3_jPKiPS6_PKS6_NS0_5tupleIJPiS6_EEENSE_IJSB_SB_EEENS0_18inequality_wrapperIN6hipcub16HIPCUB_304000_NS8EqualityEEEPlJS6_EEE10hipError_tPvRmT3_T4_T5_T6_T7_T9_mT8_P12ihipStream_tbDpT10_ENKUlT_T0_E_clISt17integral_constantIbLb1EES16_IbLb0EEEEDaS12_S13_EUlS12_E_NS1_11comp_targetILNS1_3genE5ELNS1_11target_archE942ELNS1_3gpuE9ELNS1_3repE0EEENS1_30default_config_static_selectorELNS0_4arch9wavefront6targetE0EEEvT1_.kd
    .uniform_work_group_size: 1
    .uses_dynamic_stack: false
    .vgpr_count:     0
    .vgpr_spill_count: 0
    .wavefront_size: 32
    .workgroup_processor_mode: 1
  - .args:
      - .offset:         0
        .size:           112
        .value_kind:     by_value
    .group_segment_fixed_size: 0
    .kernarg_segment_align: 8
    .kernarg_segment_size: 112
    .language:       OpenCL C
    .language_version:
      - 2
      - 0
    .max_flat_workgroup_size: 256
    .name:           _ZN7rocprim17ROCPRIM_400000_NS6detail17trampoline_kernelINS0_14default_configENS1_25partition_config_selectorILNS1_17partition_subalgoE8EiNS0_10empty_typeEbEEZZNS1_14partition_implILS5_8ELb0ES3_jPKiPS6_PKS6_NS0_5tupleIJPiS6_EEENSE_IJSB_SB_EEENS0_18inequality_wrapperIN6hipcub16HIPCUB_304000_NS8EqualityEEEPlJS6_EEE10hipError_tPvRmT3_T4_T5_T6_T7_T9_mT8_P12ihipStream_tbDpT10_ENKUlT_T0_E_clISt17integral_constantIbLb1EES16_IbLb0EEEEDaS12_S13_EUlS12_E_NS1_11comp_targetILNS1_3genE4ELNS1_11target_archE910ELNS1_3gpuE8ELNS1_3repE0EEENS1_30default_config_static_selectorELNS0_4arch9wavefront6targetE0EEEvT1_
    .private_segment_fixed_size: 0
    .sgpr_count:     0
    .sgpr_spill_count: 0
    .symbol:         _ZN7rocprim17ROCPRIM_400000_NS6detail17trampoline_kernelINS0_14default_configENS1_25partition_config_selectorILNS1_17partition_subalgoE8EiNS0_10empty_typeEbEEZZNS1_14partition_implILS5_8ELb0ES3_jPKiPS6_PKS6_NS0_5tupleIJPiS6_EEENSE_IJSB_SB_EEENS0_18inequality_wrapperIN6hipcub16HIPCUB_304000_NS8EqualityEEEPlJS6_EEE10hipError_tPvRmT3_T4_T5_T6_T7_T9_mT8_P12ihipStream_tbDpT10_ENKUlT_T0_E_clISt17integral_constantIbLb1EES16_IbLb0EEEEDaS12_S13_EUlS12_E_NS1_11comp_targetILNS1_3genE4ELNS1_11target_archE910ELNS1_3gpuE8ELNS1_3repE0EEENS1_30default_config_static_selectorELNS0_4arch9wavefront6targetE0EEEvT1_.kd
    .uniform_work_group_size: 1
    .uses_dynamic_stack: false
    .vgpr_count:     0
    .vgpr_spill_count: 0
    .wavefront_size: 32
    .workgroup_processor_mode: 1
  - .args:
      - .offset:         0
        .size:           112
        .value_kind:     by_value
    .group_segment_fixed_size: 0
    .kernarg_segment_align: 8
    .kernarg_segment_size: 112
    .language:       OpenCL C
    .language_version:
      - 2
      - 0
    .max_flat_workgroup_size: 512
    .name:           _ZN7rocprim17ROCPRIM_400000_NS6detail17trampoline_kernelINS0_14default_configENS1_25partition_config_selectorILNS1_17partition_subalgoE8EiNS0_10empty_typeEbEEZZNS1_14partition_implILS5_8ELb0ES3_jPKiPS6_PKS6_NS0_5tupleIJPiS6_EEENSE_IJSB_SB_EEENS0_18inequality_wrapperIN6hipcub16HIPCUB_304000_NS8EqualityEEEPlJS6_EEE10hipError_tPvRmT3_T4_T5_T6_T7_T9_mT8_P12ihipStream_tbDpT10_ENKUlT_T0_E_clISt17integral_constantIbLb1EES16_IbLb0EEEEDaS12_S13_EUlS12_E_NS1_11comp_targetILNS1_3genE3ELNS1_11target_archE908ELNS1_3gpuE7ELNS1_3repE0EEENS1_30default_config_static_selectorELNS0_4arch9wavefront6targetE0EEEvT1_
    .private_segment_fixed_size: 0
    .sgpr_count:     0
    .sgpr_spill_count: 0
    .symbol:         _ZN7rocprim17ROCPRIM_400000_NS6detail17trampoline_kernelINS0_14default_configENS1_25partition_config_selectorILNS1_17partition_subalgoE8EiNS0_10empty_typeEbEEZZNS1_14partition_implILS5_8ELb0ES3_jPKiPS6_PKS6_NS0_5tupleIJPiS6_EEENSE_IJSB_SB_EEENS0_18inequality_wrapperIN6hipcub16HIPCUB_304000_NS8EqualityEEEPlJS6_EEE10hipError_tPvRmT3_T4_T5_T6_T7_T9_mT8_P12ihipStream_tbDpT10_ENKUlT_T0_E_clISt17integral_constantIbLb1EES16_IbLb0EEEEDaS12_S13_EUlS12_E_NS1_11comp_targetILNS1_3genE3ELNS1_11target_archE908ELNS1_3gpuE7ELNS1_3repE0EEENS1_30default_config_static_selectorELNS0_4arch9wavefront6targetE0EEEvT1_.kd
    .uniform_work_group_size: 1
    .uses_dynamic_stack: false
    .vgpr_count:     0
    .vgpr_spill_count: 0
    .wavefront_size: 32
    .workgroup_processor_mode: 1
  - .args:
      - .offset:         0
        .size:           112
        .value_kind:     by_value
    .group_segment_fixed_size: 0
    .kernarg_segment_align: 8
    .kernarg_segment_size: 112
    .language:       OpenCL C
    .language_version:
      - 2
      - 0
    .max_flat_workgroup_size: 256
    .name:           _ZN7rocprim17ROCPRIM_400000_NS6detail17trampoline_kernelINS0_14default_configENS1_25partition_config_selectorILNS1_17partition_subalgoE8EiNS0_10empty_typeEbEEZZNS1_14partition_implILS5_8ELb0ES3_jPKiPS6_PKS6_NS0_5tupleIJPiS6_EEENSE_IJSB_SB_EEENS0_18inequality_wrapperIN6hipcub16HIPCUB_304000_NS8EqualityEEEPlJS6_EEE10hipError_tPvRmT3_T4_T5_T6_T7_T9_mT8_P12ihipStream_tbDpT10_ENKUlT_T0_E_clISt17integral_constantIbLb1EES16_IbLb0EEEEDaS12_S13_EUlS12_E_NS1_11comp_targetILNS1_3genE2ELNS1_11target_archE906ELNS1_3gpuE6ELNS1_3repE0EEENS1_30default_config_static_selectorELNS0_4arch9wavefront6targetE0EEEvT1_
    .private_segment_fixed_size: 0
    .sgpr_count:     0
    .sgpr_spill_count: 0
    .symbol:         _ZN7rocprim17ROCPRIM_400000_NS6detail17trampoline_kernelINS0_14default_configENS1_25partition_config_selectorILNS1_17partition_subalgoE8EiNS0_10empty_typeEbEEZZNS1_14partition_implILS5_8ELb0ES3_jPKiPS6_PKS6_NS0_5tupleIJPiS6_EEENSE_IJSB_SB_EEENS0_18inequality_wrapperIN6hipcub16HIPCUB_304000_NS8EqualityEEEPlJS6_EEE10hipError_tPvRmT3_T4_T5_T6_T7_T9_mT8_P12ihipStream_tbDpT10_ENKUlT_T0_E_clISt17integral_constantIbLb1EES16_IbLb0EEEEDaS12_S13_EUlS12_E_NS1_11comp_targetILNS1_3genE2ELNS1_11target_archE906ELNS1_3gpuE6ELNS1_3repE0EEENS1_30default_config_static_selectorELNS0_4arch9wavefront6targetE0EEEvT1_.kd
    .uniform_work_group_size: 1
    .uses_dynamic_stack: false
    .vgpr_count:     0
    .vgpr_spill_count: 0
    .wavefront_size: 32
    .workgroup_processor_mode: 1
  - .args:
      - .offset:         0
        .size:           112
        .value_kind:     by_value
    .group_segment_fixed_size: 0
    .kernarg_segment_align: 8
    .kernarg_segment_size: 112
    .language:       OpenCL C
    .language_version:
      - 2
      - 0
    .max_flat_workgroup_size: 384
    .name:           _ZN7rocprim17ROCPRIM_400000_NS6detail17trampoline_kernelINS0_14default_configENS1_25partition_config_selectorILNS1_17partition_subalgoE8EiNS0_10empty_typeEbEEZZNS1_14partition_implILS5_8ELb0ES3_jPKiPS6_PKS6_NS0_5tupleIJPiS6_EEENSE_IJSB_SB_EEENS0_18inequality_wrapperIN6hipcub16HIPCUB_304000_NS8EqualityEEEPlJS6_EEE10hipError_tPvRmT3_T4_T5_T6_T7_T9_mT8_P12ihipStream_tbDpT10_ENKUlT_T0_E_clISt17integral_constantIbLb1EES16_IbLb0EEEEDaS12_S13_EUlS12_E_NS1_11comp_targetILNS1_3genE10ELNS1_11target_archE1200ELNS1_3gpuE4ELNS1_3repE0EEENS1_30default_config_static_selectorELNS0_4arch9wavefront6targetE0EEEvT1_
    .private_segment_fixed_size: 0
    .sgpr_count:     0
    .sgpr_spill_count: 0
    .symbol:         _ZN7rocprim17ROCPRIM_400000_NS6detail17trampoline_kernelINS0_14default_configENS1_25partition_config_selectorILNS1_17partition_subalgoE8EiNS0_10empty_typeEbEEZZNS1_14partition_implILS5_8ELb0ES3_jPKiPS6_PKS6_NS0_5tupleIJPiS6_EEENSE_IJSB_SB_EEENS0_18inequality_wrapperIN6hipcub16HIPCUB_304000_NS8EqualityEEEPlJS6_EEE10hipError_tPvRmT3_T4_T5_T6_T7_T9_mT8_P12ihipStream_tbDpT10_ENKUlT_T0_E_clISt17integral_constantIbLb1EES16_IbLb0EEEEDaS12_S13_EUlS12_E_NS1_11comp_targetILNS1_3genE10ELNS1_11target_archE1200ELNS1_3gpuE4ELNS1_3repE0EEENS1_30default_config_static_selectorELNS0_4arch9wavefront6targetE0EEEvT1_.kd
    .uniform_work_group_size: 1
    .uses_dynamic_stack: false
    .vgpr_count:     0
    .vgpr_spill_count: 0
    .wavefront_size: 32
    .workgroup_processor_mode: 1
  - .args:
      - .offset:         0
        .size:           112
        .value_kind:     by_value
    .group_segment_fixed_size: 0
    .kernarg_segment_align: 8
    .kernarg_segment_size: 112
    .language:       OpenCL C
    .language_version:
      - 2
      - 0
    .max_flat_workgroup_size: 384
    .name:           _ZN7rocprim17ROCPRIM_400000_NS6detail17trampoline_kernelINS0_14default_configENS1_25partition_config_selectorILNS1_17partition_subalgoE8EiNS0_10empty_typeEbEEZZNS1_14partition_implILS5_8ELb0ES3_jPKiPS6_PKS6_NS0_5tupleIJPiS6_EEENSE_IJSB_SB_EEENS0_18inequality_wrapperIN6hipcub16HIPCUB_304000_NS8EqualityEEEPlJS6_EEE10hipError_tPvRmT3_T4_T5_T6_T7_T9_mT8_P12ihipStream_tbDpT10_ENKUlT_T0_E_clISt17integral_constantIbLb1EES16_IbLb0EEEEDaS12_S13_EUlS12_E_NS1_11comp_targetILNS1_3genE9ELNS1_11target_archE1100ELNS1_3gpuE3ELNS1_3repE0EEENS1_30default_config_static_selectorELNS0_4arch9wavefront6targetE0EEEvT1_
    .private_segment_fixed_size: 0
    .sgpr_count:     0
    .sgpr_spill_count: 0
    .symbol:         _ZN7rocprim17ROCPRIM_400000_NS6detail17trampoline_kernelINS0_14default_configENS1_25partition_config_selectorILNS1_17partition_subalgoE8EiNS0_10empty_typeEbEEZZNS1_14partition_implILS5_8ELb0ES3_jPKiPS6_PKS6_NS0_5tupleIJPiS6_EEENSE_IJSB_SB_EEENS0_18inequality_wrapperIN6hipcub16HIPCUB_304000_NS8EqualityEEEPlJS6_EEE10hipError_tPvRmT3_T4_T5_T6_T7_T9_mT8_P12ihipStream_tbDpT10_ENKUlT_T0_E_clISt17integral_constantIbLb1EES16_IbLb0EEEEDaS12_S13_EUlS12_E_NS1_11comp_targetILNS1_3genE9ELNS1_11target_archE1100ELNS1_3gpuE3ELNS1_3repE0EEENS1_30default_config_static_selectorELNS0_4arch9wavefront6targetE0EEEvT1_.kd
    .uniform_work_group_size: 1
    .uses_dynamic_stack: false
    .vgpr_count:     0
    .vgpr_spill_count: 0
    .wavefront_size: 32
    .workgroup_processor_mode: 1
  - .args:
      - .offset:         0
        .size:           112
        .value_kind:     by_value
    .group_segment_fixed_size: 0
    .kernarg_segment_align: 8
    .kernarg_segment_size: 112
    .language:       OpenCL C
    .language_version:
      - 2
      - 0
    .max_flat_workgroup_size: 512
    .name:           _ZN7rocprim17ROCPRIM_400000_NS6detail17trampoline_kernelINS0_14default_configENS1_25partition_config_selectorILNS1_17partition_subalgoE8EiNS0_10empty_typeEbEEZZNS1_14partition_implILS5_8ELb0ES3_jPKiPS6_PKS6_NS0_5tupleIJPiS6_EEENSE_IJSB_SB_EEENS0_18inequality_wrapperIN6hipcub16HIPCUB_304000_NS8EqualityEEEPlJS6_EEE10hipError_tPvRmT3_T4_T5_T6_T7_T9_mT8_P12ihipStream_tbDpT10_ENKUlT_T0_E_clISt17integral_constantIbLb1EES16_IbLb0EEEEDaS12_S13_EUlS12_E_NS1_11comp_targetILNS1_3genE8ELNS1_11target_archE1030ELNS1_3gpuE2ELNS1_3repE0EEENS1_30default_config_static_selectorELNS0_4arch9wavefront6targetE0EEEvT1_
    .private_segment_fixed_size: 0
    .sgpr_count:     0
    .sgpr_spill_count: 0
    .symbol:         _ZN7rocprim17ROCPRIM_400000_NS6detail17trampoline_kernelINS0_14default_configENS1_25partition_config_selectorILNS1_17partition_subalgoE8EiNS0_10empty_typeEbEEZZNS1_14partition_implILS5_8ELb0ES3_jPKiPS6_PKS6_NS0_5tupleIJPiS6_EEENSE_IJSB_SB_EEENS0_18inequality_wrapperIN6hipcub16HIPCUB_304000_NS8EqualityEEEPlJS6_EEE10hipError_tPvRmT3_T4_T5_T6_T7_T9_mT8_P12ihipStream_tbDpT10_ENKUlT_T0_E_clISt17integral_constantIbLb1EES16_IbLb0EEEEDaS12_S13_EUlS12_E_NS1_11comp_targetILNS1_3genE8ELNS1_11target_archE1030ELNS1_3gpuE2ELNS1_3repE0EEENS1_30default_config_static_selectorELNS0_4arch9wavefront6targetE0EEEvT1_.kd
    .uniform_work_group_size: 1
    .uses_dynamic_stack: false
    .vgpr_count:     0
    .vgpr_spill_count: 0
    .wavefront_size: 32
    .workgroup_processor_mode: 1
  - .args:
      - .address_space:  global
        .offset:         0
        .size:           8
        .value_kind:     global_buffer
      - .offset:         8
        .size:           4
        .value_kind:     by_value
      - .address_space:  global
        .offset:         16
        .size:           8
        .value_kind:     global_buffer
      - .offset:         24
        .size:           4
        .value_kind:     by_value
      - .address_space:  global
        .offset:         32
        .size:           8
        .value_kind:     global_buffer
      - .offset:         40
        .size:           4
        .value_kind:     hidden_block_count_x
      - .offset:         44
        .size:           4
        .value_kind:     hidden_block_count_y
      - .offset:         48
        .size:           4
        .value_kind:     hidden_block_count_z
      - .offset:         52
        .size:           2
        .value_kind:     hidden_group_size_x
      - .offset:         54
        .size:           2
        .value_kind:     hidden_group_size_y
      - .offset:         56
        .size:           2
        .value_kind:     hidden_group_size_z
      - .offset:         58
        .size:           2
        .value_kind:     hidden_remainder_x
      - .offset:         60
        .size:           2
        .value_kind:     hidden_remainder_y
      - .offset:         62
        .size:           2
        .value_kind:     hidden_remainder_z
      - .offset:         80
        .size:           8
        .value_kind:     hidden_global_offset_x
      - .offset:         88
        .size:           8
        .value_kind:     hidden_global_offset_y
      - .offset:         96
        .size:           8
        .value_kind:     hidden_global_offset_z
      - .offset:         104
        .size:           2
        .value_kind:     hidden_grid_dims
    .group_segment_fixed_size: 0
    .kernarg_segment_align: 8
    .kernarg_segment_size: 296
    .language:       OpenCL C
    .language_version:
      - 2
      - 0
    .max_flat_workgroup_size: 256
    .name:           _ZN7rocprim17ROCPRIM_400000_NS6detail31init_lookback_scan_state_kernelINS1_19lookback_scan_stateIjLb0ELb1EEENS1_16block_id_wrapperIjLb1EEEEEvT_jT0_jPNS7_10value_typeE
    .private_segment_fixed_size: 0
    .sgpr_count:     12
    .sgpr_spill_count: 0
    .symbol:         _ZN7rocprim17ROCPRIM_400000_NS6detail31init_lookback_scan_state_kernelINS1_19lookback_scan_stateIjLb0ELb1EEENS1_16block_id_wrapperIjLb1EEEEEvT_jT0_jPNS7_10value_typeE.kd
    .uniform_work_group_size: 1
    .uses_dynamic_stack: false
    .vgpr_count:     7
    .vgpr_spill_count: 0
    .wavefront_size: 32
    .workgroup_processor_mode: 1
  - .args:
      - .offset:         0
        .size:           128
        .value_kind:     by_value
    .group_segment_fixed_size: 0
    .kernarg_segment_align: 8
    .kernarg_segment_size: 128
    .language:       OpenCL C
    .language_version:
      - 2
      - 0
    .max_flat_workgroup_size: 512
    .name:           _ZN7rocprim17ROCPRIM_400000_NS6detail17trampoline_kernelINS0_14default_configENS1_25partition_config_selectorILNS1_17partition_subalgoE8EiNS0_10empty_typeEbEEZZNS1_14partition_implILS5_8ELb0ES3_jPKiPS6_PKS6_NS0_5tupleIJPiS6_EEENSE_IJSB_SB_EEENS0_18inequality_wrapperIN6hipcub16HIPCUB_304000_NS8EqualityEEEPlJS6_EEE10hipError_tPvRmT3_T4_T5_T6_T7_T9_mT8_P12ihipStream_tbDpT10_ENKUlT_T0_E_clISt17integral_constantIbLb0EES16_IbLb1EEEEDaS12_S13_EUlS12_E_NS1_11comp_targetILNS1_3genE0ELNS1_11target_archE4294967295ELNS1_3gpuE0ELNS1_3repE0EEENS1_30default_config_static_selectorELNS0_4arch9wavefront6targetE0EEEvT1_
    .private_segment_fixed_size: 0
    .sgpr_count:     0
    .sgpr_spill_count: 0
    .symbol:         _ZN7rocprim17ROCPRIM_400000_NS6detail17trampoline_kernelINS0_14default_configENS1_25partition_config_selectorILNS1_17partition_subalgoE8EiNS0_10empty_typeEbEEZZNS1_14partition_implILS5_8ELb0ES3_jPKiPS6_PKS6_NS0_5tupleIJPiS6_EEENSE_IJSB_SB_EEENS0_18inequality_wrapperIN6hipcub16HIPCUB_304000_NS8EqualityEEEPlJS6_EEE10hipError_tPvRmT3_T4_T5_T6_T7_T9_mT8_P12ihipStream_tbDpT10_ENKUlT_T0_E_clISt17integral_constantIbLb0EES16_IbLb1EEEEDaS12_S13_EUlS12_E_NS1_11comp_targetILNS1_3genE0ELNS1_11target_archE4294967295ELNS1_3gpuE0ELNS1_3repE0EEENS1_30default_config_static_selectorELNS0_4arch9wavefront6targetE0EEEvT1_.kd
    .uniform_work_group_size: 1
    .uses_dynamic_stack: false
    .vgpr_count:     0
    .vgpr_spill_count: 0
    .wavefront_size: 32
    .workgroup_processor_mode: 1
  - .args:
      - .offset:         0
        .size:           128
        .value_kind:     by_value
    .group_segment_fixed_size: 0
    .kernarg_segment_align: 8
    .kernarg_segment_size: 128
    .language:       OpenCL C
    .language_version:
      - 2
      - 0
    .max_flat_workgroup_size: 512
    .name:           _ZN7rocprim17ROCPRIM_400000_NS6detail17trampoline_kernelINS0_14default_configENS1_25partition_config_selectorILNS1_17partition_subalgoE8EiNS0_10empty_typeEbEEZZNS1_14partition_implILS5_8ELb0ES3_jPKiPS6_PKS6_NS0_5tupleIJPiS6_EEENSE_IJSB_SB_EEENS0_18inequality_wrapperIN6hipcub16HIPCUB_304000_NS8EqualityEEEPlJS6_EEE10hipError_tPvRmT3_T4_T5_T6_T7_T9_mT8_P12ihipStream_tbDpT10_ENKUlT_T0_E_clISt17integral_constantIbLb0EES16_IbLb1EEEEDaS12_S13_EUlS12_E_NS1_11comp_targetILNS1_3genE5ELNS1_11target_archE942ELNS1_3gpuE9ELNS1_3repE0EEENS1_30default_config_static_selectorELNS0_4arch9wavefront6targetE0EEEvT1_
    .private_segment_fixed_size: 0
    .sgpr_count:     0
    .sgpr_spill_count: 0
    .symbol:         _ZN7rocprim17ROCPRIM_400000_NS6detail17trampoline_kernelINS0_14default_configENS1_25partition_config_selectorILNS1_17partition_subalgoE8EiNS0_10empty_typeEbEEZZNS1_14partition_implILS5_8ELb0ES3_jPKiPS6_PKS6_NS0_5tupleIJPiS6_EEENSE_IJSB_SB_EEENS0_18inequality_wrapperIN6hipcub16HIPCUB_304000_NS8EqualityEEEPlJS6_EEE10hipError_tPvRmT3_T4_T5_T6_T7_T9_mT8_P12ihipStream_tbDpT10_ENKUlT_T0_E_clISt17integral_constantIbLb0EES16_IbLb1EEEEDaS12_S13_EUlS12_E_NS1_11comp_targetILNS1_3genE5ELNS1_11target_archE942ELNS1_3gpuE9ELNS1_3repE0EEENS1_30default_config_static_selectorELNS0_4arch9wavefront6targetE0EEEvT1_.kd
    .uniform_work_group_size: 1
    .uses_dynamic_stack: false
    .vgpr_count:     0
    .vgpr_spill_count: 0
    .wavefront_size: 32
    .workgroup_processor_mode: 1
  - .args:
      - .offset:         0
        .size:           128
        .value_kind:     by_value
    .group_segment_fixed_size: 0
    .kernarg_segment_align: 8
    .kernarg_segment_size: 128
    .language:       OpenCL C
    .language_version:
      - 2
      - 0
    .max_flat_workgroup_size: 256
    .name:           _ZN7rocprim17ROCPRIM_400000_NS6detail17trampoline_kernelINS0_14default_configENS1_25partition_config_selectorILNS1_17partition_subalgoE8EiNS0_10empty_typeEbEEZZNS1_14partition_implILS5_8ELb0ES3_jPKiPS6_PKS6_NS0_5tupleIJPiS6_EEENSE_IJSB_SB_EEENS0_18inequality_wrapperIN6hipcub16HIPCUB_304000_NS8EqualityEEEPlJS6_EEE10hipError_tPvRmT3_T4_T5_T6_T7_T9_mT8_P12ihipStream_tbDpT10_ENKUlT_T0_E_clISt17integral_constantIbLb0EES16_IbLb1EEEEDaS12_S13_EUlS12_E_NS1_11comp_targetILNS1_3genE4ELNS1_11target_archE910ELNS1_3gpuE8ELNS1_3repE0EEENS1_30default_config_static_selectorELNS0_4arch9wavefront6targetE0EEEvT1_
    .private_segment_fixed_size: 0
    .sgpr_count:     0
    .sgpr_spill_count: 0
    .symbol:         _ZN7rocprim17ROCPRIM_400000_NS6detail17trampoline_kernelINS0_14default_configENS1_25partition_config_selectorILNS1_17partition_subalgoE8EiNS0_10empty_typeEbEEZZNS1_14partition_implILS5_8ELb0ES3_jPKiPS6_PKS6_NS0_5tupleIJPiS6_EEENSE_IJSB_SB_EEENS0_18inequality_wrapperIN6hipcub16HIPCUB_304000_NS8EqualityEEEPlJS6_EEE10hipError_tPvRmT3_T4_T5_T6_T7_T9_mT8_P12ihipStream_tbDpT10_ENKUlT_T0_E_clISt17integral_constantIbLb0EES16_IbLb1EEEEDaS12_S13_EUlS12_E_NS1_11comp_targetILNS1_3genE4ELNS1_11target_archE910ELNS1_3gpuE8ELNS1_3repE0EEENS1_30default_config_static_selectorELNS0_4arch9wavefront6targetE0EEEvT1_.kd
    .uniform_work_group_size: 1
    .uses_dynamic_stack: false
    .vgpr_count:     0
    .vgpr_spill_count: 0
    .wavefront_size: 32
    .workgroup_processor_mode: 1
  - .args:
      - .offset:         0
        .size:           128
        .value_kind:     by_value
    .group_segment_fixed_size: 0
    .kernarg_segment_align: 8
    .kernarg_segment_size: 128
    .language:       OpenCL C
    .language_version:
      - 2
      - 0
    .max_flat_workgroup_size: 512
    .name:           _ZN7rocprim17ROCPRIM_400000_NS6detail17trampoline_kernelINS0_14default_configENS1_25partition_config_selectorILNS1_17partition_subalgoE8EiNS0_10empty_typeEbEEZZNS1_14partition_implILS5_8ELb0ES3_jPKiPS6_PKS6_NS0_5tupleIJPiS6_EEENSE_IJSB_SB_EEENS0_18inequality_wrapperIN6hipcub16HIPCUB_304000_NS8EqualityEEEPlJS6_EEE10hipError_tPvRmT3_T4_T5_T6_T7_T9_mT8_P12ihipStream_tbDpT10_ENKUlT_T0_E_clISt17integral_constantIbLb0EES16_IbLb1EEEEDaS12_S13_EUlS12_E_NS1_11comp_targetILNS1_3genE3ELNS1_11target_archE908ELNS1_3gpuE7ELNS1_3repE0EEENS1_30default_config_static_selectorELNS0_4arch9wavefront6targetE0EEEvT1_
    .private_segment_fixed_size: 0
    .sgpr_count:     0
    .sgpr_spill_count: 0
    .symbol:         _ZN7rocprim17ROCPRIM_400000_NS6detail17trampoline_kernelINS0_14default_configENS1_25partition_config_selectorILNS1_17partition_subalgoE8EiNS0_10empty_typeEbEEZZNS1_14partition_implILS5_8ELb0ES3_jPKiPS6_PKS6_NS0_5tupleIJPiS6_EEENSE_IJSB_SB_EEENS0_18inequality_wrapperIN6hipcub16HIPCUB_304000_NS8EqualityEEEPlJS6_EEE10hipError_tPvRmT3_T4_T5_T6_T7_T9_mT8_P12ihipStream_tbDpT10_ENKUlT_T0_E_clISt17integral_constantIbLb0EES16_IbLb1EEEEDaS12_S13_EUlS12_E_NS1_11comp_targetILNS1_3genE3ELNS1_11target_archE908ELNS1_3gpuE7ELNS1_3repE0EEENS1_30default_config_static_selectorELNS0_4arch9wavefront6targetE0EEEvT1_.kd
    .uniform_work_group_size: 1
    .uses_dynamic_stack: false
    .vgpr_count:     0
    .vgpr_spill_count: 0
    .wavefront_size: 32
    .workgroup_processor_mode: 1
  - .args:
      - .offset:         0
        .size:           128
        .value_kind:     by_value
    .group_segment_fixed_size: 0
    .kernarg_segment_align: 8
    .kernarg_segment_size: 128
    .language:       OpenCL C
    .language_version:
      - 2
      - 0
    .max_flat_workgroup_size: 256
    .name:           _ZN7rocprim17ROCPRIM_400000_NS6detail17trampoline_kernelINS0_14default_configENS1_25partition_config_selectorILNS1_17partition_subalgoE8EiNS0_10empty_typeEbEEZZNS1_14partition_implILS5_8ELb0ES3_jPKiPS6_PKS6_NS0_5tupleIJPiS6_EEENSE_IJSB_SB_EEENS0_18inequality_wrapperIN6hipcub16HIPCUB_304000_NS8EqualityEEEPlJS6_EEE10hipError_tPvRmT3_T4_T5_T6_T7_T9_mT8_P12ihipStream_tbDpT10_ENKUlT_T0_E_clISt17integral_constantIbLb0EES16_IbLb1EEEEDaS12_S13_EUlS12_E_NS1_11comp_targetILNS1_3genE2ELNS1_11target_archE906ELNS1_3gpuE6ELNS1_3repE0EEENS1_30default_config_static_selectorELNS0_4arch9wavefront6targetE0EEEvT1_
    .private_segment_fixed_size: 0
    .sgpr_count:     0
    .sgpr_spill_count: 0
    .symbol:         _ZN7rocprim17ROCPRIM_400000_NS6detail17trampoline_kernelINS0_14default_configENS1_25partition_config_selectorILNS1_17partition_subalgoE8EiNS0_10empty_typeEbEEZZNS1_14partition_implILS5_8ELb0ES3_jPKiPS6_PKS6_NS0_5tupleIJPiS6_EEENSE_IJSB_SB_EEENS0_18inequality_wrapperIN6hipcub16HIPCUB_304000_NS8EqualityEEEPlJS6_EEE10hipError_tPvRmT3_T4_T5_T6_T7_T9_mT8_P12ihipStream_tbDpT10_ENKUlT_T0_E_clISt17integral_constantIbLb0EES16_IbLb1EEEEDaS12_S13_EUlS12_E_NS1_11comp_targetILNS1_3genE2ELNS1_11target_archE906ELNS1_3gpuE6ELNS1_3repE0EEENS1_30default_config_static_selectorELNS0_4arch9wavefront6targetE0EEEvT1_.kd
    .uniform_work_group_size: 1
    .uses_dynamic_stack: false
    .vgpr_count:     0
    .vgpr_spill_count: 0
    .wavefront_size: 32
    .workgroup_processor_mode: 1
  - .args:
      - .offset:         0
        .size:           128
        .value_kind:     by_value
    .group_segment_fixed_size: 0
    .kernarg_segment_align: 8
    .kernarg_segment_size: 128
    .language:       OpenCL C
    .language_version:
      - 2
      - 0
    .max_flat_workgroup_size: 384
    .name:           _ZN7rocprim17ROCPRIM_400000_NS6detail17trampoline_kernelINS0_14default_configENS1_25partition_config_selectorILNS1_17partition_subalgoE8EiNS0_10empty_typeEbEEZZNS1_14partition_implILS5_8ELb0ES3_jPKiPS6_PKS6_NS0_5tupleIJPiS6_EEENSE_IJSB_SB_EEENS0_18inequality_wrapperIN6hipcub16HIPCUB_304000_NS8EqualityEEEPlJS6_EEE10hipError_tPvRmT3_T4_T5_T6_T7_T9_mT8_P12ihipStream_tbDpT10_ENKUlT_T0_E_clISt17integral_constantIbLb0EES16_IbLb1EEEEDaS12_S13_EUlS12_E_NS1_11comp_targetILNS1_3genE10ELNS1_11target_archE1200ELNS1_3gpuE4ELNS1_3repE0EEENS1_30default_config_static_selectorELNS0_4arch9wavefront6targetE0EEEvT1_
    .private_segment_fixed_size: 0
    .sgpr_count:     0
    .sgpr_spill_count: 0
    .symbol:         _ZN7rocprim17ROCPRIM_400000_NS6detail17trampoline_kernelINS0_14default_configENS1_25partition_config_selectorILNS1_17partition_subalgoE8EiNS0_10empty_typeEbEEZZNS1_14partition_implILS5_8ELb0ES3_jPKiPS6_PKS6_NS0_5tupleIJPiS6_EEENSE_IJSB_SB_EEENS0_18inequality_wrapperIN6hipcub16HIPCUB_304000_NS8EqualityEEEPlJS6_EEE10hipError_tPvRmT3_T4_T5_T6_T7_T9_mT8_P12ihipStream_tbDpT10_ENKUlT_T0_E_clISt17integral_constantIbLb0EES16_IbLb1EEEEDaS12_S13_EUlS12_E_NS1_11comp_targetILNS1_3genE10ELNS1_11target_archE1200ELNS1_3gpuE4ELNS1_3repE0EEENS1_30default_config_static_selectorELNS0_4arch9wavefront6targetE0EEEvT1_.kd
    .uniform_work_group_size: 1
    .uses_dynamic_stack: false
    .vgpr_count:     0
    .vgpr_spill_count: 0
    .wavefront_size: 32
    .workgroup_processor_mode: 1
  - .args:
      - .offset:         0
        .size:           128
        .value_kind:     by_value
    .group_segment_fixed_size: 0
    .kernarg_segment_align: 8
    .kernarg_segment_size: 128
    .language:       OpenCL C
    .language_version:
      - 2
      - 0
    .max_flat_workgroup_size: 384
    .name:           _ZN7rocprim17ROCPRIM_400000_NS6detail17trampoline_kernelINS0_14default_configENS1_25partition_config_selectorILNS1_17partition_subalgoE8EiNS0_10empty_typeEbEEZZNS1_14partition_implILS5_8ELb0ES3_jPKiPS6_PKS6_NS0_5tupleIJPiS6_EEENSE_IJSB_SB_EEENS0_18inequality_wrapperIN6hipcub16HIPCUB_304000_NS8EqualityEEEPlJS6_EEE10hipError_tPvRmT3_T4_T5_T6_T7_T9_mT8_P12ihipStream_tbDpT10_ENKUlT_T0_E_clISt17integral_constantIbLb0EES16_IbLb1EEEEDaS12_S13_EUlS12_E_NS1_11comp_targetILNS1_3genE9ELNS1_11target_archE1100ELNS1_3gpuE3ELNS1_3repE0EEENS1_30default_config_static_selectorELNS0_4arch9wavefront6targetE0EEEvT1_
    .private_segment_fixed_size: 0
    .sgpr_count:     0
    .sgpr_spill_count: 0
    .symbol:         _ZN7rocprim17ROCPRIM_400000_NS6detail17trampoline_kernelINS0_14default_configENS1_25partition_config_selectorILNS1_17partition_subalgoE8EiNS0_10empty_typeEbEEZZNS1_14partition_implILS5_8ELb0ES3_jPKiPS6_PKS6_NS0_5tupleIJPiS6_EEENSE_IJSB_SB_EEENS0_18inequality_wrapperIN6hipcub16HIPCUB_304000_NS8EqualityEEEPlJS6_EEE10hipError_tPvRmT3_T4_T5_T6_T7_T9_mT8_P12ihipStream_tbDpT10_ENKUlT_T0_E_clISt17integral_constantIbLb0EES16_IbLb1EEEEDaS12_S13_EUlS12_E_NS1_11comp_targetILNS1_3genE9ELNS1_11target_archE1100ELNS1_3gpuE3ELNS1_3repE0EEENS1_30default_config_static_selectorELNS0_4arch9wavefront6targetE0EEEvT1_.kd
    .uniform_work_group_size: 1
    .uses_dynamic_stack: false
    .vgpr_count:     0
    .vgpr_spill_count: 0
    .wavefront_size: 32
    .workgroup_processor_mode: 1
  - .args:
      - .offset:         0
        .size:           128
        .value_kind:     by_value
    .group_segment_fixed_size: 16904
    .kernarg_segment_align: 8
    .kernarg_segment_size: 128
    .language:       OpenCL C
    .language_version:
      - 2
      - 0
    .max_flat_workgroup_size: 512
    .name:           _ZN7rocprim17ROCPRIM_400000_NS6detail17trampoline_kernelINS0_14default_configENS1_25partition_config_selectorILNS1_17partition_subalgoE8EiNS0_10empty_typeEbEEZZNS1_14partition_implILS5_8ELb0ES3_jPKiPS6_PKS6_NS0_5tupleIJPiS6_EEENSE_IJSB_SB_EEENS0_18inequality_wrapperIN6hipcub16HIPCUB_304000_NS8EqualityEEEPlJS6_EEE10hipError_tPvRmT3_T4_T5_T6_T7_T9_mT8_P12ihipStream_tbDpT10_ENKUlT_T0_E_clISt17integral_constantIbLb0EES16_IbLb1EEEEDaS12_S13_EUlS12_E_NS1_11comp_targetILNS1_3genE8ELNS1_11target_archE1030ELNS1_3gpuE2ELNS1_3repE0EEENS1_30default_config_static_selectorELNS0_4arch9wavefront6targetE0EEEvT1_
    .private_segment_fixed_size: 0
    .sgpr_count:     25
    .sgpr_spill_count: 0
    .symbol:         _ZN7rocprim17ROCPRIM_400000_NS6detail17trampoline_kernelINS0_14default_configENS1_25partition_config_selectorILNS1_17partition_subalgoE8EiNS0_10empty_typeEbEEZZNS1_14partition_implILS5_8ELb0ES3_jPKiPS6_PKS6_NS0_5tupleIJPiS6_EEENSE_IJSB_SB_EEENS0_18inequality_wrapperIN6hipcub16HIPCUB_304000_NS8EqualityEEEPlJS6_EEE10hipError_tPvRmT3_T4_T5_T6_T7_T9_mT8_P12ihipStream_tbDpT10_ENKUlT_T0_E_clISt17integral_constantIbLb0EES16_IbLb1EEEEDaS12_S13_EUlS12_E_NS1_11comp_targetILNS1_3genE8ELNS1_11target_archE1030ELNS1_3gpuE2ELNS1_3repE0EEENS1_30default_config_static_selectorELNS0_4arch9wavefront6targetE0EEEvT1_.kd
    .uniform_work_group_size: 1
    .uses_dynamic_stack: false
    .vgpr_count:     48
    .vgpr_spill_count: 0
    .wavefront_size: 32
    .workgroup_processor_mode: 1
  - .args:
      - .address_space:  global
        .offset:         0
        .size:           8
        .value_kind:     global_buffer
      - .address_space:  global
        .offset:         8
        .size:           8
        .value_kind:     global_buffer
      - .offset:         16
        .size:           8
        .value_kind:     by_value
      - .offset:         24
        .size:           8
        .value_kind:     by_value
      - .offset:         32
        .size:           8
        .value_kind:     by_value
      - .offset:         40
        .size:           8
        .value_kind:     by_value
      - .offset:         48
        .size:           8
        .value_kind:     by_value
      - .offset:         56
        .size:           8
        .value_kind:     by_value
      - .address_space:  global
        .offset:         64
        .size:           8
        .value_kind:     global_buffer
      - .offset:         72
        .size:           4
        .value_kind:     hidden_block_count_x
      - .offset:         76
        .size:           4
        .value_kind:     hidden_block_count_y
      - .offset:         80
        .size:           4
        .value_kind:     hidden_block_count_z
      - .offset:         84
        .size:           2
        .value_kind:     hidden_group_size_x
      - .offset:         86
        .size:           2
        .value_kind:     hidden_group_size_y
      - .offset:         88
        .size:           2
        .value_kind:     hidden_group_size_z
      - .offset:         90
        .size:           2
        .value_kind:     hidden_remainder_x
      - .offset:         92
        .size:           2
        .value_kind:     hidden_remainder_y
      - .offset:         94
        .size:           2
        .value_kind:     hidden_remainder_z
      - .offset:         112
        .size:           8
        .value_kind:     hidden_global_offset_x
      - .offset:         120
        .size:           8
        .value_kind:     hidden_global_offset_y
      - .offset:         128
        .size:           8
        .value_kind:     hidden_global_offset_z
      - .offset:         136
        .size:           2
        .value_kind:     hidden_grid_dims
      - .offset:         192
        .size:           4
        .value_kind:     hidden_dynamic_lds_size
    .group_segment_fixed_size: 0
    .kernarg_segment_align: 8
    .kernarg_segment_size: 328
    .language:       OpenCL C
    .language_version:
      - 2
      - 0
    .max_flat_workgroup_size: 1024
    .name:           _ZN2at6native12_GLOBAL__N_113renorm_kernelIddKiEEvPT_PT1_T0_S8_llllPKl
    .private_segment_fixed_size: 0
    .sgpr_count:     83
    .sgpr_spill_count: 0
    .symbol:         _ZN2at6native12_GLOBAL__N_113renorm_kernelIddKiEEvPT_PT1_T0_S8_llllPKl.kd
    .uniform_work_group_size: 1
    .uses_dynamic_stack: false
    .vgpr_count:     31
    .vgpr_spill_count: 0
    .wavefront_size: 32
    .workgroup_processor_mode: 1
  - .args:
      - .address_space:  global
        .offset:         0
        .size:           8
        .value_kind:     global_buffer
      - .address_space:  global
        .offset:         8
        .size:           8
        .value_kind:     global_buffer
      - .offset:         16
        .size:           4
        .value_kind:     by_value
      - .offset:         20
        .size:           4
        .value_kind:     by_value
      - .offset:         24
        .size:           8
        .value_kind:     by_value
      - .offset:         32
        .size:           8
        .value_kind:     by_value
      - .offset:         40
        .size:           8
        .value_kind:     by_value
      - .offset:         48
        .size:           8
        .value_kind:     by_value
      - .address_space:  global
        .offset:         56
        .size:           8
        .value_kind:     global_buffer
      - .offset:         64
        .size:           4
        .value_kind:     hidden_block_count_x
      - .offset:         68
        .size:           4
        .value_kind:     hidden_block_count_y
      - .offset:         72
        .size:           4
        .value_kind:     hidden_block_count_z
      - .offset:         76
        .size:           2
        .value_kind:     hidden_group_size_x
      - .offset:         78
        .size:           2
        .value_kind:     hidden_group_size_y
      - .offset:         80
        .size:           2
        .value_kind:     hidden_group_size_z
      - .offset:         82
        .size:           2
        .value_kind:     hidden_remainder_x
      - .offset:         84
        .size:           2
        .value_kind:     hidden_remainder_y
      - .offset:         86
        .size:           2
        .value_kind:     hidden_remainder_z
      - .offset:         104
        .size:           8
        .value_kind:     hidden_global_offset_x
      - .offset:         112
        .size:           8
        .value_kind:     hidden_global_offset_y
      - .offset:         120
        .size:           8
        .value_kind:     hidden_global_offset_z
      - .offset:         128
        .size:           2
        .value_kind:     hidden_grid_dims
      - .offset:         184
        .size:           4
        .value_kind:     hidden_dynamic_lds_size
    .group_segment_fixed_size: 0
    .kernarg_segment_align: 8
    .kernarg_segment_size: 320
    .language:       OpenCL C
    .language_version:
      - 2
      - 0
    .max_flat_workgroup_size: 1024
    .name:           _ZN2at6native12_GLOBAL__N_113renorm_kernelIffKiEEvPT_PT1_T0_S8_llllPKl
    .private_segment_fixed_size: 0
    .sgpr_count:     29
    .sgpr_spill_count: 0
    .symbol:         _ZN2at6native12_GLOBAL__N_113renorm_kernelIffKiEEvPT_PT1_T0_S8_llllPKl.kd
    .uniform_work_group_size: 1
    .uses_dynamic_stack: false
    .vgpr_count:     19
    .vgpr_spill_count: 0
    .wavefront_size: 32
    .workgroup_processor_mode: 1
  - .args:
      - .address_space:  global
        .offset:         0
        .size:           8
        .value_kind:     global_buffer
      - .address_space:  global
        .offset:         8
        .size:           8
        .value_kind:     global_buffer
      - .offset:         16
        .size:           4
        .value_kind:     by_value
      - .offset:         20
        .size:           4
        .value_kind:     by_value
      - .offset:         24
        .size:           8
        .value_kind:     by_value
      - .offset:         32
        .size:           8
        .value_kind:     by_value
      - .offset:         40
        .size:           8
        .value_kind:     by_value
      - .offset:         48
        .size:           8
        .value_kind:     by_value
      - .address_space:  global
        .offset:         56
        .size:           8
        .value_kind:     global_buffer
      - .offset:         64
        .size:           4
        .value_kind:     hidden_block_count_x
      - .offset:         68
        .size:           4
        .value_kind:     hidden_block_count_y
      - .offset:         72
        .size:           4
        .value_kind:     hidden_block_count_z
      - .offset:         76
        .size:           2
        .value_kind:     hidden_group_size_x
      - .offset:         78
        .size:           2
        .value_kind:     hidden_group_size_y
      - .offset:         80
        .size:           2
        .value_kind:     hidden_group_size_z
      - .offset:         82
        .size:           2
        .value_kind:     hidden_remainder_x
      - .offset:         84
        .size:           2
        .value_kind:     hidden_remainder_y
      - .offset:         86
        .size:           2
        .value_kind:     hidden_remainder_z
      - .offset:         104
        .size:           8
        .value_kind:     hidden_global_offset_x
      - .offset:         112
        .size:           8
        .value_kind:     hidden_global_offset_y
      - .offset:         120
        .size:           8
        .value_kind:     hidden_global_offset_z
      - .offset:         128
        .size:           2
        .value_kind:     hidden_grid_dims
      - .offset:         184
        .size:           4
        .value_kind:     hidden_dynamic_lds_size
    .group_segment_fixed_size: 0
    .kernarg_segment_align: 8
    .kernarg_segment_size: 320
    .language:       OpenCL C
    .language_version:
      - 2
      - 0
    .max_flat_workgroup_size: 1024
    .name:           _ZN2at6native12_GLOBAL__N_113renorm_kernelIN3c104HalfEfKiEEvPT_PT1_T0_SA_llllPKl
    .private_segment_fixed_size: 0
    .sgpr_count:     29
    .sgpr_spill_count: 0
    .symbol:         _ZN2at6native12_GLOBAL__N_113renorm_kernelIN3c104HalfEfKiEEvPT_PT1_T0_SA_llllPKl.kd
    .uniform_work_group_size: 1
    .uses_dynamic_stack: false
    .vgpr_count:     19
    .vgpr_spill_count: 0
    .wavefront_size: 32
    .workgroup_processor_mode: 1
  - .args:
      - .address_space:  global
        .offset:         0
        .size:           8
        .value_kind:     global_buffer
      - .address_space:  global
        .offset:         8
        .size:           8
        .value_kind:     global_buffer
      - .offset:         16
        .size:           4
        .value_kind:     by_value
      - .offset:         20
        .size:           4
        .value_kind:     by_value
      - .offset:         24
        .size:           8
        .value_kind:     by_value
      - .offset:         32
        .size:           8
        .value_kind:     by_value
      - .offset:         40
        .size:           8
        .value_kind:     by_value
      - .offset:         48
        .size:           8
        .value_kind:     by_value
      - .address_space:  global
        .offset:         56
        .size:           8
        .value_kind:     global_buffer
      - .offset:         64
        .size:           4
        .value_kind:     hidden_block_count_x
      - .offset:         68
        .size:           4
        .value_kind:     hidden_block_count_y
      - .offset:         72
        .size:           4
        .value_kind:     hidden_block_count_z
      - .offset:         76
        .size:           2
        .value_kind:     hidden_group_size_x
      - .offset:         78
        .size:           2
        .value_kind:     hidden_group_size_y
      - .offset:         80
        .size:           2
        .value_kind:     hidden_group_size_z
      - .offset:         82
        .size:           2
        .value_kind:     hidden_remainder_x
      - .offset:         84
        .size:           2
        .value_kind:     hidden_remainder_y
      - .offset:         86
        .size:           2
        .value_kind:     hidden_remainder_z
      - .offset:         104
        .size:           8
        .value_kind:     hidden_global_offset_x
      - .offset:         112
        .size:           8
        .value_kind:     hidden_global_offset_y
      - .offset:         120
        .size:           8
        .value_kind:     hidden_global_offset_z
      - .offset:         128
        .size:           2
        .value_kind:     hidden_grid_dims
      - .offset:         184
        .size:           4
        .value_kind:     hidden_dynamic_lds_size
    .group_segment_fixed_size: 0
    .kernarg_segment_align: 8
    .kernarg_segment_size: 320
    .language:       OpenCL C
    .language_version:
      - 2
      - 0
    .max_flat_workgroup_size: 1024
    .name:           _ZN2at6native12_GLOBAL__N_113renorm_kernelIN3c108BFloat16EfKiEEvPT_PT1_T0_SA_llllPKl
    .private_segment_fixed_size: 0
    .sgpr_count:     29
    .sgpr_spill_count: 0
    .symbol:         _ZN2at6native12_GLOBAL__N_113renorm_kernelIN3c108BFloat16EfKiEEvPT_PT1_T0_SA_llllPKl.kd
    .uniform_work_group_size: 1
    .uses_dynamic_stack: false
    .vgpr_count:     19
    .vgpr_spill_count: 0
    .wavefront_size: 32
    .workgroup_processor_mode: 1
  - .args:
      - .address_space:  global
        .offset:         0
        .size:           8
        .value_kind:     global_buffer
      - .address_space:  global
        .offset:         8
        .size:           8
        .value_kind:     global_buffer
      - .offset:         16
        .size:           8
        .value_kind:     by_value
      - .offset:         24
        .size:           8
        .value_kind:     by_value
      - .offset:         32
        .size:           4
        .value_kind:     hidden_block_count_x
      - .offset:         36
        .size:           4
        .value_kind:     hidden_block_count_y
      - .offset:         40
        .size:           4
        .value_kind:     hidden_block_count_z
      - .offset:         44
        .size:           2
        .value_kind:     hidden_group_size_x
      - .offset:         46
        .size:           2
        .value_kind:     hidden_group_size_y
      - .offset:         48
        .size:           2
        .value_kind:     hidden_group_size_z
      - .offset:         50
        .size:           2
        .value_kind:     hidden_remainder_x
      - .offset:         52
        .size:           2
        .value_kind:     hidden_remainder_y
      - .offset:         54
        .size:           2
        .value_kind:     hidden_remainder_z
      - .offset:         72
        .size:           8
        .value_kind:     hidden_global_offset_x
      - .offset:         80
        .size:           8
        .value_kind:     hidden_global_offset_y
      - .offset:         88
        .size:           8
        .value_kind:     hidden_global_offset_z
      - .offset:         96
        .size:           2
        .value_kind:     hidden_grid_dims
    .group_segment_fixed_size: 0
    .kernarg_segment_align: 8
    .kernarg_segment_size: 288
    .language:       OpenCL C
    .language_version:
      - 2
      - 0
    .max_flat_workgroup_size: 1024
    .name:           _ZN2at6native12_GLOBAL__N_136embedding_renorm_wrap_indices_kernelIlEEvPKT_PS3_ll
    .private_segment_fixed_size: 0
    .sgpr_count:     18
    .sgpr_spill_count: 0
    .symbol:         _ZN2at6native12_GLOBAL__N_136embedding_renorm_wrap_indices_kernelIlEEvPKT_PS3_ll.kd
    .uniform_work_group_size: 1
    .uses_dynamic_stack: false
    .vgpr_count:     6
    .vgpr_spill_count: 0
    .wavefront_size: 32
    .workgroup_processor_mode: 1
  - .args:
      - .offset:         0
        .size:           112
        .value_kind:     by_value
    .group_segment_fixed_size: 0
    .kernarg_segment_align: 8
    .kernarg_segment_size: 112
    .language:       OpenCL C
    .language_version:
      - 2
      - 0
    .max_flat_workgroup_size: 512
    .name:           _ZN7rocprim17ROCPRIM_400000_NS6detail17trampoline_kernelINS0_14default_configENS1_25partition_config_selectorILNS1_17partition_subalgoE8ElNS0_10empty_typeEbEEZZNS1_14partition_implILS5_8ELb0ES3_jPKlPS6_PKS6_NS0_5tupleIJPlS6_EEENSE_IJSB_SB_EEENS0_18inequality_wrapperIN6hipcub16HIPCUB_304000_NS8EqualityEEESF_JS6_EEE10hipError_tPvRmT3_T4_T5_T6_T7_T9_mT8_P12ihipStream_tbDpT10_ENKUlT_T0_E_clISt17integral_constantIbLb0EES16_EEDaS11_S12_EUlS11_E_NS1_11comp_targetILNS1_3genE0ELNS1_11target_archE4294967295ELNS1_3gpuE0ELNS1_3repE0EEENS1_30default_config_static_selectorELNS0_4arch9wavefront6targetE0EEEvT1_
    .private_segment_fixed_size: 0
    .sgpr_count:     0
    .sgpr_spill_count: 0
    .symbol:         _ZN7rocprim17ROCPRIM_400000_NS6detail17trampoline_kernelINS0_14default_configENS1_25partition_config_selectorILNS1_17partition_subalgoE8ElNS0_10empty_typeEbEEZZNS1_14partition_implILS5_8ELb0ES3_jPKlPS6_PKS6_NS0_5tupleIJPlS6_EEENSE_IJSB_SB_EEENS0_18inequality_wrapperIN6hipcub16HIPCUB_304000_NS8EqualityEEESF_JS6_EEE10hipError_tPvRmT3_T4_T5_T6_T7_T9_mT8_P12ihipStream_tbDpT10_ENKUlT_T0_E_clISt17integral_constantIbLb0EES16_EEDaS11_S12_EUlS11_E_NS1_11comp_targetILNS1_3genE0ELNS1_11target_archE4294967295ELNS1_3gpuE0ELNS1_3repE0EEENS1_30default_config_static_selectorELNS0_4arch9wavefront6targetE0EEEvT1_.kd
    .uniform_work_group_size: 1
    .uses_dynamic_stack: false
    .vgpr_count:     0
    .vgpr_spill_count: 0
    .wavefront_size: 32
    .workgroup_processor_mode: 1
  - .args:
      - .offset:         0
        .size:           112
        .value_kind:     by_value
    .group_segment_fixed_size: 0
    .kernarg_segment_align: 8
    .kernarg_segment_size: 112
    .language:       OpenCL C
    .language_version:
      - 2
      - 0
    .max_flat_workgroup_size: 512
    .name:           _ZN7rocprim17ROCPRIM_400000_NS6detail17trampoline_kernelINS0_14default_configENS1_25partition_config_selectorILNS1_17partition_subalgoE8ElNS0_10empty_typeEbEEZZNS1_14partition_implILS5_8ELb0ES3_jPKlPS6_PKS6_NS0_5tupleIJPlS6_EEENSE_IJSB_SB_EEENS0_18inequality_wrapperIN6hipcub16HIPCUB_304000_NS8EqualityEEESF_JS6_EEE10hipError_tPvRmT3_T4_T5_T6_T7_T9_mT8_P12ihipStream_tbDpT10_ENKUlT_T0_E_clISt17integral_constantIbLb0EES16_EEDaS11_S12_EUlS11_E_NS1_11comp_targetILNS1_3genE5ELNS1_11target_archE942ELNS1_3gpuE9ELNS1_3repE0EEENS1_30default_config_static_selectorELNS0_4arch9wavefront6targetE0EEEvT1_
    .private_segment_fixed_size: 0
    .sgpr_count:     0
    .sgpr_spill_count: 0
    .symbol:         _ZN7rocprim17ROCPRIM_400000_NS6detail17trampoline_kernelINS0_14default_configENS1_25partition_config_selectorILNS1_17partition_subalgoE8ElNS0_10empty_typeEbEEZZNS1_14partition_implILS5_8ELb0ES3_jPKlPS6_PKS6_NS0_5tupleIJPlS6_EEENSE_IJSB_SB_EEENS0_18inequality_wrapperIN6hipcub16HIPCUB_304000_NS8EqualityEEESF_JS6_EEE10hipError_tPvRmT3_T4_T5_T6_T7_T9_mT8_P12ihipStream_tbDpT10_ENKUlT_T0_E_clISt17integral_constantIbLb0EES16_EEDaS11_S12_EUlS11_E_NS1_11comp_targetILNS1_3genE5ELNS1_11target_archE942ELNS1_3gpuE9ELNS1_3repE0EEENS1_30default_config_static_selectorELNS0_4arch9wavefront6targetE0EEEvT1_.kd
    .uniform_work_group_size: 1
    .uses_dynamic_stack: false
    .vgpr_count:     0
    .vgpr_spill_count: 0
    .wavefront_size: 32
    .workgroup_processor_mode: 1
  - .args:
      - .offset:         0
        .size:           112
        .value_kind:     by_value
    .group_segment_fixed_size: 0
    .kernarg_segment_align: 8
    .kernarg_segment_size: 112
    .language:       OpenCL C
    .language_version:
      - 2
      - 0
    .max_flat_workgroup_size: 256
    .name:           _ZN7rocprim17ROCPRIM_400000_NS6detail17trampoline_kernelINS0_14default_configENS1_25partition_config_selectorILNS1_17partition_subalgoE8ElNS0_10empty_typeEbEEZZNS1_14partition_implILS5_8ELb0ES3_jPKlPS6_PKS6_NS0_5tupleIJPlS6_EEENSE_IJSB_SB_EEENS0_18inequality_wrapperIN6hipcub16HIPCUB_304000_NS8EqualityEEESF_JS6_EEE10hipError_tPvRmT3_T4_T5_T6_T7_T9_mT8_P12ihipStream_tbDpT10_ENKUlT_T0_E_clISt17integral_constantIbLb0EES16_EEDaS11_S12_EUlS11_E_NS1_11comp_targetILNS1_3genE4ELNS1_11target_archE910ELNS1_3gpuE8ELNS1_3repE0EEENS1_30default_config_static_selectorELNS0_4arch9wavefront6targetE0EEEvT1_
    .private_segment_fixed_size: 0
    .sgpr_count:     0
    .sgpr_spill_count: 0
    .symbol:         _ZN7rocprim17ROCPRIM_400000_NS6detail17trampoline_kernelINS0_14default_configENS1_25partition_config_selectorILNS1_17partition_subalgoE8ElNS0_10empty_typeEbEEZZNS1_14partition_implILS5_8ELb0ES3_jPKlPS6_PKS6_NS0_5tupleIJPlS6_EEENSE_IJSB_SB_EEENS0_18inequality_wrapperIN6hipcub16HIPCUB_304000_NS8EqualityEEESF_JS6_EEE10hipError_tPvRmT3_T4_T5_T6_T7_T9_mT8_P12ihipStream_tbDpT10_ENKUlT_T0_E_clISt17integral_constantIbLb0EES16_EEDaS11_S12_EUlS11_E_NS1_11comp_targetILNS1_3genE4ELNS1_11target_archE910ELNS1_3gpuE8ELNS1_3repE0EEENS1_30default_config_static_selectorELNS0_4arch9wavefront6targetE0EEEvT1_.kd
    .uniform_work_group_size: 1
    .uses_dynamic_stack: false
    .vgpr_count:     0
    .vgpr_spill_count: 0
    .wavefront_size: 32
    .workgroup_processor_mode: 1
  - .args:
      - .offset:         0
        .size:           112
        .value_kind:     by_value
    .group_segment_fixed_size: 0
    .kernarg_segment_align: 8
    .kernarg_segment_size: 112
    .language:       OpenCL C
    .language_version:
      - 2
      - 0
    .max_flat_workgroup_size: 512
    .name:           _ZN7rocprim17ROCPRIM_400000_NS6detail17trampoline_kernelINS0_14default_configENS1_25partition_config_selectorILNS1_17partition_subalgoE8ElNS0_10empty_typeEbEEZZNS1_14partition_implILS5_8ELb0ES3_jPKlPS6_PKS6_NS0_5tupleIJPlS6_EEENSE_IJSB_SB_EEENS0_18inequality_wrapperIN6hipcub16HIPCUB_304000_NS8EqualityEEESF_JS6_EEE10hipError_tPvRmT3_T4_T5_T6_T7_T9_mT8_P12ihipStream_tbDpT10_ENKUlT_T0_E_clISt17integral_constantIbLb0EES16_EEDaS11_S12_EUlS11_E_NS1_11comp_targetILNS1_3genE3ELNS1_11target_archE908ELNS1_3gpuE7ELNS1_3repE0EEENS1_30default_config_static_selectorELNS0_4arch9wavefront6targetE0EEEvT1_
    .private_segment_fixed_size: 0
    .sgpr_count:     0
    .sgpr_spill_count: 0
    .symbol:         _ZN7rocprim17ROCPRIM_400000_NS6detail17trampoline_kernelINS0_14default_configENS1_25partition_config_selectorILNS1_17partition_subalgoE8ElNS0_10empty_typeEbEEZZNS1_14partition_implILS5_8ELb0ES3_jPKlPS6_PKS6_NS0_5tupleIJPlS6_EEENSE_IJSB_SB_EEENS0_18inequality_wrapperIN6hipcub16HIPCUB_304000_NS8EqualityEEESF_JS6_EEE10hipError_tPvRmT3_T4_T5_T6_T7_T9_mT8_P12ihipStream_tbDpT10_ENKUlT_T0_E_clISt17integral_constantIbLb0EES16_EEDaS11_S12_EUlS11_E_NS1_11comp_targetILNS1_3genE3ELNS1_11target_archE908ELNS1_3gpuE7ELNS1_3repE0EEENS1_30default_config_static_selectorELNS0_4arch9wavefront6targetE0EEEvT1_.kd
    .uniform_work_group_size: 1
    .uses_dynamic_stack: false
    .vgpr_count:     0
    .vgpr_spill_count: 0
    .wavefront_size: 32
    .workgroup_processor_mode: 1
  - .args:
      - .offset:         0
        .size:           112
        .value_kind:     by_value
    .group_segment_fixed_size: 0
    .kernarg_segment_align: 8
    .kernarg_segment_size: 112
    .language:       OpenCL C
    .language_version:
      - 2
      - 0
    .max_flat_workgroup_size: 256
    .name:           _ZN7rocprim17ROCPRIM_400000_NS6detail17trampoline_kernelINS0_14default_configENS1_25partition_config_selectorILNS1_17partition_subalgoE8ElNS0_10empty_typeEbEEZZNS1_14partition_implILS5_8ELb0ES3_jPKlPS6_PKS6_NS0_5tupleIJPlS6_EEENSE_IJSB_SB_EEENS0_18inequality_wrapperIN6hipcub16HIPCUB_304000_NS8EqualityEEESF_JS6_EEE10hipError_tPvRmT3_T4_T5_T6_T7_T9_mT8_P12ihipStream_tbDpT10_ENKUlT_T0_E_clISt17integral_constantIbLb0EES16_EEDaS11_S12_EUlS11_E_NS1_11comp_targetILNS1_3genE2ELNS1_11target_archE906ELNS1_3gpuE6ELNS1_3repE0EEENS1_30default_config_static_selectorELNS0_4arch9wavefront6targetE0EEEvT1_
    .private_segment_fixed_size: 0
    .sgpr_count:     0
    .sgpr_spill_count: 0
    .symbol:         _ZN7rocprim17ROCPRIM_400000_NS6detail17trampoline_kernelINS0_14default_configENS1_25partition_config_selectorILNS1_17partition_subalgoE8ElNS0_10empty_typeEbEEZZNS1_14partition_implILS5_8ELb0ES3_jPKlPS6_PKS6_NS0_5tupleIJPlS6_EEENSE_IJSB_SB_EEENS0_18inequality_wrapperIN6hipcub16HIPCUB_304000_NS8EqualityEEESF_JS6_EEE10hipError_tPvRmT3_T4_T5_T6_T7_T9_mT8_P12ihipStream_tbDpT10_ENKUlT_T0_E_clISt17integral_constantIbLb0EES16_EEDaS11_S12_EUlS11_E_NS1_11comp_targetILNS1_3genE2ELNS1_11target_archE906ELNS1_3gpuE6ELNS1_3repE0EEENS1_30default_config_static_selectorELNS0_4arch9wavefront6targetE0EEEvT1_.kd
    .uniform_work_group_size: 1
    .uses_dynamic_stack: false
    .vgpr_count:     0
    .vgpr_spill_count: 0
    .wavefront_size: 32
    .workgroup_processor_mode: 1
  - .args:
      - .offset:         0
        .size:           112
        .value_kind:     by_value
    .group_segment_fixed_size: 0
    .kernarg_segment_align: 8
    .kernarg_segment_size: 112
    .language:       OpenCL C
    .language_version:
      - 2
      - 0
    .max_flat_workgroup_size: 384
    .name:           _ZN7rocprim17ROCPRIM_400000_NS6detail17trampoline_kernelINS0_14default_configENS1_25partition_config_selectorILNS1_17partition_subalgoE8ElNS0_10empty_typeEbEEZZNS1_14partition_implILS5_8ELb0ES3_jPKlPS6_PKS6_NS0_5tupleIJPlS6_EEENSE_IJSB_SB_EEENS0_18inequality_wrapperIN6hipcub16HIPCUB_304000_NS8EqualityEEESF_JS6_EEE10hipError_tPvRmT3_T4_T5_T6_T7_T9_mT8_P12ihipStream_tbDpT10_ENKUlT_T0_E_clISt17integral_constantIbLb0EES16_EEDaS11_S12_EUlS11_E_NS1_11comp_targetILNS1_3genE10ELNS1_11target_archE1200ELNS1_3gpuE4ELNS1_3repE0EEENS1_30default_config_static_selectorELNS0_4arch9wavefront6targetE0EEEvT1_
    .private_segment_fixed_size: 0
    .sgpr_count:     0
    .sgpr_spill_count: 0
    .symbol:         _ZN7rocprim17ROCPRIM_400000_NS6detail17trampoline_kernelINS0_14default_configENS1_25partition_config_selectorILNS1_17partition_subalgoE8ElNS0_10empty_typeEbEEZZNS1_14partition_implILS5_8ELb0ES3_jPKlPS6_PKS6_NS0_5tupleIJPlS6_EEENSE_IJSB_SB_EEENS0_18inequality_wrapperIN6hipcub16HIPCUB_304000_NS8EqualityEEESF_JS6_EEE10hipError_tPvRmT3_T4_T5_T6_T7_T9_mT8_P12ihipStream_tbDpT10_ENKUlT_T0_E_clISt17integral_constantIbLb0EES16_EEDaS11_S12_EUlS11_E_NS1_11comp_targetILNS1_3genE10ELNS1_11target_archE1200ELNS1_3gpuE4ELNS1_3repE0EEENS1_30default_config_static_selectorELNS0_4arch9wavefront6targetE0EEEvT1_.kd
    .uniform_work_group_size: 1
    .uses_dynamic_stack: false
    .vgpr_count:     0
    .vgpr_spill_count: 0
    .wavefront_size: 32
    .workgroup_processor_mode: 1
  - .args:
      - .offset:         0
        .size:           112
        .value_kind:     by_value
    .group_segment_fixed_size: 0
    .kernarg_segment_align: 8
    .kernarg_segment_size: 112
    .language:       OpenCL C
    .language_version:
      - 2
      - 0
    .max_flat_workgroup_size: 512
    .name:           _ZN7rocprim17ROCPRIM_400000_NS6detail17trampoline_kernelINS0_14default_configENS1_25partition_config_selectorILNS1_17partition_subalgoE8ElNS0_10empty_typeEbEEZZNS1_14partition_implILS5_8ELb0ES3_jPKlPS6_PKS6_NS0_5tupleIJPlS6_EEENSE_IJSB_SB_EEENS0_18inequality_wrapperIN6hipcub16HIPCUB_304000_NS8EqualityEEESF_JS6_EEE10hipError_tPvRmT3_T4_T5_T6_T7_T9_mT8_P12ihipStream_tbDpT10_ENKUlT_T0_E_clISt17integral_constantIbLb0EES16_EEDaS11_S12_EUlS11_E_NS1_11comp_targetILNS1_3genE9ELNS1_11target_archE1100ELNS1_3gpuE3ELNS1_3repE0EEENS1_30default_config_static_selectorELNS0_4arch9wavefront6targetE0EEEvT1_
    .private_segment_fixed_size: 0
    .sgpr_count:     0
    .sgpr_spill_count: 0
    .symbol:         _ZN7rocprim17ROCPRIM_400000_NS6detail17trampoline_kernelINS0_14default_configENS1_25partition_config_selectorILNS1_17partition_subalgoE8ElNS0_10empty_typeEbEEZZNS1_14partition_implILS5_8ELb0ES3_jPKlPS6_PKS6_NS0_5tupleIJPlS6_EEENSE_IJSB_SB_EEENS0_18inequality_wrapperIN6hipcub16HIPCUB_304000_NS8EqualityEEESF_JS6_EEE10hipError_tPvRmT3_T4_T5_T6_T7_T9_mT8_P12ihipStream_tbDpT10_ENKUlT_T0_E_clISt17integral_constantIbLb0EES16_EEDaS11_S12_EUlS11_E_NS1_11comp_targetILNS1_3genE9ELNS1_11target_archE1100ELNS1_3gpuE3ELNS1_3repE0EEENS1_30default_config_static_selectorELNS0_4arch9wavefront6targetE0EEEvT1_.kd
    .uniform_work_group_size: 1
    .uses_dynamic_stack: false
    .vgpr_count:     0
    .vgpr_spill_count: 0
    .wavefront_size: 32
    .workgroup_processor_mode: 1
  - .args:
      - .offset:         0
        .size:           112
        .value_kind:     by_value
    .group_segment_fixed_size: 33800
    .kernarg_segment_align: 8
    .kernarg_segment_size: 112
    .language:       OpenCL C
    .language_version:
      - 2
      - 0
    .max_flat_workgroup_size: 512
    .name:           _ZN7rocprim17ROCPRIM_400000_NS6detail17trampoline_kernelINS0_14default_configENS1_25partition_config_selectorILNS1_17partition_subalgoE8ElNS0_10empty_typeEbEEZZNS1_14partition_implILS5_8ELb0ES3_jPKlPS6_PKS6_NS0_5tupleIJPlS6_EEENSE_IJSB_SB_EEENS0_18inequality_wrapperIN6hipcub16HIPCUB_304000_NS8EqualityEEESF_JS6_EEE10hipError_tPvRmT3_T4_T5_T6_T7_T9_mT8_P12ihipStream_tbDpT10_ENKUlT_T0_E_clISt17integral_constantIbLb0EES16_EEDaS11_S12_EUlS11_E_NS1_11comp_targetILNS1_3genE8ELNS1_11target_archE1030ELNS1_3gpuE2ELNS1_3repE0EEENS1_30default_config_static_selectorELNS0_4arch9wavefront6targetE0EEEvT1_
    .private_segment_fixed_size: 0
    .sgpr_count:     24
    .sgpr_spill_count: 0
    .symbol:         _ZN7rocprim17ROCPRIM_400000_NS6detail17trampoline_kernelINS0_14default_configENS1_25partition_config_selectorILNS1_17partition_subalgoE8ElNS0_10empty_typeEbEEZZNS1_14partition_implILS5_8ELb0ES3_jPKlPS6_PKS6_NS0_5tupleIJPlS6_EEENSE_IJSB_SB_EEENS0_18inequality_wrapperIN6hipcub16HIPCUB_304000_NS8EqualityEEESF_JS6_EEE10hipError_tPvRmT3_T4_T5_T6_T7_T9_mT8_P12ihipStream_tbDpT10_ENKUlT_T0_E_clISt17integral_constantIbLb0EES16_EEDaS11_S12_EUlS11_E_NS1_11comp_targetILNS1_3genE8ELNS1_11target_archE1030ELNS1_3gpuE2ELNS1_3repE0EEENS1_30default_config_static_selectorELNS0_4arch9wavefront6targetE0EEEvT1_.kd
    .uniform_work_group_size: 1
    .uses_dynamic_stack: false
    .vgpr_count:     55
    .vgpr_spill_count: 0
    .wavefront_size: 32
    .workgroup_processor_mode: 1
  - .args:
      - .offset:         0
        .size:           128
        .value_kind:     by_value
    .group_segment_fixed_size: 0
    .kernarg_segment_align: 8
    .kernarg_segment_size: 128
    .language:       OpenCL C
    .language_version:
      - 2
      - 0
    .max_flat_workgroup_size: 512
    .name:           _ZN7rocprim17ROCPRIM_400000_NS6detail17trampoline_kernelINS0_14default_configENS1_25partition_config_selectorILNS1_17partition_subalgoE8ElNS0_10empty_typeEbEEZZNS1_14partition_implILS5_8ELb0ES3_jPKlPS6_PKS6_NS0_5tupleIJPlS6_EEENSE_IJSB_SB_EEENS0_18inequality_wrapperIN6hipcub16HIPCUB_304000_NS8EqualityEEESF_JS6_EEE10hipError_tPvRmT3_T4_T5_T6_T7_T9_mT8_P12ihipStream_tbDpT10_ENKUlT_T0_E_clISt17integral_constantIbLb1EES16_EEDaS11_S12_EUlS11_E_NS1_11comp_targetILNS1_3genE0ELNS1_11target_archE4294967295ELNS1_3gpuE0ELNS1_3repE0EEENS1_30default_config_static_selectorELNS0_4arch9wavefront6targetE0EEEvT1_
    .private_segment_fixed_size: 0
    .sgpr_count:     0
    .sgpr_spill_count: 0
    .symbol:         _ZN7rocprim17ROCPRIM_400000_NS6detail17trampoline_kernelINS0_14default_configENS1_25partition_config_selectorILNS1_17partition_subalgoE8ElNS0_10empty_typeEbEEZZNS1_14partition_implILS5_8ELb0ES3_jPKlPS6_PKS6_NS0_5tupleIJPlS6_EEENSE_IJSB_SB_EEENS0_18inequality_wrapperIN6hipcub16HIPCUB_304000_NS8EqualityEEESF_JS6_EEE10hipError_tPvRmT3_T4_T5_T6_T7_T9_mT8_P12ihipStream_tbDpT10_ENKUlT_T0_E_clISt17integral_constantIbLb1EES16_EEDaS11_S12_EUlS11_E_NS1_11comp_targetILNS1_3genE0ELNS1_11target_archE4294967295ELNS1_3gpuE0ELNS1_3repE0EEENS1_30default_config_static_selectorELNS0_4arch9wavefront6targetE0EEEvT1_.kd
    .uniform_work_group_size: 1
    .uses_dynamic_stack: false
    .vgpr_count:     0
    .vgpr_spill_count: 0
    .wavefront_size: 32
    .workgroup_processor_mode: 1
  - .args:
      - .offset:         0
        .size:           128
        .value_kind:     by_value
    .group_segment_fixed_size: 0
    .kernarg_segment_align: 8
    .kernarg_segment_size: 128
    .language:       OpenCL C
    .language_version:
      - 2
      - 0
    .max_flat_workgroup_size: 512
    .name:           _ZN7rocprim17ROCPRIM_400000_NS6detail17trampoline_kernelINS0_14default_configENS1_25partition_config_selectorILNS1_17partition_subalgoE8ElNS0_10empty_typeEbEEZZNS1_14partition_implILS5_8ELb0ES3_jPKlPS6_PKS6_NS0_5tupleIJPlS6_EEENSE_IJSB_SB_EEENS0_18inequality_wrapperIN6hipcub16HIPCUB_304000_NS8EqualityEEESF_JS6_EEE10hipError_tPvRmT3_T4_T5_T6_T7_T9_mT8_P12ihipStream_tbDpT10_ENKUlT_T0_E_clISt17integral_constantIbLb1EES16_EEDaS11_S12_EUlS11_E_NS1_11comp_targetILNS1_3genE5ELNS1_11target_archE942ELNS1_3gpuE9ELNS1_3repE0EEENS1_30default_config_static_selectorELNS0_4arch9wavefront6targetE0EEEvT1_
    .private_segment_fixed_size: 0
    .sgpr_count:     0
    .sgpr_spill_count: 0
    .symbol:         _ZN7rocprim17ROCPRIM_400000_NS6detail17trampoline_kernelINS0_14default_configENS1_25partition_config_selectorILNS1_17partition_subalgoE8ElNS0_10empty_typeEbEEZZNS1_14partition_implILS5_8ELb0ES3_jPKlPS6_PKS6_NS0_5tupleIJPlS6_EEENSE_IJSB_SB_EEENS0_18inequality_wrapperIN6hipcub16HIPCUB_304000_NS8EqualityEEESF_JS6_EEE10hipError_tPvRmT3_T4_T5_T6_T7_T9_mT8_P12ihipStream_tbDpT10_ENKUlT_T0_E_clISt17integral_constantIbLb1EES16_EEDaS11_S12_EUlS11_E_NS1_11comp_targetILNS1_3genE5ELNS1_11target_archE942ELNS1_3gpuE9ELNS1_3repE0EEENS1_30default_config_static_selectorELNS0_4arch9wavefront6targetE0EEEvT1_.kd
    .uniform_work_group_size: 1
    .uses_dynamic_stack: false
    .vgpr_count:     0
    .vgpr_spill_count: 0
    .wavefront_size: 32
    .workgroup_processor_mode: 1
  - .args:
      - .offset:         0
        .size:           128
        .value_kind:     by_value
    .group_segment_fixed_size: 0
    .kernarg_segment_align: 8
    .kernarg_segment_size: 128
    .language:       OpenCL C
    .language_version:
      - 2
      - 0
    .max_flat_workgroup_size: 256
    .name:           _ZN7rocprim17ROCPRIM_400000_NS6detail17trampoline_kernelINS0_14default_configENS1_25partition_config_selectorILNS1_17partition_subalgoE8ElNS0_10empty_typeEbEEZZNS1_14partition_implILS5_8ELb0ES3_jPKlPS6_PKS6_NS0_5tupleIJPlS6_EEENSE_IJSB_SB_EEENS0_18inequality_wrapperIN6hipcub16HIPCUB_304000_NS8EqualityEEESF_JS6_EEE10hipError_tPvRmT3_T4_T5_T6_T7_T9_mT8_P12ihipStream_tbDpT10_ENKUlT_T0_E_clISt17integral_constantIbLb1EES16_EEDaS11_S12_EUlS11_E_NS1_11comp_targetILNS1_3genE4ELNS1_11target_archE910ELNS1_3gpuE8ELNS1_3repE0EEENS1_30default_config_static_selectorELNS0_4arch9wavefront6targetE0EEEvT1_
    .private_segment_fixed_size: 0
    .sgpr_count:     0
    .sgpr_spill_count: 0
    .symbol:         _ZN7rocprim17ROCPRIM_400000_NS6detail17trampoline_kernelINS0_14default_configENS1_25partition_config_selectorILNS1_17partition_subalgoE8ElNS0_10empty_typeEbEEZZNS1_14partition_implILS5_8ELb0ES3_jPKlPS6_PKS6_NS0_5tupleIJPlS6_EEENSE_IJSB_SB_EEENS0_18inequality_wrapperIN6hipcub16HIPCUB_304000_NS8EqualityEEESF_JS6_EEE10hipError_tPvRmT3_T4_T5_T6_T7_T9_mT8_P12ihipStream_tbDpT10_ENKUlT_T0_E_clISt17integral_constantIbLb1EES16_EEDaS11_S12_EUlS11_E_NS1_11comp_targetILNS1_3genE4ELNS1_11target_archE910ELNS1_3gpuE8ELNS1_3repE0EEENS1_30default_config_static_selectorELNS0_4arch9wavefront6targetE0EEEvT1_.kd
    .uniform_work_group_size: 1
    .uses_dynamic_stack: false
    .vgpr_count:     0
    .vgpr_spill_count: 0
    .wavefront_size: 32
    .workgroup_processor_mode: 1
  - .args:
      - .offset:         0
        .size:           128
        .value_kind:     by_value
    .group_segment_fixed_size: 0
    .kernarg_segment_align: 8
    .kernarg_segment_size: 128
    .language:       OpenCL C
    .language_version:
      - 2
      - 0
    .max_flat_workgroup_size: 512
    .name:           _ZN7rocprim17ROCPRIM_400000_NS6detail17trampoline_kernelINS0_14default_configENS1_25partition_config_selectorILNS1_17partition_subalgoE8ElNS0_10empty_typeEbEEZZNS1_14partition_implILS5_8ELb0ES3_jPKlPS6_PKS6_NS0_5tupleIJPlS6_EEENSE_IJSB_SB_EEENS0_18inequality_wrapperIN6hipcub16HIPCUB_304000_NS8EqualityEEESF_JS6_EEE10hipError_tPvRmT3_T4_T5_T6_T7_T9_mT8_P12ihipStream_tbDpT10_ENKUlT_T0_E_clISt17integral_constantIbLb1EES16_EEDaS11_S12_EUlS11_E_NS1_11comp_targetILNS1_3genE3ELNS1_11target_archE908ELNS1_3gpuE7ELNS1_3repE0EEENS1_30default_config_static_selectorELNS0_4arch9wavefront6targetE0EEEvT1_
    .private_segment_fixed_size: 0
    .sgpr_count:     0
    .sgpr_spill_count: 0
    .symbol:         _ZN7rocprim17ROCPRIM_400000_NS6detail17trampoline_kernelINS0_14default_configENS1_25partition_config_selectorILNS1_17partition_subalgoE8ElNS0_10empty_typeEbEEZZNS1_14partition_implILS5_8ELb0ES3_jPKlPS6_PKS6_NS0_5tupleIJPlS6_EEENSE_IJSB_SB_EEENS0_18inequality_wrapperIN6hipcub16HIPCUB_304000_NS8EqualityEEESF_JS6_EEE10hipError_tPvRmT3_T4_T5_T6_T7_T9_mT8_P12ihipStream_tbDpT10_ENKUlT_T0_E_clISt17integral_constantIbLb1EES16_EEDaS11_S12_EUlS11_E_NS1_11comp_targetILNS1_3genE3ELNS1_11target_archE908ELNS1_3gpuE7ELNS1_3repE0EEENS1_30default_config_static_selectorELNS0_4arch9wavefront6targetE0EEEvT1_.kd
    .uniform_work_group_size: 1
    .uses_dynamic_stack: false
    .vgpr_count:     0
    .vgpr_spill_count: 0
    .wavefront_size: 32
    .workgroup_processor_mode: 1
  - .args:
      - .offset:         0
        .size:           128
        .value_kind:     by_value
    .group_segment_fixed_size: 0
    .kernarg_segment_align: 8
    .kernarg_segment_size: 128
    .language:       OpenCL C
    .language_version:
      - 2
      - 0
    .max_flat_workgroup_size: 256
    .name:           _ZN7rocprim17ROCPRIM_400000_NS6detail17trampoline_kernelINS0_14default_configENS1_25partition_config_selectorILNS1_17partition_subalgoE8ElNS0_10empty_typeEbEEZZNS1_14partition_implILS5_8ELb0ES3_jPKlPS6_PKS6_NS0_5tupleIJPlS6_EEENSE_IJSB_SB_EEENS0_18inequality_wrapperIN6hipcub16HIPCUB_304000_NS8EqualityEEESF_JS6_EEE10hipError_tPvRmT3_T4_T5_T6_T7_T9_mT8_P12ihipStream_tbDpT10_ENKUlT_T0_E_clISt17integral_constantIbLb1EES16_EEDaS11_S12_EUlS11_E_NS1_11comp_targetILNS1_3genE2ELNS1_11target_archE906ELNS1_3gpuE6ELNS1_3repE0EEENS1_30default_config_static_selectorELNS0_4arch9wavefront6targetE0EEEvT1_
    .private_segment_fixed_size: 0
    .sgpr_count:     0
    .sgpr_spill_count: 0
    .symbol:         _ZN7rocprim17ROCPRIM_400000_NS6detail17trampoline_kernelINS0_14default_configENS1_25partition_config_selectorILNS1_17partition_subalgoE8ElNS0_10empty_typeEbEEZZNS1_14partition_implILS5_8ELb0ES3_jPKlPS6_PKS6_NS0_5tupleIJPlS6_EEENSE_IJSB_SB_EEENS0_18inequality_wrapperIN6hipcub16HIPCUB_304000_NS8EqualityEEESF_JS6_EEE10hipError_tPvRmT3_T4_T5_T6_T7_T9_mT8_P12ihipStream_tbDpT10_ENKUlT_T0_E_clISt17integral_constantIbLb1EES16_EEDaS11_S12_EUlS11_E_NS1_11comp_targetILNS1_3genE2ELNS1_11target_archE906ELNS1_3gpuE6ELNS1_3repE0EEENS1_30default_config_static_selectorELNS0_4arch9wavefront6targetE0EEEvT1_.kd
    .uniform_work_group_size: 1
    .uses_dynamic_stack: false
    .vgpr_count:     0
    .vgpr_spill_count: 0
    .wavefront_size: 32
    .workgroup_processor_mode: 1
  - .args:
      - .offset:         0
        .size:           128
        .value_kind:     by_value
    .group_segment_fixed_size: 0
    .kernarg_segment_align: 8
    .kernarg_segment_size: 128
    .language:       OpenCL C
    .language_version:
      - 2
      - 0
    .max_flat_workgroup_size: 384
    .name:           _ZN7rocprim17ROCPRIM_400000_NS6detail17trampoline_kernelINS0_14default_configENS1_25partition_config_selectorILNS1_17partition_subalgoE8ElNS0_10empty_typeEbEEZZNS1_14partition_implILS5_8ELb0ES3_jPKlPS6_PKS6_NS0_5tupleIJPlS6_EEENSE_IJSB_SB_EEENS0_18inequality_wrapperIN6hipcub16HIPCUB_304000_NS8EqualityEEESF_JS6_EEE10hipError_tPvRmT3_T4_T5_T6_T7_T9_mT8_P12ihipStream_tbDpT10_ENKUlT_T0_E_clISt17integral_constantIbLb1EES16_EEDaS11_S12_EUlS11_E_NS1_11comp_targetILNS1_3genE10ELNS1_11target_archE1200ELNS1_3gpuE4ELNS1_3repE0EEENS1_30default_config_static_selectorELNS0_4arch9wavefront6targetE0EEEvT1_
    .private_segment_fixed_size: 0
    .sgpr_count:     0
    .sgpr_spill_count: 0
    .symbol:         _ZN7rocprim17ROCPRIM_400000_NS6detail17trampoline_kernelINS0_14default_configENS1_25partition_config_selectorILNS1_17partition_subalgoE8ElNS0_10empty_typeEbEEZZNS1_14partition_implILS5_8ELb0ES3_jPKlPS6_PKS6_NS0_5tupleIJPlS6_EEENSE_IJSB_SB_EEENS0_18inequality_wrapperIN6hipcub16HIPCUB_304000_NS8EqualityEEESF_JS6_EEE10hipError_tPvRmT3_T4_T5_T6_T7_T9_mT8_P12ihipStream_tbDpT10_ENKUlT_T0_E_clISt17integral_constantIbLb1EES16_EEDaS11_S12_EUlS11_E_NS1_11comp_targetILNS1_3genE10ELNS1_11target_archE1200ELNS1_3gpuE4ELNS1_3repE0EEENS1_30default_config_static_selectorELNS0_4arch9wavefront6targetE0EEEvT1_.kd
    .uniform_work_group_size: 1
    .uses_dynamic_stack: false
    .vgpr_count:     0
    .vgpr_spill_count: 0
    .wavefront_size: 32
    .workgroup_processor_mode: 1
  - .args:
      - .offset:         0
        .size:           128
        .value_kind:     by_value
    .group_segment_fixed_size: 0
    .kernarg_segment_align: 8
    .kernarg_segment_size: 128
    .language:       OpenCL C
    .language_version:
      - 2
      - 0
    .max_flat_workgroup_size: 512
    .name:           _ZN7rocprim17ROCPRIM_400000_NS6detail17trampoline_kernelINS0_14default_configENS1_25partition_config_selectorILNS1_17partition_subalgoE8ElNS0_10empty_typeEbEEZZNS1_14partition_implILS5_8ELb0ES3_jPKlPS6_PKS6_NS0_5tupleIJPlS6_EEENSE_IJSB_SB_EEENS0_18inequality_wrapperIN6hipcub16HIPCUB_304000_NS8EqualityEEESF_JS6_EEE10hipError_tPvRmT3_T4_T5_T6_T7_T9_mT8_P12ihipStream_tbDpT10_ENKUlT_T0_E_clISt17integral_constantIbLb1EES16_EEDaS11_S12_EUlS11_E_NS1_11comp_targetILNS1_3genE9ELNS1_11target_archE1100ELNS1_3gpuE3ELNS1_3repE0EEENS1_30default_config_static_selectorELNS0_4arch9wavefront6targetE0EEEvT1_
    .private_segment_fixed_size: 0
    .sgpr_count:     0
    .sgpr_spill_count: 0
    .symbol:         _ZN7rocprim17ROCPRIM_400000_NS6detail17trampoline_kernelINS0_14default_configENS1_25partition_config_selectorILNS1_17partition_subalgoE8ElNS0_10empty_typeEbEEZZNS1_14partition_implILS5_8ELb0ES3_jPKlPS6_PKS6_NS0_5tupleIJPlS6_EEENSE_IJSB_SB_EEENS0_18inequality_wrapperIN6hipcub16HIPCUB_304000_NS8EqualityEEESF_JS6_EEE10hipError_tPvRmT3_T4_T5_T6_T7_T9_mT8_P12ihipStream_tbDpT10_ENKUlT_T0_E_clISt17integral_constantIbLb1EES16_EEDaS11_S12_EUlS11_E_NS1_11comp_targetILNS1_3genE9ELNS1_11target_archE1100ELNS1_3gpuE3ELNS1_3repE0EEENS1_30default_config_static_selectorELNS0_4arch9wavefront6targetE0EEEvT1_.kd
    .uniform_work_group_size: 1
    .uses_dynamic_stack: false
    .vgpr_count:     0
    .vgpr_spill_count: 0
    .wavefront_size: 32
    .workgroup_processor_mode: 1
  - .args:
      - .offset:         0
        .size:           128
        .value_kind:     by_value
    .group_segment_fixed_size: 0
    .kernarg_segment_align: 8
    .kernarg_segment_size: 128
    .language:       OpenCL C
    .language_version:
      - 2
      - 0
    .max_flat_workgroup_size: 512
    .name:           _ZN7rocprim17ROCPRIM_400000_NS6detail17trampoline_kernelINS0_14default_configENS1_25partition_config_selectorILNS1_17partition_subalgoE8ElNS0_10empty_typeEbEEZZNS1_14partition_implILS5_8ELb0ES3_jPKlPS6_PKS6_NS0_5tupleIJPlS6_EEENSE_IJSB_SB_EEENS0_18inequality_wrapperIN6hipcub16HIPCUB_304000_NS8EqualityEEESF_JS6_EEE10hipError_tPvRmT3_T4_T5_T6_T7_T9_mT8_P12ihipStream_tbDpT10_ENKUlT_T0_E_clISt17integral_constantIbLb1EES16_EEDaS11_S12_EUlS11_E_NS1_11comp_targetILNS1_3genE8ELNS1_11target_archE1030ELNS1_3gpuE2ELNS1_3repE0EEENS1_30default_config_static_selectorELNS0_4arch9wavefront6targetE0EEEvT1_
    .private_segment_fixed_size: 0
    .sgpr_count:     0
    .sgpr_spill_count: 0
    .symbol:         _ZN7rocprim17ROCPRIM_400000_NS6detail17trampoline_kernelINS0_14default_configENS1_25partition_config_selectorILNS1_17partition_subalgoE8ElNS0_10empty_typeEbEEZZNS1_14partition_implILS5_8ELb0ES3_jPKlPS6_PKS6_NS0_5tupleIJPlS6_EEENSE_IJSB_SB_EEENS0_18inequality_wrapperIN6hipcub16HIPCUB_304000_NS8EqualityEEESF_JS6_EEE10hipError_tPvRmT3_T4_T5_T6_T7_T9_mT8_P12ihipStream_tbDpT10_ENKUlT_T0_E_clISt17integral_constantIbLb1EES16_EEDaS11_S12_EUlS11_E_NS1_11comp_targetILNS1_3genE8ELNS1_11target_archE1030ELNS1_3gpuE2ELNS1_3repE0EEENS1_30default_config_static_selectorELNS0_4arch9wavefront6targetE0EEEvT1_.kd
    .uniform_work_group_size: 1
    .uses_dynamic_stack: false
    .vgpr_count:     0
    .vgpr_spill_count: 0
    .wavefront_size: 32
    .workgroup_processor_mode: 1
  - .args:
      - .offset:         0
        .size:           112
        .value_kind:     by_value
    .group_segment_fixed_size: 0
    .kernarg_segment_align: 8
    .kernarg_segment_size: 112
    .language:       OpenCL C
    .language_version:
      - 2
      - 0
    .max_flat_workgroup_size: 512
    .name:           _ZN7rocprim17ROCPRIM_400000_NS6detail17trampoline_kernelINS0_14default_configENS1_25partition_config_selectorILNS1_17partition_subalgoE8ElNS0_10empty_typeEbEEZZNS1_14partition_implILS5_8ELb0ES3_jPKlPS6_PKS6_NS0_5tupleIJPlS6_EEENSE_IJSB_SB_EEENS0_18inequality_wrapperIN6hipcub16HIPCUB_304000_NS8EqualityEEESF_JS6_EEE10hipError_tPvRmT3_T4_T5_T6_T7_T9_mT8_P12ihipStream_tbDpT10_ENKUlT_T0_E_clISt17integral_constantIbLb1EES15_IbLb0EEEEDaS11_S12_EUlS11_E_NS1_11comp_targetILNS1_3genE0ELNS1_11target_archE4294967295ELNS1_3gpuE0ELNS1_3repE0EEENS1_30default_config_static_selectorELNS0_4arch9wavefront6targetE0EEEvT1_
    .private_segment_fixed_size: 0
    .sgpr_count:     0
    .sgpr_spill_count: 0
    .symbol:         _ZN7rocprim17ROCPRIM_400000_NS6detail17trampoline_kernelINS0_14default_configENS1_25partition_config_selectorILNS1_17partition_subalgoE8ElNS0_10empty_typeEbEEZZNS1_14partition_implILS5_8ELb0ES3_jPKlPS6_PKS6_NS0_5tupleIJPlS6_EEENSE_IJSB_SB_EEENS0_18inequality_wrapperIN6hipcub16HIPCUB_304000_NS8EqualityEEESF_JS6_EEE10hipError_tPvRmT3_T4_T5_T6_T7_T9_mT8_P12ihipStream_tbDpT10_ENKUlT_T0_E_clISt17integral_constantIbLb1EES15_IbLb0EEEEDaS11_S12_EUlS11_E_NS1_11comp_targetILNS1_3genE0ELNS1_11target_archE4294967295ELNS1_3gpuE0ELNS1_3repE0EEENS1_30default_config_static_selectorELNS0_4arch9wavefront6targetE0EEEvT1_.kd
    .uniform_work_group_size: 1
    .uses_dynamic_stack: false
    .vgpr_count:     0
    .vgpr_spill_count: 0
    .wavefront_size: 32
    .workgroup_processor_mode: 1
  - .args:
      - .offset:         0
        .size:           112
        .value_kind:     by_value
    .group_segment_fixed_size: 0
    .kernarg_segment_align: 8
    .kernarg_segment_size: 112
    .language:       OpenCL C
    .language_version:
      - 2
      - 0
    .max_flat_workgroup_size: 512
    .name:           _ZN7rocprim17ROCPRIM_400000_NS6detail17trampoline_kernelINS0_14default_configENS1_25partition_config_selectorILNS1_17partition_subalgoE8ElNS0_10empty_typeEbEEZZNS1_14partition_implILS5_8ELb0ES3_jPKlPS6_PKS6_NS0_5tupleIJPlS6_EEENSE_IJSB_SB_EEENS0_18inequality_wrapperIN6hipcub16HIPCUB_304000_NS8EqualityEEESF_JS6_EEE10hipError_tPvRmT3_T4_T5_T6_T7_T9_mT8_P12ihipStream_tbDpT10_ENKUlT_T0_E_clISt17integral_constantIbLb1EES15_IbLb0EEEEDaS11_S12_EUlS11_E_NS1_11comp_targetILNS1_3genE5ELNS1_11target_archE942ELNS1_3gpuE9ELNS1_3repE0EEENS1_30default_config_static_selectorELNS0_4arch9wavefront6targetE0EEEvT1_
    .private_segment_fixed_size: 0
    .sgpr_count:     0
    .sgpr_spill_count: 0
    .symbol:         _ZN7rocprim17ROCPRIM_400000_NS6detail17trampoline_kernelINS0_14default_configENS1_25partition_config_selectorILNS1_17partition_subalgoE8ElNS0_10empty_typeEbEEZZNS1_14partition_implILS5_8ELb0ES3_jPKlPS6_PKS6_NS0_5tupleIJPlS6_EEENSE_IJSB_SB_EEENS0_18inequality_wrapperIN6hipcub16HIPCUB_304000_NS8EqualityEEESF_JS6_EEE10hipError_tPvRmT3_T4_T5_T6_T7_T9_mT8_P12ihipStream_tbDpT10_ENKUlT_T0_E_clISt17integral_constantIbLb1EES15_IbLb0EEEEDaS11_S12_EUlS11_E_NS1_11comp_targetILNS1_3genE5ELNS1_11target_archE942ELNS1_3gpuE9ELNS1_3repE0EEENS1_30default_config_static_selectorELNS0_4arch9wavefront6targetE0EEEvT1_.kd
    .uniform_work_group_size: 1
    .uses_dynamic_stack: false
    .vgpr_count:     0
    .vgpr_spill_count: 0
    .wavefront_size: 32
    .workgroup_processor_mode: 1
  - .args:
      - .offset:         0
        .size:           112
        .value_kind:     by_value
    .group_segment_fixed_size: 0
    .kernarg_segment_align: 8
    .kernarg_segment_size: 112
    .language:       OpenCL C
    .language_version:
      - 2
      - 0
    .max_flat_workgroup_size: 256
    .name:           _ZN7rocprim17ROCPRIM_400000_NS6detail17trampoline_kernelINS0_14default_configENS1_25partition_config_selectorILNS1_17partition_subalgoE8ElNS0_10empty_typeEbEEZZNS1_14partition_implILS5_8ELb0ES3_jPKlPS6_PKS6_NS0_5tupleIJPlS6_EEENSE_IJSB_SB_EEENS0_18inequality_wrapperIN6hipcub16HIPCUB_304000_NS8EqualityEEESF_JS6_EEE10hipError_tPvRmT3_T4_T5_T6_T7_T9_mT8_P12ihipStream_tbDpT10_ENKUlT_T0_E_clISt17integral_constantIbLb1EES15_IbLb0EEEEDaS11_S12_EUlS11_E_NS1_11comp_targetILNS1_3genE4ELNS1_11target_archE910ELNS1_3gpuE8ELNS1_3repE0EEENS1_30default_config_static_selectorELNS0_4arch9wavefront6targetE0EEEvT1_
    .private_segment_fixed_size: 0
    .sgpr_count:     0
    .sgpr_spill_count: 0
    .symbol:         _ZN7rocprim17ROCPRIM_400000_NS6detail17trampoline_kernelINS0_14default_configENS1_25partition_config_selectorILNS1_17partition_subalgoE8ElNS0_10empty_typeEbEEZZNS1_14partition_implILS5_8ELb0ES3_jPKlPS6_PKS6_NS0_5tupleIJPlS6_EEENSE_IJSB_SB_EEENS0_18inequality_wrapperIN6hipcub16HIPCUB_304000_NS8EqualityEEESF_JS6_EEE10hipError_tPvRmT3_T4_T5_T6_T7_T9_mT8_P12ihipStream_tbDpT10_ENKUlT_T0_E_clISt17integral_constantIbLb1EES15_IbLb0EEEEDaS11_S12_EUlS11_E_NS1_11comp_targetILNS1_3genE4ELNS1_11target_archE910ELNS1_3gpuE8ELNS1_3repE0EEENS1_30default_config_static_selectorELNS0_4arch9wavefront6targetE0EEEvT1_.kd
    .uniform_work_group_size: 1
    .uses_dynamic_stack: false
    .vgpr_count:     0
    .vgpr_spill_count: 0
    .wavefront_size: 32
    .workgroup_processor_mode: 1
  - .args:
      - .offset:         0
        .size:           112
        .value_kind:     by_value
    .group_segment_fixed_size: 0
    .kernarg_segment_align: 8
    .kernarg_segment_size: 112
    .language:       OpenCL C
    .language_version:
      - 2
      - 0
    .max_flat_workgroup_size: 512
    .name:           _ZN7rocprim17ROCPRIM_400000_NS6detail17trampoline_kernelINS0_14default_configENS1_25partition_config_selectorILNS1_17partition_subalgoE8ElNS0_10empty_typeEbEEZZNS1_14partition_implILS5_8ELb0ES3_jPKlPS6_PKS6_NS0_5tupleIJPlS6_EEENSE_IJSB_SB_EEENS0_18inequality_wrapperIN6hipcub16HIPCUB_304000_NS8EqualityEEESF_JS6_EEE10hipError_tPvRmT3_T4_T5_T6_T7_T9_mT8_P12ihipStream_tbDpT10_ENKUlT_T0_E_clISt17integral_constantIbLb1EES15_IbLb0EEEEDaS11_S12_EUlS11_E_NS1_11comp_targetILNS1_3genE3ELNS1_11target_archE908ELNS1_3gpuE7ELNS1_3repE0EEENS1_30default_config_static_selectorELNS0_4arch9wavefront6targetE0EEEvT1_
    .private_segment_fixed_size: 0
    .sgpr_count:     0
    .sgpr_spill_count: 0
    .symbol:         _ZN7rocprim17ROCPRIM_400000_NS6detail17trampoline_kernelINS0_14default_configENS1_25partition_config_selectorILNS1_17partition_subalgoE8ElNS0_10empty_typeEbEEZZNS1_14partition_implILS5_8ELb0ES3_jPKlPS6_PKS6_NS0_5tupleIJPlS6_EEENSE_IJSB_SB_EEENS0_18inequality_wrapperIN6hipcub16HIPCUB_304000_NS8EqualityEEESF_JS6_EEE10hipError_tPvRmT3_T4_T5_T6_T7_T9_mT8_P12ihipStream_tbDpT10_ENKUlT_T0_E_clISt17integral_constantIbLb1EES15_IbLb0EEEEDaS11_S12_EUlS11_E_NS1_11comp_targetILNS1_3genE3ELNS1_11target_archE908ELNS1_3gpuE7ELNS1_3repE0EEENS1_30default_config_static_selectorELNS0_4arch9wavefront6targetE0EEEvT1_.kd
    .uniform_work_group_size: 1
    .uses_dynamic_stack: false
    .vgpr_count:     0
    .vgpr_spill_count: 0
    .wavefront_size: 32
    .workgroup_processor_mode: 1
  - .args:
      - .offset:         0
        .size:           112
        .value_kind:     by_value
    .group_segment_fixed_size: 0
    .kernarg_segment_align: 8
    .kernarg_segment_size: 112
    .language:       OpenCL C
    .language_version:
      - 2
      - 0
    .max_flat_workgroup_size: 256
    .name:           _ZN7rocprim17ROCPRIM_400000_NS6detail17trampoline_kernelINS0_14default_configENS1_25partition_config_selectorILNS1_17partition_subalgoE8ElNS0_10empty_typeEbEEZZNS1_14partition_implILS5_8ELb0ES3_jPKlPS6_PKS6_NS0_5tupleIJPlS6_EEENSE_IJSB_SB_EEENS0_18inequality_wrapperIN6hipcub16HIPCUB_304000_NS8EqualityEEESF_JS6_EEE10hipError_tPvRmT3_T4_T5_T6_T7_T9_mT8_P12ihipStream_tbDpT10_ENKUlT_T0_E_clISt17integral_constantIbLb1EES15_IbLb0EEEEDaS11_S12_EUlS11_E_NS1_11comp_targetILNS1_3genE2ELNS1_11target_archE906ELNS1_3gpuE6ELNS1_3repE0EEENS1_30default_config_static_selectorELNS0_4arch9wavefront6targetE0EEEvT1_
    .private_segment_fixed_size: 0
    .sgpr_count:     0
    .sgpr_spill_count: 0
    .symbol:         _ZN7rocprim17ROCPRIM_400000_NS6detail17trampoline_kernelINS0_14default_configENS1_25partition_config_selectorILNS1_17partition_subalgoE8ElNS0_10empty_typeEbEEZZNS1_14partition_implILS5_8ELb0ES3_jPKlPS6_PKS6_NS0_5tupleIJPlS6_EEENSE_IJSB_SB_EEENS0_18inequality_wrapperIN6hipcub16HIPCUB_304000_NS8EqualityEEESF_JS6_EEE10hipError_tPvRmT3_T4_T5_T6_T7_T9_mT8_P12ihipStream_tbDpT10_ENKUlT_T0_E_clISt17integral_constantIbLb1EES15_IbLb0EEEEDaS11_S12_EUlS11_E_NS1_11comp_targetILNS1_3genE2ELNS1_11target_archE906ELNS1_3gpuE6ELNS1_3repE0EEENS1_30default_config_static_selectorELNS0_4arch9wavefront6targetE0EEEvT1_.kd
    .uniform_work_group_size: 1
    .uses_dynamic_stack: false
    .vgpr_count:     0
    .vgpr_spill_count: 0
    .wavefront_size: 32
    .workgroup_processor_mode: 1
  - .args:
      - .offset:         0
        .size:           112
        .value_kind:     by_value
    .group_segment_fixed_size: 0
    .kernarg_segment_align: 8
    .kernarg_segment_size: 112
    .language:       OpenCL C
    .language_version:
      - 2
      - 0
    .max_flat_workgroup_size: 384
    .name:           _ZN7rocprim17ROCPRIM_400000_NS6detail17trampoline_kernelINS0_14default_configENS1_25partition_config_selectorILNS1_17partition_subalgoE8ElNS0_10empty_typeEbEEZZNS1_14partition_implILS5_8ELb0ES3_jPKlPS6_PKS6_NS0_5tupleIJPlS6_EEENSE_IJSB_SB_EEENS0_18inequality_wrapperIN6hipcub16HIPCUB_304000_NS8EqualityEEESF_JS6_EEE10hipError_tPvRmT3_T4_T5_T6_T7_T9_mT8_P12ihipStream_tbDpT10_ENKUlT_T0_E_clISt17integral_constantIbLb1EES15_IbLb0EEEEDaS11_S12_EUlS11_E_NS1_11comp_targetILNS1_3genE10ELNS1_11target_archE1200ELNS1_3gpuE4ELNS1_3repE0EEENS1_30default_config_static_selectorELNS0_4arch9wavefront6targetE0EEEvT1_
    .private_segment_fixed_size: 0
    .sgpr_count:     0
    .sgpr_spill_count: 0
    .symbol:         _ZN7rocprim17ROCPRIM_400000_NS6detail17trampoline_kernelINS0_14default_configENS1_25partition_config_selectorILNS1_17partition_subalgoE8ElNS0_10empty_typeEbEEZZNS1_14partition_implILS5_8ELb0ES3_jPKlPS6_PKS6_NS0_5tupleIJPlS6_EEENSE_IJSB_SB_EEENS0_18inequality_wrapperIN6hipcub16HIPCUB_304000_NS8EqualityEEESF_JS6_EEE10hipError_tPvRmT3_T4_T5_T6_T7_T9_mT8_P12ihipStream_tbDpT10_ENKUlT_T0_E_clISt17integral_constantIbLb1EES15_IbLb0EEEEDaS11_S12_EUlS11_E_NS1_11comp_targetILNS1_3genE10ELNS1_11target_archE1200ELNS1_3gpuE4ELNS1_3repE0EEENS1_30default_config_static_selectorELNS0_4arch9wavefront6targetE0EEEvT1_.kd
    .uniform_work_group_size: 1
    .uses_dynamic_stack: false
    .vgpr_count:     0
    .vgpr_spill_count: 0
    .wavefront_size: 32
    .workgroup_processor_mode: 1
  - .args:
      - .offset:         0
        .size:           112
        .value_kind:     by_value
    .group_segment_fixed_size: 0
    .kernarg_segment_align: 8
    .kernarg_segment_size: 112
    .language:       OpenCL C
    .language_version:
      - 2
      - 0
    .max_flat_workgroup_size: 512
    .name:           _ZN7rocprim17ROCPRIM_400000_NS6detail17trampoline_kernelINS0_14default_configENS1_25partition_config_selectorILNS1_17partition_subalgoE8ElNS0_10empty_typeEbEEZZNS1_14partition_implILS5_8ELb0ES3_jPKlPS6_PKS6_NS0_5tupleIJPlS6_EEENSE_IJSB_SB_EEENS0_18inequality_wrapperIN6hipcub16HIPCUB_304000_NS8EqualityEEESF_JS6_EEE10hipError_tPvRmT3_T4_T5_T6_T7_T9_mT8_P12ihipStream_tbDpT10_ENKUlT_T0_E_clISt17integral_constantIbLb1EES15_IbLb0EEEEDaS11_S12_EUlS11_E_NS1_11comp_targetILNS1_3genE9ELNS1_11target_archE1100ELNS1_3gpuE3ELNS1_3repE0EEENS1_30default_config_static_selectorELNS0_4arch9wavefront6targetE0EEEvT1_
    .private_segment_fixed_size: 0
    .sgpr_count:     0
    .sgpr_spill_count: 0
    .symbol:         _ZN7rocprim17ROCPRIM_400000_NS6detail17trampoline_kernelINS0_14default_configENS1_25partition_config_selectorILNS1_17partition_subalgoE8ElNS0_10empty_typeEbEEZZNS1_14partition_implILS5_8ELb0ES3_jPKlPS6_PKS6_NS0_5tupleIJPlS6_EEENSE_IJSB_SB_EEENS0_18inequality_wrapperIN6hipcub16HIPCUB_304000_NS8EqualityEEESF_JS6_EEE10hipError_tPvRmT3_T4_T5_T6_T7_T9_mT8_P12ihipStream_tbDpT10_ENKUlT_T0_E_clISt17integral_constantIbLb1EES15_IbLb0EEEEDaS11_S12_EUlS11_E_NS1_11comp_targetILNS1_3genE9ELNS1_11target_archE1100ELNS1_3gpuE3ELNS1_3repE0EEENS1_30default_config_static_selectorELNS0_4arch9wavefront6targetE0EEEvT1_.kd
    .uniform_work_group_size: 1
    .uses_dynamic_stack: false
    .vgpr_count:     0
    .vgpr_spill_count: 0
    .wavefront_size: 32
    .workgroup_processor_mode: 1
  - .args:
      - .offset:         0
        .size:           112
        .value_kind:     by_value
    .group_segment_fixed_size: 0
    .kernarg_segment_align: 8
    .kernarg_segment_size: 112
    .language:       OpenCL C
    .language_version:
      - 2
      - 0
    .max_flat_workgroup_size: 512
    .name:           _ZN7rocprim17ROCPRIM_400000_NS6detail17trampoline_kernelINS0_14default_configENS1_25partition_config_selectorILNS1_17partition_subalgoE8ElNS0_10empty_typeEbEEZZNS1_14partition_implILS5_8ELb0ES3_jPKlPS6_PKS6_NS0_5tupleIJPlS6_EEENSE_IJSB_SB_EEENS0_18inequality_wrapperIN6hipcub16HIPCUB_304000_NS8EqualityEEESF_JS6_EEE10hipError_tPvRmT3_T4_T5_T6_T7_T9_mT8_P12ihipStream_tbDpT10_ENKUlT_T0_E_clISt17integral_constantIbLb1EES15_IbLb0EEEEDaS11_S12_EUlS11_E_NS1_11comp_targetILNS1_3genE8ELNS1_11target_archE1030ELNS1_3gpuE2ELNS1_3repE0EEENS1_30default_config_static_selectorELNS0_4arch9wavefront6targetE0EEEvT1_
    .private_segment_fixed_size: 0
    .sgpr_count:     0
    .sgpr_spill_count: 0
    .symbol:         _ZN7rocprim17ROCPRIM_400000_NS6detail17trampoline_kernelINS0_14default_configENS1_25partition_config_selectorILNS1_17partition_subalgoE8ElNS0_10empty_typeEbEEZZNS1_14partition_implILS5_8ELb0ES3_jPKlPS6_PKS6_NS0_5tupleIJPlS6_EEENSE_IJSB_SB_EEENS0_18inequality_wrapperIN6hipcub16HIPCUB_304000_NS8EqualityEEESF_JS6_EEE10hipError_tPvRmT3_T4_T5_T6_T7_T9_mT8_P12ihipStream_tbDpT10_ENKUlT_T0_E_clISt17integral_constantIbLb1EES15_IbLb0EEEEDaS11_S12_EUlS11_E_NS1_11comp_targetILNS1_3genE8ELNS1_11target_archE1030ELNS1_3gpuE2ELNS1_3repE0EEENS1_30default_config_static_selectorELNS0_4arch9wavefront6targetE0EEEvT1_.kd
    .uniform_work_group_size: 1
    .uses_dynamic_stack: false
    .vgpr_count:     0
    .vgpr_spill_count: 0
    .wavefront_size: 32
    .workgroup_processor_mode: 1
  - .args:
      - .offset:         0
        .size:           128
        .value_kind:     by_value
    .group_segment_fixed_size: 0
    .kernarg_segment_align: 8
    .kernarg_segment_size: 128
    .language:       OpenCL C
    .language_version:
      - 2
      - 0
    .max_flat_workgroup_size: 512
    .name:           _ZN7rocprim17ROCPRIM_400000_NS6detail17trampoline_kernelINS0_14default_configENS1_25partition_config_selectorILNS1_17partition_subalgoE8ElNS0_10empty_typeEbEEZZNS1_14partition_implILS5_8ELb0ES3_jPKlPS6_PKS6_NS0_5tupleIJPlS6_EEENSE_IJSB_SB_EEENS0_18inequality_wrapperIN6hipcub16HIPCUB_304000_NS8EqualityEEESF_JS6_EEE10hipError_tPvRmT3_T4_T5_T6_T7_T9_mT8_P12ihipStream_tbDpT10_ENKUlT_T0_E_clISt17integral_constantIbLb0EES15_IbLb1EEEEDaS11_S12_EUlS11_E_NS1_11comp_targetILNS1_3genE0ELNS1_11target_archE4294967295ELNS1_3gpuE0ELNS1_3repE0EEENS1_30default_config_static_selectorELNS0_4arch9wavefront6targetE0EEEvT1_
    .private_segment_fixed_size: 0
    .sgpr_count:     0
    .sgpr_spill_count: 0
    .symbol:         _ZN7rocprim17ROCPRIM_400000_NS6detail17trampoline_kernelINS0_14default_configENS1_25partition_config_selectorILNS1_17partition_subalgoE8ElNS0_10empty_typeEbEEZZNS1_14partition_implILS5_8ELb0ES3_jPKlPS6_PKS6_NS0_5tupleIJPlS6_EEENSE_IJSB_SB_EEENS0_18inequality_wrapperIN6hipcub16HIPCUB_304000_NS8EqualityEEESF_JS6_EEE10hipError_tPvRmT3_T4_T5_T6_T7_T9_mT8_P12ihipStream_tbDpT10_ENKUlT_T0_E_clISt17integral_constantIbLb0EES15_IbLb1EEEEDaS11_S12_EUlS11_E_NS1_11comp_targetILNS1_3genE0ELNS1_11target_archE4294967295ELNS1_3gpuE0ELNS1_3repE0EEENS1_30default_config_static_selectorELNS0_4arch9wavefront6targetE0EEEvT1_.kd
    .uniform_work_group_size: 1
    .uses_dynamic_stack: false
    .vgpr_count:     0
    .vgpr_spill_count: 0
    .wavefront_size: 32
    .workgroup_processor_mode: 1
  - .args:
      - .offset:         0
        .size:           128
        .value_kind:     by_value
    .group_segment_fixed_size: 0
    .kernarg_segment_align: 8
    .kernarg_segment_size: 128
    .language:       OpenCL C
    .language_version:
      - 2
      - 0
    .max_flat_workgroup_size: 512
    .name:           _ZN7rocprim17ROCPRIM_400000_NS6detail17trampoline_kernelINS0_14default_configENS1_25partition_config_selectorILNS1_17partition_subalgoE8ElNS0_10empty_typeEbEEZZNS1_14partition_implILS5_8ELb0ES3_jPKlPS6_PKS6_NS0_5tupleIJPlS6_EEENSE_IJSB_SB_EEENS0_18inequality_wrapperIN6hipcub16HIPCUB_304000_NS8EqualityEEESF_JS6_EEE10hipError_tPvRmT3_T4_T5_T6_T7_T9_mT8_P12ihipStream_tbDpT10_ENKUlT_T0_E_clISt17integral_constantIbLb0EES15_IbLb1EEEEDaS11_S12_EUlS11_E_NS1_11comp_targetILNS1_3genE5ELNS1_11target_archE942ELNS1_3gpuE9ELNS1_3repE0EEENS1_30default_config_static_selectorELNS0_4arch9wavefront6targetE0EEEvT1_
    .private_segment_fixed_size: 0
    .sgpr_count:     0
    .sgpr_spill_count: 0
    .symbol:         _ZN7rocprim17ROCPRIM_400000_NS6detail17trampoline_kernelINS0_14default_configENS1_25partition_config_selectorILNS1_17partition_subalgoE8ElNS0_10empty_typeEbEEZZNS1_14partition_implILS5_8ELb0ES3_jPKlPS6_PKS6_NS0_5tupleIJPlS6_EEENSE_IJSB_SB_EEENS0_18inequality_wrapperIN6hipcub16HIPCUB_304000_NS8EqualityEEESF_JS6_EEE10hipError_tPvRmT3_T4_T5_T6_T7_T9_mT8_P12ihipStream_tbDpT10_ENKUlT_T0_E_clISt17integral_constantIbLb0EES15_IbLb1EEEEDaS11_S12_EUlS11_E_NS1_11comp_targetILNS1_3genE5ELNS1_11target_archE942ELNS1_3gpuE9ELNS1_3repE0EEENS1_30default_config_static_selectorELNS0_4arch9wavefront6targetE0EEEvT1_.kd
    .uniform_work_group_size: 1
    .uses_dynamic_stack: false
    .vgpr_count:     0
    .vgpr_spill_count: 0
    .wavefront_size: 32
    .workgroup_processor_mode: 1
  - .args:
      - .offset:         0
        .size:           128
        .value_kind:     by_value
    .group_segment_fixed_size: 0
    .kernarg_segment_align: 8
    .kernarg_segment_size: 128
    .language:       OpenCL C
    .language_version:
      - 2
      - 0
    .max_flat_workgroup_size: 256
    .name:           _ZN7rocprim17ROCPRIM_400000_NS6detail17trampoline_kernelINS0_14default_configENS1_25partition_config_selectorILNS1_17partition_subalgoE8ElNS0_10empty_typeEbEEZZNS1_14partition_implILS5_8ELb0ES3_jPKlPS6_PKS6_NS0_5tupleIJPlS6_EEENSE_IJSB_SB_EEENS0_18inequality_wrapperIN6hipcub16HIPCUB_304000_NS8EqualityEEESF_JS6_EEE10hipError_tPvRmT3_T4_T5_T6_T7_T9_mT8_P12ihipStream_tbDpT10_ENKUlT_T0_E_clISt17integral_constantIbLb0EES15_IbLb1EEEEDaS11_S12_EUlS11_E_NS1_11comp_targetILNS1_3genE4ELNS1_11target_archE910ELNS1_3gpuE8ELNS1_3repE0EEENS1_30default_config_static_selectorELNS0_4arch9wavefront6targetE0EEEvT1_
    .private_segment_fixed_size: 0
    .sgpr_count:     0
    .sgpr_spill_count: 0
    .symbol:         _ZN7rocprim17ROCPRIM_400000_NS6detail17trampoline_kernelINS0_14default_configENS1_25partition_config_selectorILNS1_17partition_subalgoE8ElNS0_10empty_typeEbEEZZNS1_14partition_implILS5_8ELb0ES3_jPKlPS6_PKS6_NS0_5tupleIJPlS6_EEENSE_IJSB_SB_EEENS0_18inequality_wrapperIN6hipcub16HIPCUB_304000_NS8EqualityEEESF_JS6_EEE10hipError_tPvRmT3_T4_T5_T6_T7_T9_mT8_P12ihipStream_tbDpT10_ENKUlT_T0_E_clISt17integral_constantIbLb0EES15_IbLb1EEEEDaS11_S12_EUlS11_E_NS1_11comp_targetILNS1_3genE4ELNS1_11target_archE910ELNS1_3gpuE8ELNS1_3repE0EEENS1_30default_config_static_selectorELNS0_4arch9wavefront6targetE0EEEvT1_.kd
    .uniform_work_group_size: 1
    .uses_dynamic_stack: false
    .vgpr_count:     0
    .vgpr_spill_count: 0
    .wavefront_size: 32
    .workgroup_processor_mode: 1
  - .args:
      - .offset:         0
        .size:           128
        .value_kind:     by_value
    .group_segment_fixed_size: 0
    .kernarg_segment_align: 8
    .kernarg_segment_size: 128
    .language:       OpenCL C
    .language_version:
      - 2
      - 0
    .max_flat_workgroup_size: 512
    .name:           _ZN7rocprim17ROCPRIM_400000_NS6detail17trampoline_kernelINS0_14default_configENS1_25partition_config_selectorILNS1_17partition_subalgoE8ElNS0_10empty_typeEbEEZZNS1_14partition_implILS5_8ELb0ES3_jPKlPS6_PKS6_NS0_5tupleIJPlS6_EEENSE_IJSB_SB_EEENS0_18inequality_wrapperIN6hipcub16HIPCUB_304000_NS8EqualityEEESF_JS6_EEE10hipError_tPvRmT3_T4_T5_T6_T7_T9_mT8_P12ihipStream_tbDpT10_ENKUlT_T0_E_clISt17integral_constantIbLb0EES15_IbLb1EEEEDaS11_S12_EUlS11_E_NS1_11comp_targetILNS1_3genE3ELNS1_11target_archE908ELNS1_3gpuE7ELNS1_3repE0EEENS1_30default_config_static_selectorELNS0_4arch9wavefront6targetE0EEEvT1_
    .private_segment_fixed_size: 0
    .sgpr_count:     0
    .sgpr_spill_count: 0
    .symbol:         _ZN7rocprim17ROCPRIM_400000_NS6detail17trampoline_kernelINS0_14default_configENS1_25partition_config_selectorILNS1_17partition_subalgoE8ElNS0_10empty_typeEbEEZZNS1_14partition_implILS5_8ELb0ES3_jPKlPS6_PKS6_NS0_5tupleIJPlS6_EEENSE_IJSB_SB_EEENS0_18inequality_wrapperIN6hipcub16HIPCUB_304000_NS8EqualityEEESF_JS6_EEE10hipError_tPvRmT3_T4_T5_T6_T7_T9_mT8_P12ihipStream_tbDpT10_ENKUlT_T0_E_clISt17integral_constantIbLb0EES15_IbLb1EEEEDaS11_S12_EUlS11_E_NS1_11comp_targetILNS1_3genE3ELNS1_11target_archE908ELNS1_3gpuE7ELNS1_3repE0EEENS1_30default_config_static_selectorELNS0_4arch9wavefront6targetE0EEEvT1_.kd
    .uniform_work_group_size: 1
    .uses_dynamic_stack: false
    .vgpr_count:     0
    .vgpr_spill_count: 0
    .wavefront_size: 32
    .workgroup_processor_mode: 1
  - .args:
      - .offset:         0
        .size:           128
        .value_kind:     by_value
    .group_segment_fixed_size: 0
    .kernarg_segment_align: 8
    .kernarg_segment_size: 128
    .language:       OpenCL C
    .language_version:
      - 2
      - 0
    .max_flat_workgroup_size: 256
    .name:           _ZN7rocprim17ROCPRIM_400000_NS6detail17trampoline_kernelINS0_14default_configENS1_25partition_config_selectorILNS1_17partition_subalgoE8ElNS0_10empty_typeEbEEZZNS1_14partition_implILS5_8ELb0ES3_jPKlPS6_PKS6_NS0_5tupleIJPlS6_EEENSE_IJSB_SB_EEENS0_18inequality_wrapperIN6hipcub16HIPCUB_304000_NS8EqualityEEESF_JS6_EEE10hipError_tPvRmT3_T4_T5_T6_T7_T9_mT8_P12ihipStream_tbDpT10_ENKUlT_T0_E_clISt17integral_constantIbLb0EES15_IbLb1EEEEDaS11_S12_EUlS11_E_NS1_11comp_targetILNS1_3genE2ELNS1_11target_archE906ELNS1_3gpuE6ELNS1_3repE0EEENS1_30default_config_static_selectorELNS0_4arch9wavefront6targetE0EEEvT1_
    .private_segment_fixed_size: 0
    .sgpr_count:     0
    .sgpr_spill_count: 0
    .symbol:         _ZN7rocprim17ROCPRIM_400000_NS6detail17trampoline_kernelINS0_14default_configENS1_25partition_config_selectorILNS1_17partition_subalgoE8ElNS0_10empty_typeEbEEZZNS1_14partition_implILS5_8ELb0ES3_jPKlPS6_PKS6_NS0_5tupleIJPlS6_EEENSE_IJSB_SB_EEENS0_18inequality_wrapperIN6hipcub16HIPCUB_304000_NS8EqualityEEESF_JS6_EEE10hipError_tPvRmT3_T4_T5_T6_T7_T9_mT8_P12ihipStream_tbDpT10_ENKUlT_T0_E_clISt17integral_constantIbLb0EES15_IbLb1EEEEDaS11_S12_EUlS11_E_NS1_11comp_targetILNS1_3genE2ELNS1_11target_archE906ELNS1_3gpuE6ELNS1_3repE0EEENS1_30default_config_static_selectorELNS0_4arch9wavefront6targetE0EEEvT1_.kd
    .uniform_work_group_size: 1
    .uses_dynamic_stack: false
    .vgpr_count:     0
    .vgpr_spill_count: 0
    .wavefront_size: 32
    .workgroup_processor_mode: 1
  - .args:
      - .offset:         0
        .size:           128
        .value_kind:     by_value
    .group_segment_fixed_size: 0
    .kernarg_segment_align: 8
    .kernarg_segment_size: 128
    .language:       OpenCL C
    .language_version:
      - 2
      - 0
    .max_flat_workgroup_size: 384
    .name:           _ZN7rocprim17ROCPRIM_400000_NS6detail17trampoline_kernelINS0_14default_configENS1_25partition_config_selectorILNS1_17partition_subalgoE8ElNS0_10empty_typeEbEEZZNS1_14partition_implILS5_8ELb0ES3_jPKlPS6_PKS6_NS0_5tupleIJPlS6_EEENSE_IJSB_SB_EEENS0_18inequality_wrapperIN6hipcub16HIPCUB_304000_NS8EqualityEEESF_JS6_EEE10hipError_tPvRmT3_T4_T5_T6_T7_T9_mT8_P12ihipStream_tbDpT10_ENKUlT_T0_E_clISt17integral_constantIbLb0EES15_IbLb1EEEEDaS11_S12_EUlS11_E_NS1_11comp_targetILNS1_3genE10ELNS1_11target_archE1200ELNS1_3gpuE4ELNS1_3repE0EEENS1_30default_config_static_selectorELNS0_4arch9wavefront6targetE0EEEvT1_
    .private_segment_fixed_size: 0
    .sgpr_count:     0
    .sgpr_spill_count: 0
    .symbol:         _ZN7rocprim17ROCPRIM_400000_NS6detail17trampoline_kernelINS0_14default_configENS1_25partition_config_selectorILNS1_17partition_subalgoE8ElNS0_10empty_typeEbEEZZNS1_14partition_implILS5_8ELb0ES3_jPKlPS6_PKS6_NS0_5tupleIJPlS6_EEENSE_IJSB_SB_EEENS0_18inequality_wrapperIN6hipcub16HIPCUB_304000_NS8EqualityEEESF_JS6_EEE10hipError_tPvRmT3_T4_T5_T6_T7_T9_mT8_P12ihipStream_tbDpT10_ENKUlT_T0_E_clISt17integral_constantIbLb0EES15_IbLb1EEEEDaS11_S12_EUlS11_E_NS1_11comp_targetILNS1_3genE10ELNS1_11target_archE1200ELNS1_3gpuE4ELNS1_3repE0EEENS1_30default_config_static_selectorELNS0_4arch9wavefront6targetE0EEEvT1_.kd
    .uniform_work_group_size: 1
    .uses_dynamic_stack: false
    .vgpr_count:     0
    .vgpr_spill_count: 0
    .wavefront_size: 32
    .workgroup_processor_mode: 1
  - .args:
      - .offset:         0
        .size:           128
        .value_kind:     by_value
    .group_segment_fixed_size: 0
    .kernarg_segment_align: 8
    .kernarg_segment_size: 128
    .language:       OpenCL C
    .language_version:
      - 2
      - 0
    .max_flat_workgroup_size: 512
    .name:           _ZN7rocprim17ROCPRIM_400000_NS6detail17trampoline_kernelINS0_14default_configENS1_25partition_config_selectorILNS1_17partition_subalgoE8ElNS0_10empty_typeEbEEZZNS1_14partition_implILS5_8ELb0ES3_jPKlPS6_PKS6_NS0_5tupleIJPlS6_EEENSE_IJSB_SB_EEENS0_18inequality_wrapperIN6hipcub16HIPCUB_304000_NS8EqualityEEESF_JS6_EEE10hipError_tPvRmT3_T4_T5_T6_T7_T9_mT8_P12ihipStream_tbDpT10_ENKUlT_T0_E_clISt17integral_constantIbLb0EES15_IbLb1EEEEDaS11_S12_EUlS11_E_NS1_11comp_targetILNS1_3genE9ELNS1_11target_archE1100ELNS1_3gpuE3ELNS1_3repE0EEENS1_30default_config_static_selectorELNS0_4arch9wavefront6targetE0EEEvT1_
    .private_segment_fixed_size: 0
    .sgpr_count:     0
    .sgpr_spill_count: 0
    .symbol:         _ZN7rocprim17ROCPRIM_400000_NS6detail17trampoline_kernelINS0_14default_configENS1_25partition_config_selectorILNS1_17partition_subalgoE8ElNS0_10empty_typeEbEEZZNS1_14partition_implILS5_8ELb0ES3_jPKlPS6_PKS6_NS0_5tupleIJPlS6_EEENSE_IJSB_SB_EEENS0_18inequality_wrapperIN6hipcub16HIPCUB_304000_NS8EqualityEEESF_JS6_EEE10hipError_tPvRmT3_T4_T5_T6_T7_T9_mT8_P12ihipStream_tbDpT10_ENKUlT_T0_E_clISt17integral_constantIbLb0EES15_IbLb1EEEEDaS11_S12_EUlS11_E_NS1_11comp_targetILNS1_3genE9ELNS1_11target_archE1100ELNS1_3gpuE3ELNS1_3repE0EEENS1_30default_config_static_selectorELNS0_4arch9wavefront6targetE0EEEvT1_.kd
    .uniform_work_group_size: 1
    .uses_dynamic_stack: false
    .vgpr_count:     0
    .vgpr_spill_count: 0
    .wavefront_size: 32
    .workgroup_processor_mode: 1
  - .args:
      - .offset:         0
        .size:           128
        .value_kind:     by_value
    .group_segment_fixed_size: 33800
    .kernarg_segment_align: 8
    .kernarg_segment_size: 128
    .language:       OpenCL C
    .language_version:
      - 2
      - 0
    .max_flat_workgroup_size: 512
    .name:           _ZN7rocprim17ROCPRIM_400000_NS6detail17trampoline_kernelINS0_14default_configENS1_25partition_config_selectorILNS1_17partition_subalgoE8ElNS0_10empty_typeEbEEZZNS1_14partition_implILS5_8ELb0ES3_jPKlPS6_PKS6_NS0_5tupleIJPlS6_EEENSE_IJSB_SB_EEENS0_18inequality_wrapperIN6hipcub16HIPCUB_304000_NS8EqualityEEESF_JS6_EEE10hipError_tPvRmT3_T4_T5_T6_T7_T9_mT8_P12ihipStream_tbDpT10_ENKUlT_T0_E_clISt17integral_constantIbLb0EES15_IbLb1EEEEDaS11_S12_EUlS11_E_NS1_11comp_targetILNS1_3genE8ELNS1_11target_archE1030ELNS1_3gpuE2ELNS1_3repE0EEENS1_30default_config_static_selectorELNS0_4arch9wavefront6targetE0EEEvT1_
    .private_segment_fixed_size: 0
    .sgpr_count:     25
    .sgpr_spill_count: 0
    .symbol:         _ZN7rocprim17ROCPRIM_400000_NS6detail17trampoline_kernelINS0_14default_configENS1_25partition_config_selectorILNS1_17partition_subalgoE8ElNS0_10empty_typeEbEEZZNS1_14partition_implILS5_8ELb0ES3_jPKlPS6_PKS6_NS0_5tupleIJPlS6_EEENSE_IJSB_SB_EEENS0_18inequality_wrapperIN6hipcub16HIPCUB_304000_NS8EqualityEEESF_JS6_EEE10hipError_tPvRmT3_T4_T5_T6_T7_T9_mT8_P12ihipStream_tbDpT10_ENKUlT_T0_E_clISt17integral_constantIbLb0EES15_IbLb1EEEEDaS11_S12_EUlS11_E_NS1_11comp_targetILNS1_3genE8ELNS1_11target_archE1030ELNS1_3gpuE2ELNS1_3repE0EEENS1_30default_config_static_selectorELNS0_4arch9wavefront6targetE0EEEvT1_.kd
    .uniform_work_group_size: 1
    .uses_dynamic_stack: false
    .vgpr_count:     57
    .vgpr_spill_count: 0
    .wavefront_size: 32
    .workgroup_processor_mode: 1
  - .args:
      - .address_space:  global
        .offset:         0
        .size:           8
        .value_kind:     global_buffer
      - .address_space:  global
        .offset:         8
        .size:           8
        .value_kind:     global_buffer
      - .offset:         16
        .size:           8
        .value_kind:     by_value
      - .offset:         24
        .size:           8
        .value_kind:     by_value
      - .offset:         32
        .size:           8
        .value_kind:     by_value
      - .offset:         40
        .size:           8
        .value_kind:     by_value
      - .offset:         48
        .size:           8
        .value_kind:     by_value
      - .offset:         56
        .size:           8
        .value_kind:     by_value
      - .address_space:  global
        .offset:         64
        .size:           8
        .value_kind:     global_buffer
      - .offset:         72
        .size:           4
        .value_kind:     hidden_block_count_x
      - .offset:         76
        .size:           4
        .value_kind:     hidden_block_count_y
      - .offset:         80
        .size:           4
        .value_kind:     hidden_block_count_z
      - .offset:         84
        .size:           2
        .value_kind:     hidden_group_size_x
      - .offset:         86
        .size:           2
        .value_kind:     hidden_group_size_y
      - .offset:         88
        .size:           2
        .value_kind:     hidden_group_size_z
      - .offset:         90
        .size:           2
        .value_kind:     hidden_remainder_x
      - .offset:         92
        .size:           2
        .value_kind:     hidden_remainder_y
      - .offset:         94
        .size:           2
        .value_kind:     hidden_remainder_z
      - .offset:         112
        .size:           8
        .value_kind:     hidden_global_offset_x
      - .offset:         120
        .size:           8
        .value_kind:     hidden_global_offset_y
      - .offset:         128
        .size:           8
        .value_kind:     hidden_global_offset_z
      - .offset:         136
        .size:           2
        .value_kind:     hidden_grid_dims
      - .offset:         192
        .size:           4
        .value_kind:     hidden_dynamic_lds_size
    .group_segment_fixed_size: 0
    .kernarg_segment_align: 8
    .kernarg_segment_size: 328
    .language:       OpenCL C
    .language_version:
      - 2
      - 0
    .max_flat_workgroup_size: 1024
    .name:           _ZN2at6native12_GLOBAL__N_113renorm_kernelIddKlEEvPT_PT1_T0_S8_llllPS3_
    .private_segment_fixed_size: 0
    .sgpr_count:     83
    .sgpr_spill_count: 0
    .symbol:         _ZN2at6native12_GLOBAL__N_113renorm_kernelIddKlEEvPT_PT1_T0_S8_llllPS3_.kd
    .uniform_work_group_size: 1
    .uses_dynamic_stack: false
    .vgpr_count:     31
    .vgpr_spill_count: 0
    .wavefront_size: 32
    .workgroup_processor_mode: 1
  - .args:
      - .address_space:  global
        .offset:         0
        .size:           8
        .value_kind:     global_buffer
      - .address_space:  global
        .offset:         8
        .size:           8
        .value_kind:     global_buffer
      - .offset:         16
        .size:           4
        .value_kind:     by_value
      - .offset:         20
        .size:           4
        .value_kind:     by_value
      - .offset:         24
        .size:           8
        .value_kind:     by_value
      - .offset:         32
        .size:           8
        .value_kind:     by_value
      - .offset:         40
        .size:           8
        .value_kind:     by_value
      - .offset:         48
        .size:           8
        .value_kind:     by_value
      - .address_space:  global
        .offset:         56
        .size:           8
        .value_kind:     global_buffer
      - .offset:         64
        .size:           4
        .value_kind:     hidden_block_count_x
      - .offset:         68
        .size:           4
        .value_kind:     hidden_block_count_y
      - .offset:         72
        .size:           4
        .value_kind:     hidden_block_count_z
      - .offset:         76
        .size:           2
        .value_kind:     hidden_group_size_x
      - .offset:         78
        .size:           2
        .value_kind:     hidden_group_size_y
      - .offset:         80
        .size:           2
        .value_kind:     hidden_group_size_z
      - .offset:         82
        .size:           2
        .value_kind:     hidden_remainder_x
      - .offset:         84
        .size:           2
        .value_kind:     hidden_remainder_y
      - .offset:         86
        .size:           2
        .value_kind:     hidden_remainder_z
      - .offset:         104
        .size:           8
        .value_kind:     hidden_global_offset_x
      - .offset:         112
        .size:           8
        .value_kind:     hidden_global_offset_y
      - .offset:         120
        .size:           8
        .value_kind:     hidden_global_offset_z
      - .offset:         128
        .size:           2
        .value_kind:     hidden_grid_dims
      - .offset:         184
        .size:           4
        .value_kind:     hidden_dynamic_lds_size
    .group_segment_fixed_size: 0
    .kernarg_segment_align: 8
    .kernarg_segment_size: 320
    .language:       OpenCL C
    .language_version:
      - 2
      - 0
    .max_flat_workgroup_size: 1024
    .name:           _ZN2at6native12_GLOBAL__N_113renorm_kernelIffKlEEvPT_PT1_T0_S8_llllPS3_
    .private_segment_fixed_size: 0
    .sgpr_count:     29
    .sgpr_spill_count: 0
    .symbol:         _ZN2at6native12_GLOBAL__N_113renorm_kernelIffKlEEvPT_PT1_T0_S8_llllPS3_.kd
    .uniform_work_group_size: 1
    .uses_dynamic_stack: false
    .vgpr_count:     19
    .vgpr_spill_count: 0
    .wavefront_size: 32
    .workgroup_processor_mode: 1
  - .args:
      - .address_space:  global
        .offset:         0
        .size:           8
        .value_kind:     global_buffer
      - .address_space:  global
        .offset:         8
        .size:           8
        .value_kind:     global_buffer
      - .offset:         16
        .size:           4
        .value_kind:     by_value
      - .offset:         20
        .size:           4
        .value_kind:     by_value
      - .offset:         24
        .size:           8
        .value_kind:     by_value
      - .offset:         32
        .size:           8
        .value_kind:     by_value
      - .offset:         40
        .size:           8
        .value_kind:     by_value
      - .offset:         48
        .size:           8
        .value_kind:     by_value
      - .address_space:  global
        .offset:         56
        .size:           8
        .value_kind:     global_buffer
      - .offset:         64
        .size:           4
        .value_kind:     hidden_block_count_x
      - .offset:         68
        .size:           4
        .value_kind:     hidden_block_count_y
      - .offset:         72
        .size:           4
        .value_kind:     hidden_block_count_z
      - .offset:         76
        .size:           2
        .value_kind:     hidden_group_size_x
      - .offset:         78
        .size:           2
        .value_kind:     hidden_group_size_y
      - .offset:         80
        .size:           2
        .value_kind:     hidden_group_size_z
      - .offset:         82
        .size:           2
        .value_kind:     hidden_remainder_x
      - .offset:         84
        .size:           2
        .value_kind:     hidden_remainder_y
      - .offset:         86
        .size:           2
        .value_kind:     hidden_remainder_z
      - .offset:         104
        .size:           8
        .value_kind:     hidden_global_offset_x
      - .offset:         112
        .size:           8
        .value_kind:     hidden_global_offset_y
      - .offset:         120
        .size:           8
        .value_kind:     hidden_global_offset_z
      - .offset:         128
        .size:           2
        .value_kind:     hidden_grid_dims
      - .offset:         184
        .size:           4
        .value_kind:     hidden_dynamic_lds_size
    .group_segment_fixed_size: 0
    .kernarg_segment_align: 8
    .kernarg_segment_size: 320
    .language:       OpenCL C
    .language_version:
      - 2
      - 0
    .max_flat_workgroup_size: 1024
    .name:           _ZN2at6native12_GLOBAL__N_113renorm_kernelIN3c104HalfEfKlEEvPT_PT1_T0_SA_llllPS5_
    .private_segment_fixed_size: 0
    .sgpr_count:     29
    .sgpr_spill_count: 0
    .symbol:         _ZN2at6native12_GLOBAL__N_113renorm_kernelIN3c104HalfEfKlEEvPT_PT1_T0_SA_llllPS5_.kd
    .uniform_work_group_size: 1
    .uses_dynamic_stack: false
    .vgpr_count:     19
    .vgpr_spill_count: 0
    .wavefront_size: 32
    .workgroup_processor_mode: 1
  - .args:
      - .address_space:  global
        .offset:         0
        .size:           8
        .value_kind:     global_buffer
      - .address_space:  global
        .offset:         8
        .size:           8
        .value_kind:     global_buffer
      - .offset:         16
        .size:           4
        .value_kind:     by_value
      - .offset:         20
        .size:           4
        .value_kind:     by_value
      - .offset:         24
        .size:           8
        .value_kind:     by_value
      - .offset:         32
        .size:           8
        .value_kind:     by_value
      - .offset:         40
        .size:           8
        .value_kind:     by_value
      - .offset:         48
        .size:           8
        .value_kind:     by_value
      - .address_space:  global
        .offset:         56
        .size:           8
        .value_kind:     global_buffer
      - .offset:         64
        .size:           4
        .value_kind:     hidden_block_count_x
      - .offset:         68
        .size:           4
        .value_kind:     hidden_block_count_y
      - .offset:         72
        .size:           4
        .value_kind:     hidden_block_count_z
      - .offset:         76
        .size:           2
        .value_kind:     hidden_group_size_x
      - .offset:         78
        .size:           2
        .value_kind:     hidden_group_size_y
      - .offset:         80
        .size:           2
        .value_kind:     hidden_group_size_z
      - .offset:         82
        .size:           2
        .value_kind:     hidden_remainder_x
      - .offset:         84
        .size:           2
        .value_kind:     hidden_remainder_y
      - .offset:         86
        .size:           2
        .value_kind:     hidden_remainder_z
      - .offset:         104
        .size:           8
        .value_kind:     hidden_global_offset_x
      - .offset:         112
        .size:           8
        .value_kind:     hidden_global_offset_y
      - .offset:         120
        .size:           8
        .value_kind:     hidden_global_offset_z
      - .offset:         128
        .size:           2
        .value_kind:     hidden_grid_dims
      - .offset:         184
        .size:           4
        .value_kind:     hidden_dynamic_lds_size
    .group_segment_fixed_size: 0
    .kernarg_segment_align: 8
    .kernarg_segment_size: 320
    .language:       OpenCL C
    .language_version:
      - 2
      - 0
    .max_flat_workgroup_size: 1024
    .name:           _ZN2at6native12_GLOBAL__N_113renorm_kernelIN3c108BFloat16EfKlEEvPT_PT1_T0_SA_llllPS5_
    .private_segment_fixed_size: 0
    .sgpr_count:     29
    .sgpr_spill_count: 0
    .symbol:         _ZN2at6native12_GLOBAL__N_113renorm_kernelIN3c108BFloat16EfKlEEvPT_PT1_T0_SA_llllPS5_.kd
    .uniform_work_group_size: 1
    .uses_dynamic_stack: false
    .vgpr_count:     19
    .vgpr_spill_count: 0
    .wavefront_size: 32
    .workgroup_processor_mode: 1
amdhsa.target:   amdgcn-amd-amdhsa--gfx1030
amdhsa.version:
  - 1
  - 2
...

	.end_amdgpu_metadata
